;; amdgpu-corpus repo=ROCm/rocSPARSE kind=compiled arch=gfx1250 opt=O3
	.amdgcn_target "amdgcn-amd-amdhsa--gfx1250"
	.amdhsa_code_object_version 6
	.section	.text._ZN9rocsparseL24csr2gebsr_nnz_kernel_bm1ILj256EEEvi21rocsparse_index_base_PKiS3_S1_Pii,"axG",@progbits,_ZN9rocsparseL24csr2gebsr_nnz_kernel_bm1ILj256EEEvi21rocsparse_index_base_PKiS3_S1_Pii,comdat
	.globl	_ZN9rocsparseL24csr2gebsr_nnz_kernel_bm1ILj256EEEvi21rocsparse_index_base_PKiS3_S1_Pii ; -- Begin function _ZN9rocsparseL24csr2gebsr_nnz_kernel_bm1ILj256EEEvi21rocsparse_index_base_PKiS3_S1_Pii
	.p2align	8
	.type	_ZN9rocsparseL24csr2gebsr_nnz_kernel_bm1ILj256EEEvi21rocsparse_index_base_PKiS3_S1_Pii,@function
_ZN9rocsparseL24csr2gebsr_nnz_kernel_bm1ILj256EEEvi21rocsparse_index_base_PKiS3_S1_Pii: ; @_ZN9rocsparseL24csr2gebsr_nnz_kernel_bm1ILj256EEEvi21rocsparse_index_base_PKiS3_S1_Pii
; %bb.0:
	s_load_b64 s[2:3], s[0:1], 0x0
	s_bfe_u32 s4, ttmp6, 0x4000c
	s_and_b32 s5, ttmp6, 15
	s_add_co_i32 s4, s4, 1
	s_getreg_b32 s6, hwreg(HW_REG_IB_STS2, 6, 4)
	s_mul_i32 s4, ttmp9, s4
	s_delay_alu instid0(SALU_CYCLE_1) | instskip(SKIP_2) | instid1(SALU_CYCLE_1)
	s_add_co_i32 s5, s5, s4
	s_cmp_eq_u32 s6, 0
	s_cselect_b32 s4, ttmp9, s5
	v_lshl_or_b32 v0, s4, 8, v0
	s_wait_kmcnt 0x0
	s_delay_alu instid0(VALU_DEP_1)
	v_cmp_gt_i32_e32 vcc_lo, s2, v0
	s_and_saveexec_b32 s2, vcc_lo
	s_cbranch_execz .LBB0_14
; %bb.1:
	s_clause 0x1
	s_load_b64 s[6:7], s[0:1], 0x8
	s_load_b64 s[4:5], s[0:1], 0x20
	v_dual_mov_b32 v10, 0 :: v_dual_ashrrev_i32 v1, 31, v0
	v_mov_b32_e32 v6, 0
	s_mov_b32 s10, exec_lo
	s_wait_kmcnt 0x0
	s_delay_alu instid0(VALU_DEP_2)
	v_lshl_add_u64 v[2:3], v[0:1], 2, s[6:7]
	global_load_b64 v[4:5], v[2:3], off
	s_wait_loadcnt 0x0
	v_cmpx_lt_i32_e64 v4, v5
	s_cbranch_execz .LBB0_13
; %bb.2:
	v_subrev_nc_u32_e32 v11, s3, v5
	v_subrev_nc_u32_e32 v2, s3, v4
	s_clause 0x1
	s_load_b64 s[6:7], s[0:1], 0x10
	s_load_b32 s11, s[0:1], 0x28
	s_mov_b32 s2, 0
	s_mov_b32 s12, exec_lo
                                        ; implicit-def: $vgpr12
                                        ; implicit-def: $vgpr6
                                        ; implicit-def: $vgpr13
                                        ; implicit-def: $vgpr14
                                        ; implicit-def: $sgpr8_sgpr9
	v_add_max_i32_e64 v3, v2, 1, v11
	s_delay_alu instid0(VALU_DEP_1) | instskip(NEXT) | instid1(VALU_DEP_1)
	v_add_nc_u32_e32 v3, s3, v3
	v_sub_nc_u32_e32 v3, v3, v4
	s_delay_alu instid0(VALU_DEP_1)
	v_cmpx_lt_u32_e32 1, v3
	s_xor_b32 s12, exec_lo, s12
	s_cbranch_execz .LBB0_6
; %bb.3:
	s_wait_kmcnt 0x0
	s_abs_i32 s13, s11
	v_dual_mov_b32 v15, -1 :: v_dual_bitop2_b32 v8, -2, v3 bitop3:0x40
	s_cvt_f32_u32 s2, s13
	s_sub_co_i32 s8, 0, s13
	v_dual_mov_b32 v5, 0 :: v_dual_mov_b32 v9, 0
	s_delay_alu instid0(SALU_CYCLE_1)
	v_rcp_iflag_f32_e32 v4, s2
	v_dual_mov_b32 v6, v2 :: v_dual_mov_b32 v13, 0
	v_mov_b32_e32 v14, v8
	s_mov_b32 s9, 0
	s_mov_b32 s15, s3
	s_ashr_i32 s14, s11, 31
	s_delay_alu instid0(TRANS32_DEP_1) | instskip(SKIP_2) | instid1(SALU_CYCLE_3)
	v_readfirstlane_b32 s2, v4
	s_mov_b32 s16, s9
	s_mul_f32 s2, s2, 0x4f7ffffe
	s_cvt_u32_f32 s2, s2
	s_delay_alu instid0(SALU_CYCLE_3) | instskip(NEXT) | instid1(SALU_CYCLE_1)
	s_mul_i32 s8, s8, s2
	s_mul_hi_u32 s8, s2, s8
	s_delay_alu instid0(SALU_CYCLE_1)
	s_add_co_i32 s8, s2, s8
.LBB0_4:                                ; =>This Inner Loop Header: Depth=1
	v_ashrrev_i32_e32 v7, 31, v6
	v_add_nc_u32_e32 v14, -2, v14
	s_delay_alu instid0(VALU_DEP_2) | instskip(SKIP_1) | instid1(VALU_DEP_3)
	v_lshl_add_u64 v[16:17], v[6:7], 2, s[6:7]
	v_add_nc_u32_e32 v6, 2, v6
	v_cmp_eq_u32_e32 vcc_lo, 0, v14
	global_load_b64 v[16:17], v[16:17], off
	s_or_b32 s16, vcc_lo, s16
	s_wait_loadcnt 0x0
	v_subrev_nc_u32_e32 v7, s15, v16
	v_subrev_nc_u32_e32 v12, s3, v17
	s_delay_alu instid0(VALU_DEP_1) | instskip(NEXT) | instid1(VALU_DEP_1)
	v_dual_sub_nc_u32 v4, 0, v7 :: v_dual_sub_nc_u32 v17, 0, v12
	v_dual_ashrrev_i32 v7, 31, v7 :: v_dual_max_i32 v4, v7, v4
	s_delay_alu instid0(VALU_DEP_1) | instskip(NEXT) | instid1(VALU_DEP_1)
	v_mul_u64_e32 v[18:19], s[8:9], v[4:5]
	v_mul_lo_u32 v16, v19, s13
	s_delay_alu instid0(VALU_DEP_1) | instskip(SKIP_1) | instid1(VALU_DEP_2)
	v_sub_nc_u32_e32 v18, v4, v16
	v_dual_ashrrev_i32 v12, 31, v12 :: v_dual_max_i32 v4, v12, v17
	v_cmp_le_u32_e64 s2, s13, v18
	s_delay_alu instid0(VALU_DEP_2) | instskip(NEXT) | instid1(VALU_DEP_3)
	v_mul_u64_e32 v[16:17], s[8:9], v[4:5]
	v_dual_add_nc_u32 v16, 1, v19 :: v_dual_bitop2_b32 v12, s14, v12 bitop3:0x14
	v_xor_b32_e32 v7, s14, v7
	v_subrev_nc_u32_e32 v20, s13, v18
	s_delay_alu instid0(VALU_DEP_3) | instskip(NEXT) | instid1(VALU_DEP_1)
	v_cndmask_b32_e64 v16, v19, v16, s2
	v_add_nc_u32_e32 v19, 1, v16
	s_delay_alu instid0(VALU_DEP_3) | instskip(NEXT) | instid1(VALU_DEP_1)
	v_cndmask_b32_e64 v18, v18, v20, s2
	v_cmp_le_u32_e64 s2, s13, v18
	s_delay_alu instid0(VALU_DEP_1) | instskip(NEXT) | instid1(VALU_DEP_1)
	v_cndmask_b32_e64 v16, v16, v19, s2
	v_xor_b32_e32 v16, v16, v7
	v_mul_lo_u32 v18, v17, s13
	s_delay_alu instid0(VALU_DEP_2) | instskip(NEXT) | instid1(VALU_DEP_2)
	v_dual_add_nc_u32 v19, 1, v17 :: v_dual_sub_nc_u32 v7, v16, v7
	v_sub_nc_u32_e32 v4, v4, v18
	s_delay_alu instid0(VALU_DEP_1) | instskip(SKIP_1) | instid1(VALU_DEP_1)
	v_subrev_nc_u32_e32 v18, s13, v4
	v_cmp_le_u32_e64 s2, s13, v4
	v_dual_cndmask_b32 v17, v17, v19, s2 :: v_dual_cndmask_b32 v4, v4, v18, s2
	s_delay_alu instid0(VALU_DEP_1) | instskip(NEXT) | instid1(VALU_DEP_2)
	v_add_nc_u32_e32 v18, 1, v17
	v_cmp_le_u32_e64 s2, s13, v4
	s_delay_alu instid0(VALU_DEP_1) | instskip(SKIP_1) | instid1(VALU_DEP_2)
	v_cndmask_b32_e64 v4, v17, v18, s2
	v_cmp_ne_u32_e64 s2, v7, v15
	v_xor_b32_e32 v4, v4, v12
	s_delay_alu instid0(VALU_DEP_2) | instskip(NEXT) | instid1(VALU_DEP_2)
	v_add_co_ci_u32_e64 v13, null, 0, v13, s2
	v_sub_nc_u32_e32 v12, v4, v12
	s_delay_alu instid0(VALU_DEP_1) | instskip(SKIP_1) | instid1(VALU_DEP_2)
	v_cmp_ne_u32_e64 s2, v12, v7
	v_mov_b32_e32 v15, v12
	v_add_co_ci_u32_e64 v9, null, 0, v9, s2
	s_and_not1_b32 exec_lo, exec_lo, s16
	s_cbranch_execnz .LBB0_4
; %bb.5:
	s_or_b32 exec_lo, exec_lo, s16
	v_cmp_ne_u32_e32 vcc_lo, v3, v8
	v_dual_add_nc_u32 v2, v2, v8 :: v_dual_add_nc_u32 v6, v13, v9
	v_dual_mov_b32 v14, s13 :: v_dual_mov_b32 v13, s14
	s_and_b32 s2, vcc_lo, exec_lo
.LBB0_6:
	s_or_saveexec_b32 s12, s12
	v_mov_b64_e32 v[4:5], s[8:9]
	v_mov_b32_e32 v15, v6
	s_xor_b32 exec_lo, exec_lo, s12
	s_cbranch_execz .LBB0_8
; %bb.7:
	s_wait_kmcnt 0x0
	s_abs_i32 s13, s11
	s_mov_b32 s9, 0
	s_cvt_f32_u32 s8, s13
	s_sub_co_i32 s14, 0, s13
	s_ashr_i32 s11, s11, 31
	v_dual_mov_b32 v15, 0 :: v_dual_mov_b32 v12, -1
	v_rcp_iflag_f32_e32 v3, s8
	v_dual_mov_b32 v13, s11 :: v_dual_mov_b32 v14, s13
	s_or_b32 s2, s2, exec_lo
	s_delay_alu instid0(TRANS32_DEP_1) | instskip(SKIP_1) | instid1(SALU_CYCLE_3)
	v_readfirstlane_b32 s8, v3
	s_mul_f32 s8, s8, 0x4f7ffffe
	s_cvt_u32_f32 s8, s8
	s_delay_alu instid0(SALU_CYCLE_3) | instskip(NEXT) | instid1(SALU_CYCLE_1)
	s_mul_i32 s14, s14, s8
	s_mul_hi_u32 s14, s8, s14
	s_delay_alu instid0(SALU_CYCLE_1) | instskip(NEXT) | instid1(SALU_CYCLE_1)
	s_add_co_i32 s8, s8, s14
	v_mov_b64_e32 v[4:5], s[8:9]
.LBB0_8:
	s_or_b32 exec_lo, exec_lo, s12
	s_and_saveexec_b32 s8, s2
	s_cbranch_execz .LBB0_12
; %bb.9:
	v_dual_ashrrev_i32 v3, 31, v2 :: v_dual_mov_b32 v9, 0
	s_wait_kmcnt 0x0
	s_delay_alu instid0(VALU_DEP_1)
	v_lshl_add_u64 v[6:7], v[2:3], 2, s[6:7]
	s_mov_b32 s6, 0
.LBB0_10:                               ; =>This Inner Loop Header: Depth=1
	global_load_b32 v3, v[6:7], off
	s_wait_xcnt 0x0
	v_add_nc_u64_e32 v[6:7], 4, v[6:7]
	v_add_nc_u32_e32 v2, 1, v2
	s_wait_loadcnt 0x0
	v_subrev_nc_u32_e32 v3, s3, v3
	s_delay_alu instid0(VALU_DEP_1) | instskip(NEXT) | instid1(VALU_DEP_1)
	v_sub_nc_u32_e32 v8, 0, v3
	v_dual_ashrrev_i32 v3, 31, v3 :: v_dual_max_i32 v8, v3, v8
	s_delay_alu instid0(VALU_DEP_1) | instskip(NEXT) | instid1(VALU_DEP_1)
	v_mul_u64_e32 v[16:17], v[8:9], v[4:5]
	v_mul_lo_u32 v16, v17, v14
	v_add_nc_u32_e32 v18, 1, v17
	s_delay_alu instid0(VALU_DEP_2) | instskip(NEXT) | instid1(VALU_DEP_1)
	v_dual_sub_nc_u32 v8, v8, v16 :: v_dual_bitop2_b32 v3, v3, v13 bitop3:0x14
	v_sub_nc_u32_e32 v16, v8, v14
	v_cmp_ge_u32_e32 vcc_lo, v8, v14
	s_delay_alu instid0(VALU_DEP_2) | instskip(NEXT) | instid1(VALU_DEP_1)
	v_dual_cndmask_b32 v17, v17, v18 :: v_dual_cndmask_b32 v8, v8, v16
	v_add_nc_u32_e32 v16, 1, v17
	s_delay_alu instid0(VALU_DEP_2) | instskip(NEXT) | instid1(VALU_DEP_2)
	v_cmp_ge_u32_e32 vcc_lo, v8, v14
	v_cndmask_b32_e32 v8, v17, v16, vcc_lo
	v_cmp_ge_i32_e32 vcc_lo, v2, v11
	s_delay_alu instid0(VALU_DEP_2) | instskip(SKIP_1) | instid1(VALU_DEP_1)
	v_xor_b32_e32 v8, v8, v3
	s_or_b32 s6, vcc_lo, s6
	v_sub_nc_u32_e32 v3, v8, v3
	s_delay_alu instid0(VALU_DEP_1) | instskip(SKIP_1) | instid1(VALU_DEP_2)
	v_cmp_ne_u32_e64 s2, v3, v12
	v_mov_b32_e32 v12, v3
	v_add_co_ci_u32_e64 v15, null, 0, v15, s2
	s_and_not1_b32 exec_lo, exec_lo, s6
	s_cbranch_execnz .LBB0_10
; %bb.11:
	s_or_b32 exec_lo, exec_lo, s6
	v_mov_b32_e32 v6, v15
.LBB0_12:
	s_or_b32 exec_lo, exec_lo, s8
.LBB0_13:
	s_delay_alu instid0(SALU_CYCLE_1)
	s_or_b32 exec_lo, exec_lo, s10
	s_wait_xcnt 0x0
	s_load_b32 s0, s[0:1], 0x18
	v_lshl_add_u64 v[0:1], v[0:1], 2, s[4:5]
	s_wait_kmcnt 0x0
	v_mov_b32_e32 v2, s0
	s_clause 0x1
	global_store_b32 v10, v2, s[4:5]
	global_store_b32 v[0:1], v6, off offset:4
.LBB0_14:
	s_endpgm
	.section	.rodata,"a",@progbits
	.p2align	6, 0x0
	.amdhsa_kernel _ZN9rocsparseL24csr2gebsr_nnz_kernel_bm1ILj256EEEvi21rocsparse_index_base_PKiS3_S1_Pii
		.amdhsa_group_segment_fixed_size 0
		.amdhsa_private_segment_fixed_size 0
		.amdhsa_kernarg_size 44
		.amdhsa_user_sgpr_count 2
		.amdhsa_user_sgpr_dispatch_ptr 0
		.amdhsa_user_sgpr_queue_ptr 0
		.amdhsa_user_sgpr_kernarg_segment_ptr 1
		.amdhsa_user_sgpr_dispatch_id 0
		.amdhsa_user_sgpr_kernarg_preload_length 0
		.amdhsa_user_sgpr_kernarg_preload_offset 0
		.amdhsa_user_sgpr_private_segment_size 0
		.amdhsa_wavefront_size32 1
		.amdhsa_uses_dynamic_stack 0
		.amdhsa_enable_private_segment 0
		.amdhsa_system_sgpr_workgroup_id_x 1
		.amdhsa_system_sgpr_workgroup_id_y 0
		.amdhsa_system_sgpr_workgroup_id_z 0
		.amdhsa_system_sgpr_workgroup_info 0
		.amdhsa_system_vgpr_workitem_id 0
		.amdhsa_next_free_vgpr 21
		.amdhsa_next_free_sgpr 17
		.amdhsa_named_barrier_count 0
		.amdhsa_reserve_vcc 1
		.amdhsa_float_round_mode_32 0
		.amdhsa_float_round_mode_16_64 0
		.amdhsa_float_denorm_mode_32 3
		.amdhsa_float_denorm_mode_16_64 3
		.amdhsa_fp16_overflow 0
		.amdhsa_memory_ordered 1
		.amdhsa_forward_progress 1
		.amdhsa_inst_pref_size 9
		.amdhsa_round_robin_scheduling 0
		.amdhsa_exception_fp_ieee_invalid_op 0
		.amdhsa_exception_fp_denorm_src 0
		.amdhsa_exception_fp_ieee_div_zero 0
		.amdhsa_exception_fp_ieee_overflow 0
		.amdhsa_exception_fp_ieee_underflow 0
		.amdhsa_exception_fp_ieee_inexact 0
		.amdhsa_exception_int_div_zero 0
	.end_amdhsa_kernel
	.section	.text._ZN9rocsparseL24csr2gebsr_nnz_kernel_bm1ILj256EEEvi21rocsparse_index_base_PKiS3_S1_Pii,"axG",@progbits,_ZN9rocsparseL24csr2gebsr_nnz_kernel_bm1ILj256EEEvi21rocsparse_index_base_PKiS3_S1_Pii,comdat
.Lfunc_end0:
	.size	_ZN9rocsparseL24csr2gebsr_nnz_kernel_bm1ILj256EEEvi21rocsparse_index_base_PKiS3_S1_Pii, .Lfunc_end0-_ZN9rocsparseL24csr2gebsr_nnz_kernel_bm1ILj256EEEvi21rocsparse_index_base_PKiS3_S1_Pii
                                        ; -- End function
	.set _ZN9rocsparseL24csr2gebsr_nnz_kernel_bm1ILj256EEEvi21rocsparse_index_base_PKiS3_S1_Pii.num_vgpr, 21
	.set _ZN9rocsparseL24csr2gebsr_nnz_kernel_bm1ILj256EEEvi21rocsparse_index_base_PKiS3_S1_Pii.num_agpr, 0
	.set _ZN9rocsparseL24csr2gebsr_nnz_kernel_bm1ILj256EEEvi21rocsparse_index_base_PKiS3_S1_Pii.numbered_sgpr, 17
	.set _ZN9rocsparseL24csr2gebsr_nnz_kernel_bm1ILj256EEEvi21rocsparse_index_base_PKiS3_S1_Pii.num_named_barrier, 0
	.set _ZN9rocsparseL24csr2gebsr_nnz_kernel_bm1ILj256EEEvi21rocsparse_index_base_PKiS3_S1_Pii.private_seg_size, 0
	.set _ZN9rocsparseL24csr2gebsr_nnz_kernel_bm1ILj256EEEvi21rocsparse_index_base_PKiS3_S1_Pii.uses_vcc, 1
	.set _ZN9rocsparseL24csr2gebsr_nnz_kernel_bm1ILj256EEEvi21rocsparse_index_base_PKiS3_S1_Pii.uses_flat_scratch, 0
	.set _ZN9rocsparseL24csr2gebsr_nnz_kernel_bm1ILj256EEEvi21rocsparse_index_base_PKiS3_S1_Pii.has_dyn_sized_stack, 0
	.set _ZN9rocsparseL24csr2gebsr_nnz_kernel_bm1ILj256EEEvi21rocsparse_index_base_PKiS3_S1_Pii.has_recursion, 0
	.set _ZN9rocsparseL24csr2gebsr_nnz_kernel_bm1ILj256EEEvi21rocsparse_index_base_PKiS3_S1_Pii.has_indirect_call, 0
	.section	.AMDGPU.csdata,"",@progbits
; Kernel info:
; codeLenInByte = 1140
; TotalNumSgprs: 19
; NumVgprs: 21
; ScratchSize: 0
; MemoryBound: 0
; FloatMode: 240
; IeeeMode: 1
; LDSByteSize: 0 bytes/workgroup (compile time only)
; SGPRBlocks: 0
; VGPRBlocks: 1
; NumSGPRsForWavesPerEU: 19
; NumVGPRsForWavesPerEU: 21
; NamedBarCnt: 0
; Occupancy: 16
; WaveLimiterHint : 0
; COMPUTE_PGM_RSRC2:SCRATCH_EN: 0
; COMPUTE_PGM_RSRC2:USER_SGPR: 2
; COMPUTE_PGM_RSRC2:TRAP_HANDLER: 0
; COMPUTE_PGM_RSRC2:TGID_X_EN: 1
; COMPUTE_PGM_RSRC2:TGID_Y_EN: 0
; COMPUTE_PGM_RSRC2:TGID_Z_EN: 0
; COMPUTE_PGM_RSRC2:TIDIG_COMP_CNT: 0
	.section	.text._ZN9rocsparseL38csr2gebsr_nnz_compute_nnz_total_kernelILj1EEEviPKiPi,"axG",@progbits,_ZN9rocsparseL38csr2gebsr_nnz_compute_nnz_total_kernelILj1EEEviPKiPi,comdat
	.globl	_ZN9rocsparseL38csr2gebsr_nnz_compute_nnz_total_kernelILj1EEEviPKiPi ; -- Begin function _ZN9rocsparseL38csr2gebsr_nnz_compute_nnz_total_kernelILj1EEEviPKiPi
	.p2align	8
	.type	_ZN9rocsparseL38csr2gebsr_nnz_compute_nnz_total_kernelILj1EEEviPKiPi,@function
_ZN9rocsparseL38csr2gebsr_nnz_compute_nnz_total_kernelILj1EEEviPKiPi: ; @_ZN9rocsparseL38csr2gebsr_nnz_compute_nnz_total_kernelILj1EEEviPKiPi
; %bb.0:
	s_bfe_u32 s2, ttmp6, 0x4000c
	s_and_b32 s3, ttmp6, 15
	s_add_co_i32 s2, s2, 1
	s_getreg_b32 s4, hwreg(HW_REG_IB_STS2, 6, 4)
	s_mul_i32 s2, ttmp9, s2
	s_delay_alu instid0(SALU_CYCLE_1) | instskip(SKIP_2) | instid1(SALU_CYCLE_1)
	s_add_co_i32 s3, s3, s2
	s_cmp_eq_u32 s4, 0
	s_cselect_b32 s2, ttmp9, s3
	s_sub_co_i32 s2, 0, s2
	s_delay_alu instid0(SALU_CYCLE_1)
	s_cmp_lg_u32 0, s2
	s_cbranch_scc1 .LBB1_2
; %bb.1:
	s_clause 0x1
	s_load_b32 s2, s[0:1], 0x0
	s_load_b128 s[4:7], s[0:1], 0x8
	s_wait_kmcnt 0x0
	s_ashr_i32 s3, s2, 31
	s_delay_alu instid0(SALU_CYCLE_1) | instskip(NEXT) | instid1(SALU_CYCLE_1)
	s_lshl_b64 s[0:1], s[2:3], 2
	s_add_nc_u64 s[0:1], s[4:5], s[0:1]
	s_clause 0x1
	s_load_b32 s2, s[0:1], 0x0
	s_load_b32 s3, s[4:5], 0x0
	s_wait_kmcnt 0x0
	s_sub_co_i32 s0, s2, s3
	s_delay_alu instid0(SALU_CYCLE_1)
	v_dual_mov_b32 v0, 0 :: v_dual_mov_b32 v1, s0
	global_store_b32 v0, v1, s[6:7]
.LBB1_2:
	s_endpgm
	.section	.rodata,"a",@progbits
	.p2align	6, 0x0
	.amdhsa_kernel _ZN9rocsparseL38csr2gebsr_nnz_compute_nnz_total_kernelILj1EEEviPKiPi
		.amdhsa_group_segment_fixed_size 0
		.amdhsa_private_segment_fixed_size 0
		.amdhsa_kernarg_size 24
		.amdhsa_user_sgpr_count 2
		.amdhsa_user_sgpr_dispatch_ptr 0
		.amdhsa_user_sgpr_queue_ptr 0
		.amdhsa_user_sgpr_kernarg_segment_ptr 1
		.amdhsa_user_sgpr_dispatch_id 0
		.amdhsa_user_sgpr_kernarg_preload_length 0
		.amdhsa_user_sgpr_kernarg_preload_offset 0
		.amdhsa_user_sgpr_private_segment_size 0
		.amdhsa_wavefront_size32 1
		.amdhsa_uses_dynamic_stack 0
		.amdhsa_enable_private_segment 0
		.amdhsa_system_sgpr_workgroup_id_x 1
		.amdhsa_system_sgpr_workgroup_id_y 0
		.amdhsa_system_sgpr_workgroup_id_z 0
		.amdhsa_system_sgpr_workgroup_info 0
		.amdhsa_system_vgpr_workitem_id 0
		.amdhsa_next_free_vgpr 2
		.amdhsa_next_free_sgpr 8
		.amdhsa_named_barrier_count 0
		.amdhsa_reserve_vcc 0
		.amdhsa_float_round_mode_32 0
		.amdhsa_float_round_mode_16_64 0
		.amdhsa_float_denorm_mode_32 3
		.amdhsa_float_denorm_mode_16_64 3
		.amdhsa_fp16_overflow 0
		.amdhsa_memory_ordered 1
		.amdhsa_forward_progress 1
		.amdhsa_inst_pref_size 2
		.amdhsa_round_robin_scheduling 0
		.amdhsa_exception_fp_ieee_invalid_op 0
		.amdhsa_exception_fp_denorm_src 0
		.amdhsa_exception_fp_ieee_div_zero 0
		.amdhsa_exception_fp_ieee_overflow 0
		.amdhsa_exception_fp_ieee_underflow 0
		.amdhsa_exception_fp_ieee_inexact 0
		.amdhsa_exception_int_div_zero 0
	.end_amdhsa_kernel
	.section	.text._ZN9rocsparseL38csr2gebsr_nnz_compute_nnz_total_kernelILj1EEEviPKiPi,"axG",@progbits,_ZN9rocsparseL38csr2gebsr_nnz_compute_nnz_total_kernelILj1EEEviPKiPi,comdat
.Lfunc_end1:
	.size	_ZN9rocsparseL38csr2gebsr_nnz_compute_nnz_total_kernelILj1EEEviPKiPi, .Lfunc_end1-_ZN9rocsparseL38csr2gebsr_nnz_compute_nnz_total_kernelILj1EEEviPKiPi
                                        ; -- End function
	.set _ZN9rocsparseL38csr2gebsr_nnz_compute_nnz_total_kernelILj1EEEviPKiPi.num_vgpr, 2
	.set _ZN9rocsparseL38csr2gebsr_nnz_compute_nnz_total_kernelILj1EEEviPKiPi.num_agpr, 0
	.set _ZN9rocsparseL38csr2gebsr_nnz_compute_nnz_total_kernelILj1EEEviPKiPi.numbered_sgpr, 8
	.set _ZN9rocsparseL38csr2gebsr_nnz_compute_nnz_total_kernelILj1EEEviPKiPi.num_named_barrier, 0
	.set _ZN9rocsparseL38csr2gebsr_nnz_compute_nnz_total_kernelILj1EEEviPKiPi.private_seg_size, 0
	.set _ZN9rocsparseL38csr2gebsr_nnz_compute_nnz_total_kernelILj1EEEviPKiPi.uses_vcc, 0
	.set _ZN9rocsparseL38csr2gebsr_nnz_compute_nnz_total_kernelILj1EEEviPKiPi.uses_flat_scratch, 0
	.set _ZN9rocsparseL38csr2gebsr_nnz_compute_nnz_total_kernelILj1EEEviPKiPi.has_dyn_sized_stack, 0
	.set _ZN9rocsparseL38csr2gebsr_nnz_compute_nnz_total_kernelILj1EEEviPKiPi.has_recursion, 0
	.set _ZN9rocsparseL38csr2gebsr_nnz_compute_nnz_total_kernelILj1EEEviPKiPi.has_indirect_call, 0
	.section	.AMDGPU.csdata,"",@progbits
; Kernel info:
; codeLenInByte = 152
; TotalNumSgprs: 8
; NumVgprs: 2
; ScratchSize: 0
; MemoryBound: 0
; FloatMode: 240
; IeeeMode: 1
; LDSByteSize: 0 bytes/workgroup (compile time only)
; SGPRBlocks: 0
; VGPRBlocks: 0
; NumSGPRsForWavesPerEU: 8
; NumVGPRsForWavesPerEU: 2
; NamedBarCnt: 0
; Occupancy: 16
; WaveLimiterHint : 0
; COMPUTE_PGM_RSRC2:SCRATCH_EN: 0
; COMPUTE_PGM_RSRC2:USER_SGPR: 2
; COMPUTE_PGM_RSRC2:TRAP_HANDLER: 0
; COMPUTE_PGM_RSRC2:TGID_X_EN: 1
; COMPUTE_PGM_RSRC2:TGID_Y_EN: 0
; COMPUTE_PGM_RSRC2:TGID_Z_EN: 0
; COMPUTE_PGM_RSRC2:TIDIG_COMP_CNT: 0
	.section	.text._ZN9rocsparseL48csr2gebsr_nnz_wavefront_per_row_multipass_kernelILj256ELj2ELi4EEEviiiiii21rocsparse_index_base_PKiS3_S1_Pi,"axG",@progbits,_ZN9rocsparseL48csr2gebsr_nnz_wavefront_per_row_multipass_kernelILj256ELj2ELi4EEEviiiiii21rocsparse_index_base_PKiS3_S1_Pi,comdat
	.globl	_ZN9rocsparseL48csr2gebsr_nnz_wavefront_per_row_multipass_kernelILj256ELj2ELi4EEEviiiiii21rocsparse_index_base_PKiS3_S1_Pi ; -- Begin function _ZN9rocsparseL48csr2gebsr_nnz_wavefront_per_row_multipass_kernelILj256ELj2ELi4EEEviiiiii21rocsparse_index_base_PKiS3_S1_Pi
	.p2align	8
	.type	_ZN9rocsparseL48csr2gebsr_nnz_wavefront_per_row_multipass_kernelILj256ELj2ELi4EEEviiiiii21rocsparse_index_base_PKiS3_S1_Pi,@function
_ZN9rocsparseL48csr2gebsr_nnz_wavefront_per_row_multipass_kernelILj256ELj2ELi4EEEviiiiii21rocsparse_index_base_PKiS3_S1_Pi: ; @_ZN9rocsparseL48csr2gebsr_nnz_wavefront_per_row_multipass_kernelILj256ELj2ELi4EEEviiiiii21rocsparse_index_base_PKiS3_S1_Pi
; %bb.0:
	s_clause 0x1
	s_load_b128 s[4:7], s[0:1], 0x8
	s_load_b32 s2, s[0:1], 0x0
	s_bfe_u32 s3, ttmp6, 0x4000c
	s_and_b32 s8, ttmp6, 15
	s_add_co_i32 s3, s3, 1
	s_getreg_b32 s9, hwreg(HW_REG_IB_STS2, 6, 4)
	s_mul_i32 s3, ttmp9, s3
	v_dual_mov_b32 v5, 0 :: v_dual_lshrrev_b32 v4, 2, v0
	s_add_co_i32 s8, s8, s3
	s_cmp_eq_u32 s9, 0
	v_bfe_u32 v6, v0, 1, 1
	s_cselect_b32 s3, ttmp9, s8
	s_clause 0x1
	s_load_b32 s12, s[0:1], 0x18
	s_load_b64 s[8:9], s[0:1], 0x20
	v_lshl_or_b32 v2, s3, 6, v4
	v_and_b32_e32 v3, 0xfc, v0
	v_mov_b32_e32 v15, 0
	ds_store_b32 v3, v5
	s_wait_kmcnt 0x0
	v_mad_u32 v1, v2, s6, v6
	s_wait_dscnt 0x0
	s_barrier_signal -1
	s_barrier_wait -1
	s_delay_alu instid0(VALU_DEP_1) | instskip(SKIP_2) | instid1(SALU_CYCLE_1)
	v_cmp_gt_i32_e32 vcc_lo, s2, v1
	v_cmp_gt_i32_e64 s2, s6, v6
	s_and_b32 s2, s2, vcc_lo
	s_and_saveexec_b32 s3, s2
	s_cbranch_execz .LBB2_2
; %bb.1:
	global_load_b32 v6, v1, s[8:9] scale_offset
	s_wait_loadcnt 0x0
	v_subrev_nc_u32_e32 v15, s12, v6
.LBB2_2:
	s_or_b32 exec_lo, exec_lo, s3
	s_and_saveexec_b32 s3, s2
	s_cbranch_execz .LBB2_4
; %bb.3:
	global_load_b32 v1, v1, s[8:9] offset:4 scale_offset
	s_wait_loadcnt 0x0
	v_subrev_nc_u32_e32 v5, s12, v1
.LBB2_4:
	s_or_b32 exec_lo, exec_lo, s3
	v_and_b32_e32 v6, 3, v0
	s_cmp_lt_i32 s5, 1
	s_delay_alu instid0(VALU_DEP_1)
	v_cmp_eq_u32_e32 vcc_lo, 0, v6
	s_cbranch_scc1 .LBB2_18
; %bb.5:
	s_abs_i32 s6, s7
	v_dual_mov_b32 v1, 0 :: v_dual_bitop2_b32 v7, 1, v0 bitop3:0x40
	s_cvt_f32_u32 s2, s6
	v_mbcnt_lo_u32_b32 v0, -1, 0
	s_load_b64 s[8:9], s[0:1], 0x28
	s_sub_co_i32 s3, 0, s6
	v_rcp_iflag_f32_e32 v9, s2
	v_dual_mov_b32 v8, 1 :: v_dual_mov_b32 v13, 0
	s_mov_b32 s11, 0
	s_ashr_i32 s7, s7, 31
	s_mov_b32 s13, s11
	v_lshlrev_b32_e32 v11, 2, v0
	s_delay_alu instid0(TRANS32_DEP_1) | instskip(SKIP_2) | instid1(VALU_DEP_1)
	v_readfirstlane_b32 s2, v9
	v_xor_b32_e32 v9, 1, v0
	s_mul_f32 s10, s2, 0x4f7ffffe
	v_cmp_gt_i32_e64 s2, 32, v9
	s_delay_alu instid0(VALU_DEP_1) | instskip(NEXT) | instid1(VALU_DEP_1)
	v_dual_cndmask_b32 v12, v0, v9, s2 :: v_dual_bitop2_b32 v10, 2, v0 bitop3:0x14
	v_cmp_gt_i32_e64 s2, 32, v10
	s_delay_alu instid0(VALU_DEP_1) | instskip(SKIP_1) | instid1(VALU_DEP_3)
	v_dual_cndmask_b32 v0, v0, v10, s2 :: v_dual_bitop2_b32 v9, 4, v11 bitop3:0x54
	s_cvt_u32_f32 s2, s10
	v_dual_lshlrev_b32 v11, 2, v12 :: v_dual_bitop2_b32 v10, 12, v11 bitop3:0x54
	s_delay_alu instid0(SALU_CYCLE_2) | instskip(NEXT) | instid1(VALU_DEP_2)
	s_mul_i32 s3, s3, s2
	v_lshlrev_b32_e32 v12, 2, v0
	s_mul_hi_u32 s3, s2, s3
	s_delay_alu instid0(SALU_CYCLE_1)
	s_add_co_i32 s10, s2, s3
	s_branch .LBB2_7
.LBB2_6:                                ;   in Loop: Header=BB2_7 Depth=1
	s_or_b32 exec_lo, exec_lo, s2
	ds_bpermute_b32 v0, v12, v14
	s_wait_dscnt 0x0
	v_min_i32_e32 v0, v0, v14
	ds_bpermute_b32 v13, v11, v0
	s_wait_dscnt 0x0
	v_min_i32_e32 v0, v13, v0
	ds_bpermute_b32 v13, v10, v0
	s_wait_dscnt 0x0
	v_cmp_le_i32_e64 s2, s5, v13
	s_or_b32 s13, s2, s13
	s_delay_alu instid0(SALU_CYCLE_1)
	s_and_not1_b32 exec_lo, exec_lo, s13
	s_cbranch_execz .LBB2_17
.LBB2_7:                                ; =>This Loop Header: Depth=1
                                        ;     Child Loop BB2_10 Depth 2
	v_dual_mov_b32 v14, s5 :: v_dual_add_nc_u32 v15, v15, v7
	v_mov_b32_e32 v16, v5
	s_mov_b32 s14, exec_lo
	ds_store_b8 v4, v1 offset:256
	s_wait_dscnt 0x0
	v_cmpx_lt_i32_e64 v15, v5
	s_cbranch_execz .LBB2_15
; %bb.8:                                ;   in Loop: Header=BB2_7 Depth=1
	v_dual_mov_b32 v14, s5 :: v_dual_mov_b32 v16, v5
	s_mov_b32 s15, 0
	s_branch .LBB2_10
.LBB2_9:                                ;   in Loop: Header=BB2_10 Depth=2
	s_or_b32 exec_lo, exec_lo, s3
	v_add_nc_u32_e32 v15, 2, v15
	s_xor_b32 s2, s2, -1
	s_delay_alu instid0(VALU_DEP_1) | instskip(SKIP_1) | instid1(SALU_CYCLE_1)
	v_cmp_ge_i32_e64 s3, v15, v5
	s_or_b32 s2, s2, s3
	s_and_b32 s2, exec_lo, s2
	s_delay_alu instid0(SALU_CYCLE_1) | instskip(NEXT) | instid1(SALU_CYCLE_1)
	s_or_b32 s15, s2, s15
	s_and_not1_b32 exec_lo, exec_lo, s15
	s_cbranch_execz .LBB2_14
.LBB2_10:                               ;   Parent Loop BB2_7 Depth=1
                                        ; =>  This Inner Loop Header: Depth=2
	s_wait_kmcnt 0x0
	global_load_b32 v0, v15, s[8:9] scale_offset
	s_wait_loadcnt 0x0
	v_subrev_nc_u32_e32 v17, s12, v0
	s_delay_alu instid0(VALU_DEP_1) | instskip(NEXT) | instid1(VALU_DEP_1)
	v_sub_nc_u32_e32 v0, 0, v17
	v_dual_ashrrev_i32 v17, 31, v17 :: v_dual_max_i32 v0, v17, v0
	s_delay_alu instid0(VALU_DEP_1) | instskip(NEXT) | instid1(VALU_DEP_1)
	v_mul_u64_e32 v[18:19], s[10:11], v[0:1]
	v_mul_lo_u32 v18, v19, s6
	s_delay_alu instid0(VALU_DEP_1) | instskip(NEXT) | instid1(VALU_DEP_1)
	v_dual_sub_nc_u32 v0, v0, v18 :: v_dual_add_nc_u32 v18, 1, v19
	v_subrev_nc_u32_e32 v20, s6, v0
	v_cmp_le_u32_e64 s2, s6, v0
	s_delay_alu instid0(VALU_DEP_1) | instskip(NEXT) | instid1(VALU_DEP_1)
	v_dual_cndmask_b32 v18, v19, v18, s2 :: v_dual_cndmask_b32 v0, v0, v20, s2
	v_add_nc_u32_e32 v19, 1, v18
	s_delay_alu instid0(VALU_DEP_2) | instskip(NEXT) | instid1(VALU_DEP_1)
	v_cmp_le_u32_e64 s2, s6, v0
	v_dual_cndmask_b32 v0, v18, v19, s2 :: v_dual_bitop2_b32 v17, s7, v17 bitop3:0x14
	s_delay_alu instid0(VALU_DEP_1) | instskip(NEXT) | instid1(VALU_DEP_1)
	v_xor_b32_e32 v0, v0, v17
	v_sub_nc_u32_e32 v17, v0, v17
	v_mov_b32_e32 v0, v16
	s_delay_alu instid0(VALU_DEP_2) | instskip(SKIP_3) | instid1(SALU_CYCLE_1)
	v_cmp_eq_u32_e64 s2, v17, v13
	v_cmp_ne_u32_e64 s3, v17, v13
	s_wait_xcnt 0x0
	s_and_saveexec_b32 s16, s3
	s_xor_b32 s3, exec_lo, s16
; %bb.11:                               ;   in Loop: Header=BB2_10 Depth=2
	v_min_i32_e32 v14, v17, v14
                                        ; implicit-def: $vgpr0
; %bb.12:                               ;   in Loop: Header=BB2_10 Depth=2
	s_or_saveexec_b32 s3, s3
	v_mov_b32_e32 v16, v15
	s_xor_b32 exec_lo, exec_lo, s3
	s_cbranch_execz .LBB2_9
; %bb.13:                               ;   in Loop: Header=BB2_10 Depth=2
	v_mov_b32_e32 v16, v0
	ds_store_b8 v4, v8 offset:256
	s_branch .LBB2_9
.LBB2_14:                               ;   in Loop: Header=BB2_7 Depth=1
	s_or_b32 exec_lo, exec_lo, s15
.LBB2_15:                               ;   in Loop: Header=BB2_7 Depth=1
	s_delay_alu instid0(SALU_CYCLE_1)
	s_or_b32 exec_lo, exec_lo, s14
	ds_bpermute_b32 v0, v11, v16
	s_wait_dscnt 0x0
	ds_load_u8 v13, v4 offset:256
	v_min_i32_e32 v0, v0, v16
	ds_bpermute_b32 v15, v9, v0
	s_wait_dscnt 0x1
	v_and_b32_e32 v0, 1, v13
	s_delay_alu instid0(VALU_DEP_1) | instskip(SKIP_1) | instid1(SALU_CYCLE_1)
	v_cmp_eq_u32_e64 s2, 1, v0
	s_and_b32 s3, vcc_lo, s2
	s_and_saveexec_b32 s2, s3
	s_cbranch_execz .LBB2_6
; %bb.16:                               ;   in Loop: Header=BB2_7 Depth=1
	ds_load_b32 v0, v3
	s_wait_dscnt 0x0
	v_add_nc_u32_e32 v0, 1, v0
	ds_store_b32 v3, v0
	s_branch .LBB2_6
.LBB2_17:
	s_or_b32 exec_lo, exec_lo, s13
.LBB2_18:
	s_delay_alu instid0(SALU_CYCLE_1)
	s_mov_b32 s2, exec_lo
	v_cmpx_eq_u32_e32 0, v6
	s_cbranch_execz .LBB2_21
; %bb.19:
	s_clause 0x1
	s_load_b32 s5, s[0:1], 0x30
	s_load_b64 s[2:3], s[0:1], 0x38
	v_mov_b32_e32 v0, 0
	v_cmp_gt_u32_e32 vcc_lo, s4, v2
	s_wait_kmcnt 0x0
	v_mov_b32_e32 v1, s5
	global_store_b32 v0, v1, s[2:3]
	s_wait_xcnt 0x0
	s_and_b32 exec_lo, exec_lo, vcc_lo
	s_cbranch_execz .LBB2_21
; %bb.20:
	ds_load_b32 v0, v3
	s_wait_dscnt 0x0
	global_store_b32 v2, v0, s[2:3] offset:4 scale_offset
.LBB2_21:
	s_endpgm
	.section	.rodata,"a",@progbits
	.p2align	6, 0x0
	.amdhsa_kernel _ZN9rocsparseL48csr2gebsr_nnz_wavefront_per_row_multipass_kernelILj256ELj2ELi4EEEviiiiii21rocsparse_index_base_PKiS3_S1_Pi
		.amdhsa_group_segment_fixed_size 320
		.amdhsa_private_segment_fixed_size 0
		.amdhsa_kernarg_size 64
		.amdhsa_user_sgpr_count 2
		.amdhsa_user_sgpr_dispatch_ptr 0
		.amdhsa_user_sgpr_queue_ptr 0
		.amdhsa_user_sgpr_kernarg_segment_ptr 1
		.amdhsa_user_sgpr_dispatch_id 0
		.amdhsa_user_sgpr_kernarg_preload_length 0
		.amdhsa_user_sgpr_kernarg_preload_offset 0
		.amdhsa_user_sgpr_private_segment_size 0
		.amdhsa_wavefront_size32 1
		.amdhsa_uses_dynamic_stack 0
		.amdhsa_enable_private_segment 0
		.amdhsa_system_sgpr_workgroup_id_x 1
		.amdhsa_system_sgpr_workgroup_id_y 0
		.amdhsa_system_sgpr_workgroup_id_z 0
		.amdhsa_system_sgpr_workgroup_info 0
		.amdhsa_system_vgpr_workitem_id 0
		.amdhsa_next_free_vgpr 21
		.amdhsa_next_free_sgpr 17
		.amdhsa_named_barrier_count 0
		.amdhsa_reserve_vcc 1
		.amdhsa_float_round_mode_32 0
		.amdhsa_float_round_mode_16_64 0
		.amdhsa_float_denorm_mode_32 3
		.amdhsa_float_denorm_mode_16_64 3
		.amdhsa_fp16_overflow 0
		.amdhsa_memory_ordered 1
		.amdhsa_forward_progress 1
		.amdhsa_inst_pref_size 9
		.amdhsa_round_robin_scheduling 0
		.amdhsa_exception_fp_ieee_invalid_op 0
		.amdhsa_exception_fp_denorm_src 0
		.amdhsa_exception_fp_ieee_div_zero 0
		.amdhsa_exception_fp_ieee_overflow 0
		.amdhsa_exception_fp_ieee_underflow 0
		.amdhsa_exception_fp_ieee_inexact 0
		.amdhsa_exception_int_div_zero 0
	.end_amdhsa_kernel
	.section	.text._ZN9rocsparseL48csr2gebsr_nnz_wavefront_per_row_multipass_kernelILj256ELj2ELi4EEEviiiiii21rocsparse_index_base_PKiS3_S1_Pi,"axG",@progbits,_ZN9rocsparseL48csr2gebsr_nnz_wavefront_per_row_multipass_kernelILj256ELj2ELi4EEEviiiiii21rocsparse_index_base_PKiS3_S1_Pi,comdat
.Lfunc_end2:
	.size	_ZN9rocsparseL48csr2gebsr_nnz_wavefront_per_row_multipass_kernelILj256ELj2ELi4EEEviiiiii21rocsparse_index_base_PKiS3_S1_Pi, .Lfunc_end2-_ZN9rocsparseL48csr2gebsr_nnz_wavefront_per_row_multipass_kernelILj256ELj2ELi4EEEviiiiii21rocsparse_index_base_PKiS3_S1_Pi
                                        ; -- End function
	.set _ZN9rocsparseL48csr2gebsr_nnz_wavefront_per_row_multipass_kernelILj256ELj2ELi4EEEviiiiii21rocsparse_index_base_PKiS3_S1_Pi.num_vgpr, 21
	.set _ZN9rocsparseL48csr2gebsr_nnz_wavefront_per_row_multipass_kernelILj256ELj2ELi4EEEviiiiii21rocsparse_index_base_PKiS3_S1_Pi.num_agpr, 0
	.set _ZN9rocsparseL48csr2gebsr_nnz_wavefront_per_row_multipass_kernelILj256ELj2ELi4EEEviiiiii21rocsparse_index_base_PKiS3_S1_Pi.numbered_sgpr, 17
	.set _ZN9rocsparseL48csr2gebsr_nnz_wavefront_per_row_multipass_kernelILj256ELj2ELi4EEEviiiiii21rocsparse_index_base_PKiS3_S1_Pi.num_named_barrier, 0
	.set _ZN9rocsparseL48csr2gebsr_nnz_wavefront_per_row_multipass_kernelILj256ELj2ELi4EEEviiiiii21rocsparse_index_base_PKiS3_S1_Pi.private_seg_size, 0
	.set _ZN9rocsparseL48csr2gebsr_nnz_wavefront_per_row_multipass_kernelILj256ELj2ELi4EEEviiiiii21rocsparse_index_base_PKiS3_S1_Pi.uses_vcc, 1
	.set _ZN9rocsparseL48csr2gebsr_nnz_wavefront_per_row_multipass_kernelILj256ELj2ELi4EEEviiiiii21rocsparse_index_base_PKiS3_S1_Pi.uses_flat_scratch, 0
	.set _ZN9rocsparseL48csr2gebsr_nnz_wavefront_per_row_multipass_kernelILj256ELj2ELi4EEEviiiiii21rocsparse_index_base_PKiS3_S1_Pi.has_dyn_sized_stack, 0
	.set _ZN9rocsparseL48csr2gebsr_nnz_wavefront_per_row_multipass_kernelILj256ELj2ELi4EEEviiiiii21rocsparse_index_base_PKiS3_S1_Pi.has_recursion, 0
	.set _ZN9rocsparseL48csr2gebsr_nnz_wavefront_per_row_multipass_kernelILj256ELj2ELi4EEEviiiiii21rocsparse_index_base_PKiS3_S1_Pi.has_indirect_call, 0
	.section	.AMDGPU.csdata,"",@progbits
; Kernel info:
; codeLenInByte = 1036
; TotalNumSgprs: 19
; NumVgprs: 21
; ScratchSize: 0
; MemoryBound: 0
; FloatMode: 240
; IeeeMode: 1
; LDSByteSize: 320 bytes/workgroup (compile time only)
; SGPRBlocks: 0
; VGPRBlocks: 1
; NumSGPRsForWavesPerEU: 19
; NumVGPRsForWavesPerEU: 21
; NamedBarCnt: 0
; Occupancy: 16
; WaveLimiterHint : 0
; COMPUTE_PGM_RSRC2:SCRATCH_EN: 0
; COMPUTE_PGM_RSRC2:USER_SGPR: 2
; COMPUTE_PGM_RSRC2:TRAP_HANDLER: 0
; COMPUTE_PGM_RSRC2:TGID_X_EN: 1
; COMPUTE_PGM_RSRC2:TGID_Y_EN: 0
; COMPUTE_PGM_RSRC2:TGID_Z_EN: 0
; COMPUTE_PGM_RSRC2:TIDIG_COMP_CNT: 0
	.section	.text._ZN9rocsparseL48csr2gebsr_nnz_wavefront_per_row_multipass_kernelILj256ELj2ELi8EEEviiiiii21rocsparse_index_base_PKiS3_S1_Pi,"axG",@progbits,_ZN9rocsparseL48csr2gebsr_nnz_wavefront_per_row_multipass_kernelILj256ELj2ELi8EEEviiiiii21rocsparse_index_base_PKiS3_S1_Pi,comdat
	.globl	_ZN9rocsparseL48csr2gebsr_nnz_wavefront_per_row_multipass_kernelILj256ELj2ELi8EEEviiiiii21rocsparse_index_base_PKiS3_S1_Pi ; -- Begin function _ZN9rocsparseL48csr2gebsr_nnz_wavefront_per_row_multipass_kernelILj256ELj2ELi8EEEviiiiii21rocsparse_index_base_PKiS3_S1_Pi
	.p2align	8
	.type	_ZN9rocsparseL48csr2gebsr_nnz_wavefront_per_row_multipass_kernelILj256ELj2ELi8EEEviiiiii21rocsparse_index_base_PKiS3_S1_Pi,@function
_ZN9rocsparseL48csr2gebsr_nnz_wavefront_per_row_multipass_kernelILj256ELj2ELi8EEEviiiiii21rocsparse_index_base_PKiS3_S1_Pi: ; @_ZN9rocsparseL48csr2gebsr_nnz_wavefront_per_row_multipass_kernelILj256ELj2ELi8EEEviiiiii21rocsparse_index_base_PKiS3_S1_Pi
; %bb.0:
	s_clause 0x1
	s_load_b128 s[4:7], s[0:1], 0x8
	s_load_b32 s2, s[0:1], 0x0
	s_bfe_u32 s3, ttmp6, 0x4000c
	s_and_b32 s8, ttmp6, 15
	s_add_co_i32 s3, s3, 1
	s_getreg_b32 s9, hwreg(HW_REG_IB_STS2, 6, 4)
	s_mul_i32 s3, ttmp9, s3
	v_dual_mov_b32 v5, 0 :: v_dual_lshrrev_b32 v4, 3, v0
	s_add_co_i32 s8, s8, s3
	s_cmp_eq_u32 s9, 0
	v_bfe_u32 v6, v0, 2, 1
	s_cselect_b32 s3, ttmp9, s8
	s_clause 0x1
	s_load_b32 s12, s[0:1], 0x18
	s_load_b64 s[8:9], s[0:1], 0x20
	v_lshl_or_b32 v2, s3, 5, v4
	v_dual_mov_b32 v14, 0 :: v_dual_lshlrev_b32 v3, 2, v4
	ds_store_b32 v3, v5
	s_wait_kmcnt 0x0
	v_mad_u32 v1, v2, s6, v6
	s_wait_dscnt 0x0
	s_barrier_signal -1
	s_barrier_wait -1
	s_delay_alu instid0(VALU_DEP_1) | instskip(SKIP_2) | instid1(SALU_CYCLE_1)
	v_cmp_gt_i32_e32 vcc_lo, s2, v1
	v_cmp_gt_i32_e64 s2, s6, v6
	s_and_b32 s2, s2, vcc_lo
	s_and_saveexec_b32 s3, s2
	s_cbranch_execz .LBB3_2
; %bb.1:
	global_load_b32 v6, v1, s[8:9] scale_offset
	s_wait_loadcnt 0x0
	v_subrev_nc_u32_e32 v14, s12, v6
.LBB3_2:
	s_or_b32 exec_lo, exec_lo, s3
	s_and_saveexec_b32 s3, s2
	s_cbranch_execz .LBB3_4
; %bb.3:
	global_load_b32 v1, v1, s[8:9] offset:4 scale_offset
	s_wait_loadcnt 0x0
	v_subrev_nc_u32_e32 v5, s12, v1
.LBB3_4:
	s_or_b32 exec_lo, exec_lo, s3
	v_and_b32_e32 v6, 7, v0
	s_cmp_lt_i32 s5, 1
	s_delay_alu instid0(VALU_DEP_1)
	v_cmp_eq_u32_e32 vcc_lo, 0, v6
	s_cbranch_scc1 .LBB3_18
; %bb.5:
	v_dual_mov_b32 v1, 0 :: v_dual_bitop2_b32 v7, 3, v0 bitop3:0x40
	v_mbcnt_lo_u32_b32 v0, -1, 0
	s_abs_i32 s6, s7
	s_load_b64 s[8:9], s[0:1], 0x28
	s_cvt_f32_u32 s2, s6
	s_sub_co_i32 s3, 0, s6
	v_dual_lshlrev_b32 v11, 2, v0 :: v_dual_bitop2_b32 v9, 2, v0 bitop3:0x14
	s_delay_alu instid0(SALU_CYCLE_1) | instskip(SKIP_2) | instid1(VALU_DEP_1)
	v_rcp_iflag_f32_e32 v8, s2
	s_mov_b32 s11, 0
	s_ashr_i32 s7, s7, 31
	v_cmp_gt_i32_e64 s2, 32, v9
	v_xor_b32_e32 v10, 1, v0
	s_mov_b32 s13, s11
	v_mov_b32_e32 v16, 0
	v_readfirstlane_b32 s10, v8
	v_cndmask_b32_e64 v13, v0, v9, s2
	v_cmp_gt_i32_e64 s2, 32, v10
	v_xor_b32_e32 v12, 4, v0
	v_or_b32_e32 v9, 28, v11
	s_mul_f32 s10, s10, 0x4f7ffffe
	v_cndmask_b32_e64 v15, v0, v10, s2
	s_delay_alu instid0(VALU_DEP_3) | instskip(SKIP_1) | instid1(VALU_DEP_2)
	v_cmp_gt_i32_e64 s2, 32, v12
	v_dual_lshlrev_b32 v10, 2, v13 :: v_dual_bitop2_b32 v8, 12, v11 bitop3:0x54
	v_dual_mov_b32 v13, 1 :: v_dual_cndmask_b32 v0, v0, v12, s2
	s_cvt_u32_f32 s2, s10
	s_delay_alu instid0(VALU_DEP_1) | instskip(NEXT) | instid1(SALU_CYCLE_2)
	v_dual_lshlrev_b32 v11, 2, v15 :: v_dual_lshlrev_b32 v12, 2, v0
	s_mul_i32 s3, s3, s2
	s_delay_alu instid0(SALU_CYCLE_1) | instskip(NEXT) | instid1(SALU_CYCLE_1)
	s_mul_hi_u32 s3, s2, s3
	s_add_co_i32 s10, s2, s3
	s_branch .LBB3_7
.LBB3_6:                                ;   in Loop: Header=BB3_7 Depth=1
	s_or_b32 exec_lo, exec_lo, s2
	ds_bpermute_b32 v0, v12, v15
	s_wait_dscnt 0x0
	v_min_i32_e32 v0, v0, v15
	ds_bpermute_b32 v15, v10, v0
	s_wait_dscnt 0x0
	v_min_i32_e32 v0, v15, v0
	;; [unrolled: 3-line block ×3, first 2 shown]
	ds_bpermute_b32 v16, v9, v0
	s_wait_dscnt 0x0
	v_cmp_le_i32_e64 s2, s5, v16
	s_or_b32 s13, s2, s13
	s_delay_alu instid0(SALU_CYCLE_1)
	s_and_not1_b32 exec_lo, exec_lo, s13
	s_cbranch_execz .LBB3_17
.LBB3_7:                                ; =>This Loop Header: Depth=1
                                        ;     Child Loop BB3_10 Depth 2
	v_dual_mov_b32 v15, s5 :: v_dual_add_nc_u32 v14, v14, v7
	v_mov_b32_e32 v17, v5
	s_mov_b32 s14, exec_lo
	ds_store_b8 v4, v1 offset:128
	s_wait_dscnt 0x0
	v_cmpx_lt_i32_e64 v14, v5
	s_cbranch_execz .LBB3_15
; %bb.8:                                ;   in Loop: Header=BB3_7 Depth=1
	v_dual_mov_b32 v15, s5 :: v_dual_mov_b32 v17, v5
	s_mov_b32 s15, 0
	s_branch .LBB3_10
.LBB3_9:                                ;   in Loop: Header=BB3_10 Depth=2
	s_or_b32 exec_lo, exec_lo, s3
	v_add_nc_u32_e32 v14, 4, v14
	s_xor_b32 s2, s2, -1
	s_delay_alu instid0(VALU_DEP_1) | instskip(SKIP_1) | instid1(SALU_CYCLE_1)
	v_cmp_ge_i32_e64 s3, v14, v5
	s_or_b32 s2, s2, s3
	s_and_b32 s2, exec_lo, s2
	s_delay_alu instid0(SALU_CYCLE_1) | instskip(NEXT) | instid1(SALU_CYCLE_1)
	s_or_b32 s15, s2, s15
	s_and_not1_b32 exec_lo, exec_lo, s15
	s_cbranch_execz .LBB3_14
.LBB3_10:                               ;   Parent Loop BB3_7 Depth=1
                                        ; =>  This Inner Loop Header: Depth=2
	s_wait_kmcnt 0x0
	global_load_b32 v0, v14, s[8:9] scale_offset
	s_wait_loadcnt 0x0
	v_subrev_nc_u32_e32 v20, s12, v0
	s_delay_alu instid0(VALU_DEP_1) | instskip(NEXT) | instid1(VALU_DEP_1)
	v_sub_nc_u32_e32 v0, 0, v20
	v_max_i32_e32 v0, v20, v0
	s_delay_alu instid0(VALU_DEP_1) | instskip(NEXT) | instid1(VALU_DEP_1)
	v_mul_u64_e32 v[18:19], s[10:11], v[0:1]
	v_mul_lo_u32 v18, v19, s6
	s_delay_alu instid0(VALU_DEP_1) | instskip(NEXT) | instid1(VALU_DEP_1)
	v_dual_sub_nc_u32 v0, v0, v18 :: v_dual_add_nc_u32 v18, 1, v19
	v_cmp_le_u32_e64 s2, s6, v0
	s_delay_alu instid0(VALU_DEP_1) | instskip(SKIP_1) | instid1(VALU_DEP_1)
	v_dual_cndmask_b32 v18, v19, v18, s2 :: v_dual_ashrrev_i32 v19, 31, v20
	v_subrev_nc_u32_e32 v21, s6, v0
	v_dual_add_nc_u32 v20, 1, v18 :: v_dual_cndmask_b32 v0, v0, v21, s2
	s_delay_alu instid0(VALU_DEP_1) | instskip(NEXT) | instid1(VALU_DEP_1)
	v_cmp_le_u32_e64 s2, s6, v0
	v_dual_cndmask_b32 v0, v18, v20, s2 :: v_dual_bitop2_b32 v19, s7, v19 bitop3:0x14
	s_delay_alu instid0(VALU_DEP_1) | instskip(NEXT) | instid1(VALU_DEP_1)
	v_xor_b32_e32 v0, v0, v19
	v_dual_sub_nc_u32 v18, v0, v19 :: v_dual_mov_b32 v0, v17
	s_delay_alu instid0(VALU_DEP_1) | instskip(SKIP_3) | instid1(SALU_CYCLE_1)
	v_cmp_eq_u32_e64 s2, v18, v16
	v_cmp_ne_u32_e64 s3, v18, v16
	s_wait_xcnt 0x0
	s_and_saveexec_b32 s16, s3
	s_xor_b32 s3, exec_lo, s16
; %bb.11:                               ;   in Loop: Header=BB3_10 Depth=2
	v_min_i32_e32 v15, v18, v15
                                        ; implicit-def: $vgpr0
; %bb.12:                               ;   in Loop: Header=BB3_10 Depth=2
	s_or_saveexec_b32 s3, s3
	v_mov_b32_e32 v17, v14
	s_xor_b32 exec_lo, exec_lo, s3
	s_cbranch_execz .LBB3_9
; %bb.13:                               ;   in Loop: Header=BB3_10 Depth=2
	v_mov_b32_e32 v17, v0
	ds_store_b8 v4, v13 offset:128
	s_branch .LBB3_9
.LBB3_14:                               ;   in Loop: Header=BB3_7 Depth=1
	s_or_b32 exec_lo, exec_lo, s15
.LBB3_15:                               ;   in Loop: Header=BB3_7 Depth=1
	s_delay_alu instid0(SALU_CYCLE_1)
	s_or_b32 exec_lo, exec_lo, s14
	ds_bpermute_b32 v0, v10, v17
	s_wait_dscnt 0x0
	ds_load_u8 v16, v4 offset:128
	v_min_i32_e32 v0, v0, v17
	ds_bpermute_b32 v14, v11, v0
	s_wait_dscnt 0x0
	v_min_i32_e32 v0, v14, v0
	ds_bpermute_b32 v14, v8, v0
	v_and_b32_e32 v0, 1, v16
	s_delay_alu instid0(VALU_DEP_1) | instskip(SKIP_1) | instid1(SALU_CYCLE_1)
	v_cmp_eq_u32_e64 s2, 1, v0
	s_and_b32 s3, vcc_lo, s2
	s_and_saveexec_b32 s2, s3
	s_cbranch_execz .LBB3_6
; %bb.16:                               ;   in Loop: Header=BB3_7 Depth=1
	ds_load_b32 v0, v3
	s_wait_dscnt 0x0
	v_add_nc_u32_e32 v0, 1, v0
	ds_store_b32 v3, v0
	s_branch .LBB3_6
.LBB3_17:
	s_or_b32 exec_lo, exec_lo, s13
.LBB3_18:
	s_delay_alu instid0(SALU_CYCLE_1)
	s_mov_b32 s2, exec_lo
	v_cmpx_eq_u32_e32 0, v6
	s_cbranch_execz .LBB3_21
; %bb.19:
	s_clause 0x1
	s_load_b32 s5, s[0:1], 0x30
	s_load_b64 s[2:3], s[0:1], 0x38
	v_mov_b32_e32 v0, 0
	v_cmp_gt_u32_e32 vcc_lo, s4, v2
	s_wait_kmcnt 0x0
	v_mov_b32_e32 v1, s5
	global_store_b32 v0, v1, s[2:3]
	s_wait_xcnt 0x0
	s_and_b32 exec_lo, exec_lo, vcc_lo
	s_cbranch_execz .LBB3_21
; %bb.20:
	ds_load_b32 v0, v3
	s_wait_dscnt 0x0
	global_store_b32 v2, v0, s[2:3] offset:4 scale_offset
.LBB3_21:
	s_endpgm
	.section	.rodata,"a",@progbits
	.p2align	6, 0x0
	.amdhsa_kernel _ZN9rocsparseL48csr2gebsr_nnz_wavefront_per_row_multipass_kernelILj256ELj2ELi8EEEviiiiii21rocsparse_index_base_PKiS3_S1_Pi
		.amdhsa_group_segment_fixed_size 160
		.amdhsa_private_segment_fixed_size 0
		.amdhsa_kernarg_size 64
		.amdhsa_user_sgpr_count 2
		.amdhsa_user_sgpr_dispatch_ptr 0
		.amdhsa_user_sgpr_queue_ptr 0
		.amdhsa_user_sgpr_kernarg_segment_ptr 1
		.amdhsa_user_sgpr_dispatch_id 0
		.amdhsa_user_sgpr_kernarg_preload_length 0
		.amdhsa_user_sgpr_kernarg_preload_offset 0
		.amdhsa_user_sgpr_private_segment_size 0
		.amdhsa_wavefront_size32 1
		.amdhsa_uses_dynamic_stack 0
		.amdhsa_enable_private_segment 0
		.amdhsa_system_sgpr_workgroup_id_x 1
		.amdhsa_system_sgpr_workgroup_id_y 0
		.amdhsa_system_sgpr_workgroup_id_z 0
		.amdhsa_system_sgpr_workgroup_info 0
		.amdhsa_system_vgpr_workitem_id 0
		.amdhsa_next_free_vgpr 22
		.amdhsa_next_free_sgpr 17
		.amdhsa_named_barrier_count 0
		.amdhsa_reserve_vcc 1
		.amdhsa_float_round_mode_32 0
		.amdhsa_float_round_mode_16_64 0
		.amdhsa_float_denorm_mode_32 3
		.amdhsa_float_denorm_mode_16_64 3
		.amdhsa_fp16_overflow 0
		.amdhsa_memory_ordered 1
		.amdhsa_forward_progress 1
		.amdhsa_inst_pref_size 9
		.amdhsa_round_robin_scheduling 0
		.amdhsa_exception_fp_ieee_invalid_op 0
		.amdhsa_exception_fp_denorm_src 0
		.amdhsa_exception_fp_ieee_div_zero 0
		.amdhsa_exception_fp_ieee_overflow 0
		.amdhsa_exception_fp_ieee_underflow 0
		.amdhsa_exception_fp_ieee_inexact 0
		.amdhsa_exception_int_div_zero 0
	.end_amdhsa_kernel
	.section	.text._ZN9rocsparseL48csr2gebsr_nnz_wavefront_per_row_multipass_kernelILj256ELj2ELi8EEEviiiiii21rocsparse_index_base_PKiS3_S1_Pi,"axG",@progbits,_ZN9rocsparseL48csr2gebsr_nnz_wavefront_per_row_multipass_kernelILj256ELj2ELi8EEEviiiiii21rocsparse_index_base_PKiS3_S1_Pi,comdat
.Lfunc_end3:
	.size	_ZN9rocsparseL48csr2gebsr_nnz_wavefront_per_row_multipass_kernelILj256ELj2ELi8EEEviiiiii21rocsparse_index_base_PKiS3_S1_Pi, .Lfunc_end3-_ZN9rocsparseL48csr2gebsr_nnz_wavefront_per_row_multipass_kernelILj256ELj2ELi8EEEviiiiii21rocsparse_index_base_PKiS3_S1_Pi
                                        ; -- End function
	.set _ZN9rocsparseL48csr2gebsr_nnz_wavefront_per_row_multipass_kernelILj256ELj2ELi8EEEviiiiii21rocsparse_index_base_PKiS3_S1_Pi.num_vgpr, 22
	.set _ZN9rocsparseL48csr2gebsr_nnz_wavefront_per_row_multipass_kernelILj256ELj2ELi8EEEviiiiii21rocsparse_index_base_PKiS3_S1_Pi.num_agpr, 0
	.set _ZN9rocsparseL48csr2gebsr_nnz_wavefront_per_row_multipass_kernelILj256ELj2ELi8EEEviiiiii21rocsparse_index_base_PKiS3_S1_Pi.numbered_sgpr, 17
	.set _ZN9rocsparseL48csr2gebsr_nnz_wavefront_per_row_multipass_kernelILj256ELj2ELi8EEEviiiiii21rocsparse_index_base_PKiS3_S1_Pi.num_named_barrier, 0
	.set _ZN9rocsparseL48csr2gebsr_nnz_wavefront_per_row_multipass_kernelILj256ELj2ELi8EEEviiiiii21rocsparse_index_base_PKiS3_S1_Pi.private_seg_size, 0
	.set _ZN9rocsparseL48csr2gebsr_nnz_wavefront_per_row_multipass_kernelILj256ELj2ELi8EEEviiiiii21rocsparse_index_base_PKiS3_S1_Pi.uses_vcc, 1
	.set _ZN9rocsparseL48csr2gebsr_nnz_wavefront_per_row_multipass_kernelILj256ELj2ELi8EEEviiiiii21rocsparse_index_base_PKiS3_S1_Pi.uses_flat_scratch, 0
	.set _ZN9rocsparseL48csr2gebsr_nnz_wavefront_per_row_multipass_kernelILj256ELj2ELi8EEEviiiiii21rocsparse_index_base_PKiS3_S1_Pi.has_dyn_sized_stack, 0
	.set _ZN9rocsparseL48csr2gebsr_nnz_wavefront_per_row_multipass_kernelILj256ELj2ELi8EEEviiiiii21rocsparse_index_base_PKiS3_S1_Pi.has_recursion, 0
	.set _ZN9rocsparseL48csr2gebsr_nnz_wavefront_per_row_multipass_kernelILj256ELj2ELi8EEEviiiiii21rocsparse_index_base_PKiS3_S1_Pi.has_indirect_call, 0
	.section	.AMDGPU.csdata,"",@progbits
; Kernel info:
; codeLenInByte = 1092
; TotalNumSgprs: 19
; NumVgprs: 22
; ScratchSize: 0
; MemoryBound: 0
; FloatMode: 240
; IeeeMode: 1
; LDSByteSize: 160 bytes/workgroup (compile time only)
; SGPRBlocks: 0
; VGPRBlocks: 1
; NumSGPRsForWavesPerEU: 19
; NumVGPRsForWavesPerEU: 22
; NamedBarCnt: 0
; Occupancy: 16
; WaveLimiterHint : 0
; COMPUTE_PGM_RSRC2:SCRATCH_EN: 0
; COMPUTE_PGM_RSRC2:USER_SGPR: 2
; COMPUTE_PGM_RSRC2:TRAP_HANDLER: 0
; COMPUTE_PGM_RSRC2:TGID_X_EN: 1
; COMPUTE_PGM_RSRC2:TGID_Y_EN: 0
; COMPUTE_PGM_RSRC2:TGID_Z_EN: 0
; COMPUTE_PGM_RSRC2:TIDIG_COMP_CNT: 0
	.section	.text._ZN9rocsparseL48csr2gebsr_nnz_wavefront_per_row_multipass_kernelILj256ELj2ELi16EEEviiiiii21rocsparse_index_base_PKiS3_S1_Pi,"axG",@progbits,_ZN9rocsparseL48csr2gebsr_nnz_wavefront_per_row_multipass_kernelILj256ELj2ELi16EEEviiiiii21rocsparse_index_base_PKiS3_S1_Pi,comdat
	.globl	_ZN9rocsparseL48csr2gebsr_nnz_wavefront_per_row_multipass_kernelILj256ELj2ELi16EEEviiiiii21rocsparse_index_base_PKiS3_S1_Pi ; -- Begin function _ZN9rocsparseL48csr2gebsr_nnz_wavefront_per_row_multipass_kernelILj256ELj2ELi16EEEviiiiii21rocsparse_index_base_PKiS3_S1_Pi
	.p2align	8
	.type	_ZN9rocsparseL48csr2gebsr_nnz_wavefront_per_row_multipass_kernelILj256ELj2ELi16EEEviiiiii21rocsparse_index_base_PKiS3_S1_Pi,@function
_ZN9rocsparseL48csr2gebsr_nnz_wavefront_per_row_multipass_kernelILj256ELj2ELi16EEEviiiiii21rocsparse_index_base_PKiS3_S1_Pi: ; @_ZN9rocsparseL48csr2gebsr_nnz_wavefront_per_row_multipass_kernelILj256ELj2ELi16EEEviiiiii21rocsparse_index_base_PKiS3_S1_Pi
; %bb.0:
	s_clause 0x1
	s_load_b128 s[4:7], s[0:1], 0x8
	s_load_b32 s2, s[0:1], 0x0
	s_bfe_u32 s3, ttmp6, 0x4000c
	s_and_b32 s8, ttmp6, 15
	s_add_co_i32 s3, s3, 1
	s_getreg_b32 s9, hwreg(HW_REG_IB_STS2, 6, 4)
	s_mul_i32 s3, ttmp9, s3
	v_dual_mov_b32 v5, 0 :: v_dual_lshrrev_b32 v4, 4, v0
	s_add_co_i32 s8, s8, s3
	s_cmp_eq_u32 s9, 0
	v_bfe_u32 v6, v0, 3, 1
	s_cselect_b32 s3, ttmp9, s8
	s_clause 0x1
	s_load_b32 s12, s[0:1], 0x18
	s_load_b64 s[8:9], s[0:1], 0x20
	v_lshl_or_b32 v2, s3, 4, v4
	v_dual_lshlrev_b32 v3, 2, v4 :: v_dual_mov_b32 v15, 0
	ds_store_b32 v3, v5
	s_wait_kmcnt 0x0
	v_mad_u32 v1, v2, s6, v6
	s_wait_dscnt 0x0
	s_barrier_signal -1
	s_barrier_wait -1
	s_delay_alu instid0(VALU_DEP_1) | instskip(SKIP_2) | instid1(SALU_CYCLE_1)
	v_cmp_gt_i32_e32 vcc_lo, s2, v1
	v_cmp_gt_i32_e64 s2, s6, v6
	s_and_b32 s2, s2, vcc_lo
	s_and_saveexec_b32 s3, s2
	s_cbranch_execz .LBB4_2
; %bb.1:
	global_load_b32 v6, v1, s[8:9] scale_offset
	s_wait_loadcnt 0x0
	v_subrev_nc_u32_e32 v15, s12, v6
.LBB4_2:
	s_or_b32 exec_lo, exec_lo, s3
	s_and_saveexec_b32 s3, s2
	s_cbranch_execz .LBB4_4
; %bb.3:
	global_load_b32 v1, v1, s[8:9] offset:4 scale_offset
	s_wait_loadcnt 0x0
	v_subrev_nc_u32_e32 v5, s12, v1
.LBB4_4:
	s_or_b32 exec_lo, exec_lo, s3
	v_and_b32_e32 v6, 15, v0
	s_cmp_lt_i32 s5, 1
	s_delay_alu instid0(VALU_DEP_1)
	v_cmp_eq_u32_e32 vcc_lo, 0, v6
	s_cbranch_scc1 .LBB4_18
; %bb.5:
	v_mbcnt_lo_u32_b32 v1, -1, 0
	s_abs_i32 s6, s7
	s_load_b64 s[8:9], s[0:1], 0x28
	s_cvt_f32_u32 s2, s6
	s_delay_alu instid0(VALU_DEP_1) | instskip(SKIP_1) | instid1(SALU_CYCLE_1)
	v_dual_mov_b32 v17, 0 :: v_dual_bitop2_b32 v8, 2, v1 bitop3:0x14
	v_xor_b32_e32 v7, 4, v1
	v_rcp_iflag_f32_e32 v10, s2
	s_mov_b32 s11, 0
	s_ashr_i32 s7, s7, 31
	s_mov_b32 s13, s11
	v_cmp_gt_i32_e64 s2, 32, v7
	v_mov_b32_e32 v14, 1
	s_delay_alu instid0(TRANS32_DEP_1) | instskip(NEXT) | instid1(VALU_DEP_3)
	v_readfirstlane_b32 s3, v10
	v_cndmask_b32_e64 v9, v1, v7, s2
	v_cmp_gt_i32_e64 s2, 32, v8
	v_and_b32_e32 v7, 7, v0
	s_mul_f32 s3, s3, 0x4f7ffffe
	v_dual_cndmask_b32 v11, v1, v8, s2 :: v_dual_bitop2_b32 v0, 1, v1 bitop3:0x14
	s_delay_alu instid0(VALU_DEP_1) | instskip(NEXT) | instid1(VALU_DEP_2)
	v_dual_lshlrev_b32 v8, 2, v9 :: v_dual_lshlrev_b32 v9, 2, v11
	v_cmp_gt_i32_e64 s2, 32, v0
	s_delay_alu instid0(VALU_DEP_1) | instskip(NEXT) | instid1(VALU_DEP_1)
	v_dual_cndmask_b32 v0, v1, v0, s2 :: v_dual_bitop2_b32 v10, 8, v1 bitop3:0x14
	v_cmp_gt_i32_e64 s2, 32, v10
	s_delay_alu instid0(VALU_DEP_1) | instskip(SKIP_2) | instid1(VALU_DEP_1)
	v_dual_lshlrev_b32 v13, 2, v1 :: v_dual_cndmask_b32 v1, v1, v10, s2
	s_cvt_u32_f32 s2, s3
	s_sub_co_i32 s3, 0, s6
	v_dual_lshlrev_b32 v10, 2, v0 :: v_dual_bitop2_b32 v11, 28, v13 bitop3:0x54
	s_delay_alu instid0(SALU_CYCLE_1) | instskip(SKIP_3) | instid1(SALU_CYCLE_1)
	s_mul_i32 s3, s3, s2
	v_dual_mov_b32 v1, 0 :: v_dual_lshlrev_b32 v12, 2, v1
	v_or_b32_e32 v13, 60, v13
	s_mul_hi_u32 s3, s2, s3
	s_add_co_i32 s10, s2, s3
	s_branch .LBB4_7
.LBB4_6:                                ;   in Loop: Header=BB4_7 Depth=1
	s_or_b32 exec_lo, exec_lo, s2
	ds_bpermute_b32 v0, v12, v16
	s_wait_dscnt 0x0
	v_min_i32_e32 v0, v0, v16
	ds_bpermute_b32 v16, v8, v0
	s_wait_dscnt 0x0
	v_min_i32_e32 v0, v16, v0
	;; [unrolled: 3-line block ×4, first 2 shown]
	ds_bpermute_b32 v17, v13, v0
	s_wait_dscnt 0x0
	v_cmp_le_i32_e64 s2, s5, v17
	s_or_b32 s13, s2, s13
	s_delay_alu instid0(SALU_CYCLE_1)
	s_and_not1_b32 exec_lo, exec_lo, s13
	s_cbranch_execz .LBB4_17
.LBB4_7:                                ; =>This Loop Header: Depth=1
                                        ;     Child Loop BB4_10 Depth 2
	v_dual_mov_b32 v16, s5 :: v_dual_add_nc_u32 v15, v15, v7
	v_mov_b32_e32 v18, v5
	s_mov_b32 s14, exec_lo
	ds_store_b8 v4, v1 offset:64
	s_wait_dscnt 0x0
	v_cmpx_lt_i32_e64 v15, v5
	s_cbranch_execz .LBB4_15
; %bb.8:                                ;   in Loop: Header=BB4_7 Depth=1
	v_dual_mov_b32 v16, s5 :: v_dual_mov_b32 v18, v5
	s_mov_b32 s15, 0
	s_branch .LBB4_10
.LBB4_9:                                ;   in Loop: Header=BB4_10 Depth=2
	s_or_b32 exec_lo, exec_lo, s3
	v_add_nc_u32_e32 v15, 8, v15
	s_xor_b32 s2, s2, -1
	s_delay_alu instid0(VALU_DEP_1) | instskip(SKIP_1) | instid1(SALU_CYCLE_1)
	v_cmp_ge_i32_e64 s3, v15, v5
	s_or_b32 s2, s2, s3
	s_and_b32 s2, exec_lo, s2
	s_delay_alu instid0(SALU_CYCLE_1) | instskip(NEXT) | instid1(SALU_CYCLE_1)
	s_or_b32 s15, s2, s15
	s_and_not1_b32 exec_lo, exec_lo, s15
	s_cbranch_execz .LBB4_14
.LBB4_10:                               ;   Parent Loop BB4_7 Depth=1
                                        ; =>  This Inner Loop Header: Depth=2
	s_wait_kmcnt 0x0
	global_load_b32 v0, v15, s[8:9] scale_offset
	s_wait_loadcnt 0x0
	v_subrev_nc_u32_e32 v19, s12, v0
	s_delay_alu instid0(VALU_DEP_1) | instskip(NEXT) | instid1(VALU_DEP_1)
	v_sub_nc_u32_e32 v0, 0, v19
	v_dual_ashrrev_i32 v19, 31, v19 :: v_dual_max_i32 v0, v19, v0
	s_delay_alu instid0(VALU_DEP_1) | instskip(NEXT) | instid1(VALU_DEP_1)
	v_mul_u64_e32 v[20:21], s[10:11], v[0:1]
	v_mul_lo_u32 v20, v21, s6
	s_delay_alu instid0(VALU_DEP_1) | instskip(NEXT) | instid1(VALU_DEP_1)
	v_dual_sub_nc_u32 v0, v0, v20 :: v_dual_add_nc_u32 v20, 1, v21
	v_cmp_le_u32_e64 s2, s6, v0
	s_delay_alu instid0(VALU_DEP_1) | instskip(SKIP_1) | instid1(VALU_DEP_1)
	v_cndmask_b32_e64 v20, v21, v20, s2
	v_subrev_nc_u32_e32 v22, s6, v0
	v_dual_add_nc_u32 v21, 1, v20 :: v_dual_cndmask_b32 v0, v0, v22, s2
	s_delay_alu instid0(VALU_DEP_1) | instskip(NEXT) | instid1(VALU_DEP_1)
	v_cmp_le_u32_e64 s2, s6, v0
	v_dual_cndmask_b32 v0, v20, v21, s2 :: v_dual_bitop2_b32 v19, s7, v19 bitop3:0x14
	s_delay_alu instid0(VALU_DEP_1) | instskip(NEXT) | instid1(VALU_DEP_1)
	v_xor_b32_e32 v0, v0, v19
	v_dual_mov_b32 v0, v18 :: v_dual_sub_nc_u32 v19, v0, v19
	s_delay_alu instid0(VALU_DEP_1) | instskip(SKIP_3) | instid1(SALU_CYCLE_1)
	v_cmp_eq_u32_e64 s2, v19, v17
	v_cmp_ne_u32_e64 s3, v19, v17
	s_wait_xcnt 0x0
	s_and_saveexec_b32 s16, s3
	s_xor_b32 s3, exec_lo, s16
; %bb.11:                               ;   in Loop: Header=BB4_10 Depth=2
	v_min_i32_e32 v16, v19, v16
                                        ; implicit-def: $vgpr0
; %bb.12:                               ;   in Loop: Header=BB4_10 Depth=2
	s_or_saveexec_b32 s3, s3
	v_mov_b32_e32 v18, v15
	s_xor_b32 exec_lo, exec_lo, s3
	s_cbranch_execz .LBB4_9
; %bb.13:                               ;   in Loop: Header=BB4_10 Depth=2
	v_mov_b32_e32 v18, v0
	ds_store_b8 v4, v14 offset:64
	s_branch .LBB4_9
.LBB4_14:                               ;   in Loop: Header=BB4_7 Depth=1
	s_or_b32 exec_lo, exec_lo, s15
.LBB4_15:                               ;   in Loop: Header=BB4_7 Depth=1
	s_delay_alu instid0(SALU_CYCLE_1)
	s_or_b32 exec_lo, exec_lo, s14
	ds_bpermute_b32 v0, v8, v18
	s_wait_dscnt 0x0
	ds_load_u8 v17, v4 offset:64
	v_min_i32_e32 v0, v0, v18
	ds_bpermute_b32 v15, v9, v0
	s_wait_dscnt 0x0
	v_min_i32_e32 v0, v15, v0
	ds_bpermute_b32 v15, v10, v0
	s_wait_dscnt 0x0
	v_min_i32_e32 v0, v15, v0
	ds_bpermute_b32 v15, v11, v0
	v_and_b32_e32 v0, 1, v17
	s_delay_alu instid0(VALU_DEP_1) | instskip(SKIP_1) | instid1(SALU_CYCLE_1)
	v_cmp_eq_u32_e64 s2, 1, v0
	s_and_b32 s3, vcc_lo, s2
	s_and_saveexec_b32 s2, s3
	s_cbranch_execz .LBB4_6
; %bb.16:                               ;   in Loop: Header=BB4_7 Depth=1
	ds_load_b32 v0, v3
	s_wait_dscnt 0x0
	v_add_nc_u32_e32 v0, 1, v0
	ds_store_b32 v3, v0
	s_branch .LBB4_6
.LBB4_17:
	s_or_b32 exec_lo, exec_lo, s13
.LBB4_18:
	s_delay_alu instid0(SALU_CYCLE_1)
	s_mov_b32 s2, exec_lo
	v_cmpx_eq_u32_e32 0, v6
	s_cbranch_execz .LBB4_21
; %bb.19:
	s_clause 0x1
	s_load_b32 s5, s[0:1], 0x30
	s_load_b64 s[2:3], s[0:1], 0x38
	v_mov_b32_e32 v0, 0
	v_cmp_gt_u32_e32 vcc_lo, s4, v2
	s_wait_kmcnt 0x0
	v_mov_b32_e32 v1, s5
	global_store_b32 v0, v1, s[2:3]
	s_wait_xcnt 0x0
	s_and_b32 exec_lo, exec_lo, vcc_lo
	s_cbranch_execz .LBB4_21
; %bb.20:
	ds_load_b32 v0, v3
	s_wait_dscnt 0x0
	global_store_b32 v2, v0, s[2:3] offset:4 scale_offset
.LBB4_21:
	s_endpgm
	.section	.rodata,"a",@progbits
	.p2align	6, 0x0
	.amdhsa_kernel _ZN9rocsparseL48csr2gebsr_nnz_wavefront_per_row_multipass_kernelILj256ELj2ELi16EEEviiiiii21rocsparse_index_base_PKiS3_S1_Pi
		.amdhsa_group_segment_fixed_size 80
		.amdhsa_private_segment_fixed_size 0
		.amdhsa_kernarg_size 64
		.amdhsa_user_sgpr_count 2
		.amdhsa_user_sgpr_dispatch_ptr 0
		.amdhsa_user_sgpr_queue_ptr 0
		.amdhsa_user_sgpr_kernarg_segment_ptr 1
		.amdhsa_user_sgpr_dispatch_id 0
		.amdhsa_user_sgpr_kernarg_preload_length 0
		.amdhsa_user_sgpr_kernarg_preload_offset 0
		.amdhsa_user_sgpr_private_segment_size 0
		.amdhsa_wavefront_size32 1
		.amdhsa_uses_dynamic_stack 0
		.amdhsa_enable_private_segment 0
		.amdhsa_system_sgpr_workgroup_id_x 1
		.amdhsa_system_sgpr_workgroup_id_y 0
		.amdhsa_system_sgpr_workgroup_id_z 0
		.amdhsa_system_sgpr_workgroup_info 0
		.amdhsa_system_vgpr_workitem_id 0
		.amdhsa_next_free_vgpr 23
		.amdhsa_next_free_sgpr 17
		.amdhsa_named_barrier_count 0
		.amdhsa_reserve_vcc 1
		.amdhsa_float_round_mode_32 0
		.amdhsa_float_round_mode_16_64 0
		.amdhsa_float_denorm_mode_32 3
		.amdhsa_float_denorm_mode_16_64 3
		.amdhsa_fp16_overflow 0
		.amdhsa_memory_ordered 1
		.amdhsa_forward_progress 1
		.amdhsa_inst_pref_size 10
		.amdhsa_round_robin_scheduling 0
		.amdhsa_exception_fp_ieee_invalid_op 0
		.amdhsa_exception_fp_denorm_src 0
		.amdhsa_exception_fp_ieee_div_zero 0
		.amdhsa_exception_fp_ieee_overflow 0
		.amdhsa_exception_fp_ieee_underflow 0
		.amdhsa_exception_fp_ieee_inexact 0
		.amdhsa_exception_int_div_zero 0
	.end_amdhsa_kernel
	.section	.text._ZN9rocsparseL48csr2gebsr_nnz_wavefront_per_row_multipass_kernelILj256ELj2ELi16EEEviiiiii21rocsparse_index_base_PKiS3_S1_Pi,"axG",@progbits,_ZN9rocsparseL48csr2gebsr_nnz_wavefront_per_row_multipass_kernelILj256ELj2ELi16EEEviiiiii21rocsparse_index_base_PKiS3_S1_Pi,comdat
.Lfunc_end4:
	.size	_ZN9rocsparseL48csr2gebsr_nnz_wavefront_per_row_multipass_kernelILj256ELj2ELi16EEEviiiiii21rocsparse_index_base_PKiS3_S1_Pi, .Lfunc_end4-_ZN9rocsparseL48csr2gebsr_nnz_wavefront_per_row_multipass_kernelILj256ELj2ELi16EEEviiiiii21rocsparse_index_base_PKiS3_S1_Pi
                                        ; -- End function
	.set _ZN9rocsparseL48csr2gebsr_nnz_wavefront_per_row_multipass_kernelILj256ELj2ELi16EEEviiiiii21rocsparse_index_base_PKiS3_S1_Pi.num_vgpr, 23
	.set _ZN9rocsparseL48csr2gebsr_nnz_wavefront_per_row_multipass_kernelILj256ELj2ELi16EEEviiiiii21rocsparse_index_base_PKiS3_S1_Pi.num_agpr, 0
	.set _ZN9rocsparseL48csr2gebsr_nnz_wavefront_per_row_multipass_kernelILj256ELj2ELi16EEEviiiiii21rocsparse_index_base_PKiS3_S1_Pi.numbered_sgpr, 17
	.set _ZN9rocsparseL48csr2gebsr_nnz_wavefront_per_row_multipass_kernelILj256ELj2ELi16EEEviiiiii21rocsparse_index_base_PKiS3_S1_Pi.num_named_barrier, 0
	.set _ZN9rocsparseL48csr2gebsr_nnz_wavefront_per_row_multipass_kernelILj256ELj2ELi16EEEviiiiii21rocsparse_index_base_PKiS3_S1_Pi.private_seg_size, 0
	.set _ZN9rocsparseL48csr2gebsr_nnz_wavefront_per_row_multipass_kernelILj256ELj2ELi16EEEviiiiii21rocsparse_index_base_PKiS3_S1_Pi.uses_vcc, 1
	.set _ZN9rocsparseL48csr2gebsr_nnz_wavefront_per_row_multipass_kernelILj256ELj2ELi16EEEviiiiii21rocsparse_index_base_PKiS3_S1_Pi.uses_flat_scratch, 0
	.set _ZN9rocsparseL48csr2gebsr_nnz_wavefront_per_row_multipass_kernelILj256ELj2ELi16EEEviiiiii21rocsparse_index_base_PKiS3_S1_Pi.has_dyn_sized_stack, 0
	.set _ZN9rocsparseL48csr2gebsr_nnz_wavefront_per_row_multipass_kernelILj256ELj2ELi16EEEviiiiii21rocsparse_index_base_PKiS3_S1_Pi.has_recursion, 0
	.set _ZN9rocsparseL48csr2gebsr_nnz_wavefront_per_row_multipass_kernelILj256ELj2ELi16EEEviiiiii21rocsparse_index_base_PKiS3_S1_Pi.has_indirect_call, 0
	.section	.AMDGPU.csdata,"",@progbits
; Kernel info:
; codeLenInByte = 1156
; TotalNumSgprs: 19
; NumVgprs: 23
; ScratchSize: 0
; MemoryBound: 0
; FloatMode: 240
; IeeeMode: 1
; LDSByteSize: 80 bytes/workgroup (compile time only)
; SGPRBlocks: 0
; VGPRBlocks: 1
; NumSGPRsForWavesPerEU: 19
; NumVGPRsForWavesPerEU: 23
; NamedBarCnt: 0
; Occupancy: 16
; WaveLimiterHint : 0
; COMPUTE_PGM_RSRC2:SCRATCH_EN: 0
; COMPUTE_PGM_RSRC2:USER_SGPR: 2
; COMPUTE_PGM_RSRC2:TRAP_HANDLER: 0
; COMPUTE_PGM_RSRC2:TGID_X_EN: 1
; COMPUTE_PGM_RSRC2:TGID_Y_EN: 0
; COMPUTE_PGM_RSRC2:TGID_Z_EN: 0
; COMPUTE_PGM_RSRC2:TIDIG_COMP_CNT: 0
	.section	.text._ZN9rocsparseL48csr2gebsr_nnz_wavefront_per_row_multipass_kernelILj256ELj2ELi32EEEviiiiii21rocsparse_index_base_PKiS3_S1_Pi,"axG",@progbits,_ZN9rocsparseL48csr2gebsr_nnz_wavefront_per_row_multipass_kernelILj256ELj2ELi32EEEviiiiii21rocsparse_index_base_PKiS3_S1_Pi,comdat
	.globl	_ZN9rocsparseL48csr2gebsr_nnz_wavefront_per_row_multipass_kernelILj256ELj2ELi32EEEviiiiii21rocsparse_index_base_PKiS3_S1_Pi ; -- Begin function _ZN9rocsparseL48csr2gebsr_nnz_wavefront_per_row_multipass_kernelILj256ELj2ELi32EEEviiiiii21rocsparse_index_base_PKiS3_S1_Pi
	.p2align	8
	.type	_ZN9rocsparseL48csr2gebsr_nnz_wavefront_per_row_multipass_kernelILj256ELj2ELi32EEEviiiiii21rocsparse_index_base_PKiS3_S1_Pi,@function
_ZN9rocsparseL48csr2gebsr_nnz_wavefront_per_row_multipass_kernelILj256ELj2ELi32EEEviiiiii21rocsparse_index_base_PKiS3_S1_Pi: ; @_ZN9rocsparseL48csr2gebsr_nnz_wavefront_per_row_multipass_kernelILj256ELj2ELi32EEEviiiiii21rocsparse_index_base_PKiS3_S1_Pi
; %bb.0:
	s_clause 0x1
	s_load_b128 s[4:7], s[0:1], 0x8
	s_load_b32 s2, s[0:1], 0x0
	s_bfe_u32 s3, ttmp6, 0x4000c
	s_and_b32 s8, ttmp6, 15
	s_add_co_i32 s3, s3, 1
	s_getreg_b32 s9, hwreg(HW_REG_IB_STS2, 6, 4)
	s_mul_i32 s3, ttmp9, s3
	v_dual_mov_b32 v5, 0 :: v_dual_lshrrev_b32 v4, 5, v0
	s_add_co_i32 s8, s8, s3
	s_cmp_eq_u32 s9, 0
	v_bfe_u32 v6, v0, 4, 1
	s_cselect_b32 s3, ttmp9, s8
	s_clause 0x1
	s_load_b32 s12, s[0:1], 0x18
	s_load_b64 s[8:9], s[0:1], 0x20
	v_lshl_or_b32 v2, s3, 3, v4
	v_dual_mov_b32 v16, 0 :: v_dual_lshlrev_b32 v3, 2, v4
	ds_store_b32 v3, v5
	s_wait_kmcnt 0x0
	v_mad_u32 v1, v2, s6, v6
	s_wait_dscnt 0x0
	s_barrier_signal -1
	s_barrier_wait -1
	s_delay_alu instid0(VALU_DEP_1) | instskip(SKIP_2) | instid1(SALU_CYCLE_1)
	v_cmp_gt_i32_e32 vcc_lo, s2, v1
	v_cmp_gt_i32_e64 s2, s6, v6
	s_and_b32 s2, s2, vcc_lo
	s_and_saveexec_b32 s3, s2
	s_cbranch_execz .LBB5_2
; %bb.1:
	global_load_b32 v6, v1, s[8:9] scale_offset
	s_wait_loadcnt 0x0
	v_subrev_nc_u32_e32 v16, s12, v6
.LBB5_2:
	s_or_b32 exec_lo, exec_lo, s3
	s_and_saveexec_b32 s3, s2
	s_cbranch_execz .LBB5_4
; %bb.3:
	global_load_b32 v1, v1, s[8:9] offset:4 scale_offset
	s_wait_loadcnt 0x0
	v_subrev_nc_u32_e32 v5, s12, v1
.LBB5_4:
	s_or_b32 exec_lo, exec_lo, s3
	v_and_b32_e32 v6, 31, v0
	s_cmp_lt_i32 s5, 1
	s_delay_alu instid0(VALU_DEP_1)
	v_cmp_eq_u32_e32 vcc_lo, 0, v6
	s_cbranch_scc1 .LBB5_18
; %bb.5:
	v_mbcnt_lo_u32_b32 v1, -1, 0
	s_abs_i32 s6, s7
	s_load_b64 s[8:9], s[0:1], 0x28
	s_cvt_f32_u32 s3, s6
	v_dual_mov_b32 v15, 1 :: v_dual_mov_b32 v18, 0
	v_xor_b32_e32 v10, 2, v1
	v_xor_b32_e32 v8, 8, v1
	v_rcp_iflag_f32_e32 v11, s3
	v_lshl_or_b32 v12, v1, 2, 60
	s_mov_b32 s11, 0
	s_ashr_i32 s7, s7, 31
	v_cmp_gt_i32_e64 s2, 32, v8
	v_xor_b32_e32 v9, 4, v1
	v_and_b32_e32 v7, 15, v0
	v_readfirstlane_b32 s3, v11
	s_delay_alu instid0(VALU_DEP_4) | instskip(NEXT) | instid1(VALU_DEP_4)
	v_dual_cndmask_b32 v0, v1, v8, s2 :: v_dual_bitop2_b32 v11, 16, v1 bitop3:0x14
	v_cmp_gt_i32_e64 s2, 32, v9
	s_mov_b32 s13, s11
	s_mul_f32 s3, s3, 0x4f7ffffe
	v_mov_b32_e32 v14, 0x7c
	v_dual_lshlrev_b32 v8, 2, v0 :: v_dual_cndmask_b32 v9, v1, v9, s2
	v_cmp_gt_i32_e64 s2, 32, v10
	s_delay_alu instid0(VALU_DEP_1) | instskip(NEXT) | instid1(VALU_DEP_1)
	v_dual_cndmask_b32 v10, v1, v10, s2 :: v_dual_bitop2_b32 v0, 1, v1 bitop3:0x14
	v_lshlrev_b32_e32 v10, 2, v10
	s_delay_alu instid0(VALU_DEP_2) | instskip(NEXT) | instid1(VALU_DEP_1)
	v_cmp_gt_i32_e64 s2, 32, v0
	v_dual_lshlrev_b32 v9, 2, v9 :: v_dual_cndmask_b32 v0, v1, v0, s2
	v_cmp_gt_i32_e64 s2, 32, v11
	s_delay_alu instid0(VALU_DEP_1) | instskip(SKIP_2) | instid1(VALU_DEP_1)
	v_dual_cndmask_b32 v13, v1, v11, s2 :: v_dual_lshlrev_b32 v11, 2, v0
	s_cvt_u32_f32 s2, s3
	s_sub_co_i32 s3, 0, s6
	v_dual_mov_b32 v1, 0 :: v_dual_lshlrev_b32 v13, 2, v13
	s_delay_alu instid0(SALU_CYCLE_1) | instskip(NEXT) | instid1(SALU_CYCLE_1)
	s_mul_i32 s3, s3, s2
	s_mul_hi_u32 s3, s2, s3
	s_delay_alu instid0(SALU_CYCLE_1)
	s_add_co_i32 s10, s2, s3
	s_branch .LBB5_7
.LBB5_6:                                ;   in Loop: Header=BB5_7 Depth=1
	s_or_b32 exec_lo, exec_lo, s2
	ds_bpermute_b32 v0, v13, v17
	s_wait_dscnt 0x0
	v_min_i32_e32 v0, v0, v17
	ds_bpermute_b32 v17, v8, v0
	s_wait_dscnt 0x0
	v_min_i32_e32 v0, v17, v0
	ds_bpermute_b32 v17, v9, v0
	s_wait_dscnt 0x0
	v_min_i32_e32 v0, v17, v0
	ds_bpermute_b32 v17, v10, v0
	s_wait_dscnt 0x0
	v_min_i32_e32 v0, v17, v0
	ds_bpermute_b32 v17, v11, v0
	s_wait_dscnt 0x0
	v_min_i32_e32 v0, v17, v0
	ds_bpermute_b32 v18, v14, v0
	s_wait_dscnt 0x0
	v_cmp_le_i32_e64 s2, s5, v18
	s_or_b32 s13, s2, s13
	s_delay_alu instid0(SALU_CYCLE_1)
	s_and_not1_b32 exec_lo, exec_lo, s13
	s_cbranch_execz .LBB5_17
.LBB5_7:                                ; =>This Loop Header: Depth=1
                                        ;     Child Loop BB5_10 Depth 2
	v_dual_mov_b32 v17, s5 :: v_dual_add_nc_u32 v16, v16, v7
	v_mov_b32_e32 v19, v5
	s_mov_b32 s14, exec_lo
	ds_store_b8 v4, v1 offset:32
	s_wait_dscnt 0x0
	v_cmpx_lt_i32_e64 v16, v5
	s_cbranch_execz .LBB5_15
; %bb.8:                                ;   in Loop: Header=BB5_7 Depth=1
	v_dual_mov_b32 v17, s5 :: v_dual_mov_b32 v19, v5
	s_mov_b32 s15, 0
	s_branch .LBB5_10
.LBB5_9:                                ;   in Loop: Header=BB5_10 Depth=2
	s_or_b32 exec_lo, exec_lo, s3
	v_add_nc_u32_e32 v16, 16, v16
	s_xor_b32 s2, s2, -1
	s_delay_alu instid0(VALU_DEP_1) | instskip(SKIP_1) | instid1(SALU_CYCLE_1)
	v_cmp_ge_i32_e64 s3, v16, v5
	s_or_b32 s2, s2, s3
	s_and_b32 s2, exec_lo, s2
	s_delay_alu instid0(SALU_CYCLE_1) | instskip(NEXT) | instid1(SALU_CYCLE_1)
	s_or_b32 s15, s2, s15
	s_and_not1_b32 exec_lo, exec_lo, s15
	s_cbranch_execz .LBB5_14
.LBB5_10:                               ;   Parent Loop BB5_7 Depth=1
                                        ; =>  This Inner Loop Header: Depth=2
	s_wait_kmcnt 0x0
	global_load_b32 v0, v16, s[8:9] scale_offset
	s_wait_loadcnt 0x0
	v_subrev_nc_u32_e32 v22, s12, v0
	s_delay_alu instid0(VALU_DEP_1) | instskip(NEXT) | instid1(VALU_DEP_1)
	v_sub_nc_u32_e32 v0, 0, v22
	v_max_i32_e32 v0, v22, v0
	s_delay_alu instid0(VALU_DEP_1) | instskip(NEXT) | instid1(VALU_DEP_1)
	v_mul_u64_e32 v[20:21], s[10:11], v[0:1]
	v_mul_lo_u32 v20, v21, s6
	s_delay_alu instid0(VALU_DEP_1) | instskip(NEXT) | instid1(VALU_DEP_1)
	v_dual_sub_nc_u32 v0, v0, v20 :: v_dual_add_nc_u32 v20, 1, v21
	v_cmp_le_u32_e64 s2, s6, v0
	s_delay_alu instid0(VALU_DEP_1) | instskip(SKIP_1) | instid1(VALU_DEP_2)
	v_cndmask_b32_e64 v20, v21, v20, s2
	v_subrev_nc_u32_e32 v23, s6, v0
	v_dual_ashrrev_i32 v21, 31, v22 :: v_dual_add_nc_u32 v22, 1, v20
	s_delay_alu instid0(VALU_DEP_2) | instskip(NEXT) | instid1(VALU_DEP_1)
	v_cndmask_b32_e64 v0, v0, v23, s2
	v_cmp_le_u32_e64 s2, s6, v0
	s_delay_alu instid0(VALU_DEP_1) | instskip(NEXT) | instid1(VALU_DEP_1)
	v_dual_cndmask_b32 v0, v20, v22, s2 :: v_dual_bitop2_b32 v21, s7, v21 bitop3:0x14
	v_xor_b32_e32 v0, v0, v21
	s_delay_alu instid0(VALU_DEP_1) | instskip(NEXT) | instid1(VALU_DEP_1)
	v_dual_sub_nc_u32 v20, v0, v21 :: v_dual_mov_b32 v0, v19
	v_cmp_eq_u32_e64 s2, v20, v18
	v_cmp_ne_u32_e64 s3, v20, v18
	s_wait_xcnt 0x0
	s_and_saveexec_b32 s16, s3
	s_delay_alu instid0(SALU_CYCLE_1)
	s_xor_b32 s3, exec_lo, s16
; %bb.11:                               ;   in Loop: Header=BB5_10 Depth=2
	v_min_i32_e32 v17, v20, v17
                                        ; implicit-def: $vgpr0
; %bb.12:                               ;   in Loop: Header=BB5_10 Depth=2
	s_or_saveexec_b32 s3, s3
	v_mov_b32_e32 v19, v16
	s_xor_b32 exec_lo, exec_lo, s3
	s_cbranch_execz .LBB5_9
; %bb.13:                               ;   in Loop: Header=BB5_10 Depth=2
	v_mov_b32_e32 v19, v0
	ds_store_b8 v4, v15 offset:32
	s_branch .LBB5_9
.LBB5_14:                               ;   in Loop: Header=BB5_7 Depth=1
	s_or_b32 exec_lo, exec_lo, s15
.LBB5_15:                               ;   in Loop: Header=BB5_7 Depth=1
	s_delay_alu instid0(SALU_CYCLE_1)
	s_or_b32 exec_lo, exec_lo, s14
	ds_bpermute_b32 v0, v8, v19
	s_wait_dscnt 0x0
	ds_load_u8 v18, v4 offset:32
	v_min_i32_e32 v0, v0, v19
	ds_bpermute_b32 v16, v9, v0
	s_wait_dscnt 0x0
	v_min_i32_e32 v0, v16, v0
	ds_bpermute_b32 v16, v10, v0
	s_wait_dscnt 0x0
	;; [unrolled: 3-line block ×3, first 2 shown]
	v_min_i32_e32 v0, v16, v0
	ds_bpermute_b32 v16, v12, v0
	v_and_b32_e32 v0, 1, v18
	s_delay_alu instid0(VALU_DEP_1) | instskip(SKIP_1) | instid1(SALU_CYCLE_1)
	v_cmp_eq_u32_e64 s2, 1, v0
	s_and_b32 s3, vcc_lo, s2
	s_and_saveexec_b32 s2, s3
	s_cbranch_execz .LBB5_6
; %bb.16:                               ;   in Loop: Header=BB5_7 Depth=1
	ds_load_b32 v0, v3
	s_wait_dscnt 0x0
	v_add_nc_u32_e32 v0, 1, v0
	ds_store_b32 v3, v0
	s_branch .LBB5_6
.LBB5_17:
	s_or_b32 exec_lo, exec_lo, s13
.LBB5_18:
	s_delay_alu instid0(SALU_CYCLE_1)
	s_mov_b32 s2, exec_lo
	v_cmpx_eq_u32_e32 0, v6
	s_cbranch_execz .LBB5_21
; %bb.19:
	s_clause 0x1
	s_load_b32 s5, s[0:1], 0x30
	s_load_b64 s[2:3], s[0:1], 0x38
	v_mov_b32_e32 v0, 0
	v_cmp_gt_u32_e32 vcc_lo, s4, v2
	s_wait_kmcnt 0x0
	v_mov_b32_e32 v1, s5
	global_store_b32 v0, v1, s[2:3]
	s_wait_xcnt 0x0
	s_and_b32 exec_lo, exec_lo, vcc_lo
	s_cbranch_execz .LBB5_21
; %bb.20:
	ds_load_b32 v0, v3
	s_wait_dscnt 0x0
	global_store_b32 v2, v0, s[2:3] offset:4 scale_offset
.LBB5_21:
	s_endpgm
	.section	.rodata,"a",@progbits
	.p2align	6, 0x0
	.amdhsa_kernel _ZN9rocsparseL48csr2gebsr_nnz_wavefront_per_row_multipass_kernelILj256ELj2ELi32EEEviiiiii21rocsparse_index_base_PKiS3_S1_Pi
		.amdhsa_group_segment_fixed_size 40
		.amdhsa_private_segment_fixed_size 0
		.amdhsa_kernarg_size 64
		.amdhsa_user_sgpr_count 2
		.amdhsa_user_sgpr_dispatch_ptr 0
		.amdhsa_user_sgpr_queue_ptr 0
		.amdhsa_user_sgpr_kernarg_segment_ptr 1
		.amdhsa_user_sgpr_dispatch_id 0
		.amdhsa_user_sgpr_kernarg_preload_length 0
		.amdhsa_user_sgpr_kernarg_preload_offset 0
		.amdhsa_user_sgpr_private_segment_size 0
		.amdhsa_wavefront_size32 1
		.amdhsa_uses_dynamic_stack 0
		.amdhsa_enable_private_segment 0
		.amdhsa_system_sgpr_workgroup_id_x 1
		.amdhsa_system_sgpr_workgroup_id_y 0
		.amdhsa_system_sgpr_workgroup_id_z 0
		.amdhsa_system_sgpr_workgroup_info 0
		.amdhsa_system_vgpr_workitem_id 0
		.amdhsa_next_free_vgpr 24
		.amdhsa_next_free_sgpr 17
		.amdhsa_named_barrier_count 0
		.amdhsa_reserve_vcc 1
		.amdhsa_float_round_mode_32 0
		.amdhsa_float_round_mode_16_64 0
		.amdhsa_float_denorm_mode_32 3
		.amdhsa_float_denorm_mode_16_64 3
		.amdhsa_fp16_overflow 0
		.amdhsa_memory_ordered 1
		.amdhsa_forward_progress 1
		.amdhsa_inst_pref_size 10
		.amdhsa_round_robin_scheduling 0
		.amdhsa_exception_fp_ieee_invalid_op 0
		.amdhsa_exception_fp_denorm_src 0
		.amdhsa_exception_fp_ieee_div_zero 0
		.amdhsa_exception_fp_ieee_overflow 0
		.amdhsa_exception_fp_ieee_underflow 0
		.amdhsa_exception_fp_ieee_inexact 0
		.amdhsa_exception_int_div_zero 0
	.end_amdhsa_kernel
	.section	.text._ZN9rocsparseL48csr2gebsr_nnz_wavefront_per_row_multipass_kernelILj256ELj2ELi32EEEviiiiii21rocsparse_index_base_PKiS3_S1_Pi,"axG",@progbits,_ZN9rocsparseL48csr2gebsr_nnz_wavefront_per_row_multipass_kernelILj256ELj2ELi32EEEviiiiii21rocsparse_index_base_PKiS3_S1_Pi,comdat
.Lfunc_end5:
	.size	_ZN9rocsparseL48csr2gebsr_nnz_wavefront_per_row_multipass_kernelILj256ELj2ELi32EEEviiiiii21rocsparse_index_base_PKiS3_S1_Pi, .Lfunc_end5-_ZN9rocsparseL48csr2gebsr_nnz_wavefront_per_row_multipass_kernelILj256ELj2ELi32EEEviiiiii21rocsparse_index_base_PKiS3_S1_Pi
                                        ; -- End function
	.set _ZN9rocsparseL48csr2gebsr_nnz_wavefront_per_row_multipass_kernelILj256ELj2ELi32EEEviiiiii21rocsparse_index_base_PKiS3_S1_Pi.num_vgpr, 24
	.set _ZN9rocsparseL48csr2gebsr_nnz_wavefront_per_row_multipass_kernelILj256ELj2ELi32EEEviiiiii21rocsparse_index_base_PKiS3_S1_Pi.num_agpr, 0
	.set _ZN9rocsparseL48csr2gebsr_nnz_wavefront_per_row_multipass_kernelILj256ELj2ELi32EEEviiiiii21rocsparse_index_base_PKiS3_S1_Pi.numbered_sgpr, 17
	.set _ZN9rocsparseL48csr2gebsr_nnz_wavefront_per_row_multipass_kernelILj256ELj2ELi32EEEviiiiii21rocsparse_index_base_PKiS3_S1_Pi.num_named_barrier, 0
	.set _ZN9rocsparseL48csr2gebsr_nnz_wavefront_per_row_multipass_kernelILj256ELj2ELi32EEEviiiiii21rocsparse_index_base_PKiS3_S1_Pi.private_seg_size, 0
	.set _ZN9rocsparseL48csr2gebsr_nnz_wavefront_per_row_multipass_kernelILj256ELj2ELi32EEEviiiiii21rocsparse_index_base_PKiS3_S1_Pi.uses_vcc, 1
	.set _ZN9rocsparseL48csr2gebsr_nnz_wavefront_per_row_multipass_kernelILj256ELj2ELi32EEEviiiiii21rocsparse_index_base_PKiS3_S1_Pi.uses_flat_scratch, 0
	.set _ZN9rocsparseL48csr2gebsr_nnz_wavefront_per_row_multipass_kernelILj256ELj2ELi32EEEviiiiii21rocsparse_index_base_PKiS3_S1_Pi.has_dyn_sized_stack, 0
	.set _ZN9rocsparseL48csr2gebsr_nnz_wavefront_per_row_multipass_kernelILj256ELj2ELi32EEEviiiiii21rocsparse_index_base_PKiS3_S1_Pi.has_recursion, 0
	.set _ZN9rocsparseL48csr2gebsr_nnz_wavefront_per_row_multipass_kernelILj256ELj2ELi32EEEviiiiii21rocsparse_index_base_PKiS3_S1_Pi.has_indirect_call, 0
	.section	.AMDGPU.csdata,"",@progbits
; Kernel info:
; codeLenInByte = 1212
; TotalNumSgprs: 19
; NumVgprs: 24
; ScratchSize: 0
; MemoryBound: 0
; FloatMode: 240
; IeeeMode: 1
; LDSByteSize: 40 bytes/workgroup (compile time only)
; SGPRBlocks: 0
; VGPRBlocks: 1
; NumSGPRsForWavesPerEU: 19
; NumVGPRsForWavesPerEU: 24
; NamedBarCnt: 0
; Occupancy: 16
; WaveLimiterHint : 0
; COMPUTE_PGM_RSRC2:SCRATCH_EN: 0
; COMPUTE_PGM_RSRC2:USER_SGPR: 2
; COMPUTE_PGM_RSRC2:TRAP_HANDLER: 0
; COMPUTE_PGM_RSRC2:TGID_X_EN: 1
; COMPUTE_PGM_RSRC2:TGID_Y_EN: 0
; COMPUTE_PGM_RSRC2:TGID_Z_EN: 0
; COMPUTE_PGM_RSRC2:TIDIG_COMP_CNT: 0
	.section	.text._ZN9rocsparseL48csr2gebsr_nnz_wavefront_per_row_multipass_kernelILj256ELj2ELi64EEEviiiiii21rocsparse_index_base_PKiS3_S1_Pi,"axG",@progbits,_ZN9rocsparseL48csr2gebsr_nnz_wavefront_per_row_multipass_kernelILj256ELj2ELi64EEEviiiiii21rocsparse_index_base_PKiS3_S1_Pi,comdat
	.globl	_ZN9rocsparseL48csr2gebsr_nnz_wavefront_per_row_multipass_kernelILj256ELj2ELi64EEEviiiiii21rocsparse_index_base_PKiS3_S1_Pi ; -- Begin function _ZN9rocsparseL48csr2gebsr_nnz_wavefront_per_row_multipass_kernelILj256ELj2ELi64EEEviiiiii21rocsparse_index_base_PKiS3_S1_Pi
	.p2align	8
	.type	_ZN9rocsparseL48csr2gebsr_nnz_wavefront_per_row_multipass_kernelILj256ELj2ELi64EEEviiiiii21rocsparse_index_base_PKiS3_S1_Pi,@function
_ZN9rocsparseL48csr2gebsr_nnz_wavefront_per_row_multipass_kernelILj256ELj2ELi64EEEviiiiii21rocsparse_index_base_PKiS3_S1_Pi: ; @_ZN9rocsparseL48csr2gebsr_nnz_wavefront_per_row_multipass_kernelILj256ELj2ELi64EEEviiiiii21rocsparse_index_base_PKiS3_S1_Pi
; %bb.0:
	s_clause 0x1
	s_load_b128 s[4:7], s[0:1], 0x8
	s_load_b32 s2, s[0:1], 0x0
	s_bfe_u32 s3, ttmp6, 0x4000c
	s_and_b32 s8, ttmp6, 15
	s_add_co_i32 s3, s3, 1
	s_getreg_b32 s9, hwreg(HW_REG_IB_STS2, 6, 4)
	s_mul_i32 s3, ttmp9, s3
	v_dual_mov_b32 v5, 0 :: v_dual_lshrrev_b32 v4, 6, v0
	s_add_co_i32 s8, s8, s3
	s_cmp_eq_u32 s9, 0
	v_bfe_u32 v6, v0, 5, 1
	s_cselect_b32 s3, ttmp9, s8
	s_clause 0x1
	s_load_b32 s12, s[0:1], 0x18
	s_load_b64 s[8:9], s[0:1], 0x20
	v_lshl_or_b32 v2, s3, 2, v4
	v_dual_lshlrev_b32 v3, 2, v4 :: v_dual_mov_b32 v17, 0
	ds_store_b32 v3, v5
	s_wait_kmcnt 0x0
	v_mad_u32 v1, v2, s6, v6
	s_wait_dscnt 0x0
	s_barrier_signal -1
	s_barrier_wait -1
	s_delay_alu instid0(VALU_DEP_1) | instskip(SKIP_2) | instid1(SALU_CYCLE_1)
	v_cmp_gt_i32_e32 vcc_lo, s2, v1
	v_cmp_gt_i32_e64 s2, s6, v6
	s_and_b32 s2, s2, vcc_lo
	s_and_saveexec_b32 s3, s2
	s_cbranch_execz .LBB6_2
; %bb.1:
	global_load_b32 v6, v1, s[8:9] scale_offset
	s_wait_loadcnt 0x0
	v_subrev_nc_u32_e32 v17, s12, v6
.LBB6_2:
	s_or_b32 exec_lo, exec_lo, s3
	s_and_saveexec_b32 s3, s2
	s_cbranch_execz .LBB6_4
; %bb.3:
	global_load_b32 v1, v1, s[8:9] offset:4 scale_offset
	s_wait_loadcnt 0x0
	v_subrev_nc_u32_e32 v5, s12, v1
.LBB6_4:
	s_or_b32 exec_lo, exec_lo, s3
	v_and_b32_e32 v6, 63, v0
	s_cmp_lt_i32 s5, 1
	s_delay_alu instid0(VALU_DEP_1)
	v_cmp_eq_u32_e32 vcc_lo, 0, v6
	s_cbranch_scc1 .LBB6_18
; %bb.5:
	v_mbcnt_lo_u32_b32 v1, -1, 0
	v_and_b32_e32 v7, 31, v0
	s_abs_i32 s6, s7
	s_load_b64 s[8:9], s[0:1], 0x28
	s_cvt_f32_u32 s3, s6
	v_xor_b32_e32 v8, 8, v1
	v_xor_b32_e32 v0, 16, v1
	v_bfrev_b32_e32 v15, 0.5
	v_rcp_iflag_f32_e32 v13, s3
	v_mov_b32_e32 v19, 0
	s_mov_b32 s11, 0
	v_cmp_gt_i32_e64 s2, 32, v0
	s_ashr_i32 s7, s7, 31
	s_mov_b32 s13, s11
	v_mov_b32_e32 v16, 1
	v_readfirstlane_b32 s3, v13
	v_dual_cndmask_b32 v0, v1, v0, s2 :: v_dual_bitop2_b32 v9, 4, v1 bitop3:0x14
	v_cmp_gt_i32_e64 s2, 32, v8
	v_mov_b32_e32 v13, 0x7c
	s_mul_f32 s3, s3, 0x4f7ffffe
	v_cndmask_b32_e64 v10, v1, v8, s2
	v_lshlrev_b32_e32 v8, 2, v0
	v_cmp_gt_i32_e64 s2, 32, v9
	v_xor_b32_e32 v0, 1, v1
	s_delay_alu instid0(VALU_DEP_2) | instskip(SKIP_1) | instid1(VALU_DEP_2)
	v_cndmask_b32_e64 v11, v1, v9, s2
	v_dual_lshlrev_b32 v9, 2, v10 :: v_dual_bitop2_b32 v12, 2, v1 bitop3:0x14
	v_lshlrev_b32_e32 v10, 2, v11
	s_delay_alu instid0(VALU_DEP_2) | instskip(NEXT) | instid1(VALU_DEP_1)
	v_cmp_gt_i32_e64 s2, 32, v12
	v_dual_cndmask_b32 v11, v1, v12, s2 :: v_dual_bitop2_b32 v12, 32, v1 bitop3:0x54
	v_cmp_gt_i32_e64 s2, 32, v0
	s_delay_alu instid0(VALU_DEP_1) | instskip(NEXT) | instid1(VALU_DEP_3)
	v_dual_lshlrev_b32 v11, 2, v11 :: v_dual_cndmask_b32 v0, v1, v0, s2
	v_cmp_gt_i32_e64 s2, 32, v12
	s_delay_alu instid0(VALU_DEP_1) | instskip(SKIP_3) | instid1(SALU_CYCLE_1)
	v_cndmask_b32_e64 v1, v1, v12, s2
	s_cvt_u32_f32 s2, s3
	s_sub_co_i32 s3, 0, s6
	v_lshlrev_b32_e32 v12, 2, v0
	s_mul_i32 s3, s3, s2
	v_dual_mov_b32 v1, 0 :: v_dual_lshlrev_b32 v14, 2, v1
	s_mul_hi_u32 s3, s2, s3
	s_delay_alu instid0(SALU_CYCLE_1)
	s_add_co_i32 s10, s2, s3
	s_branch .LBB6_7
.LBB6_6:                                ;   in Loop: Header=BB6_7 Depth=1
	s_or_b32 exec_lo, exec_lo, s2
	ds_bpermute_b32 v0, v14, v18
	s_wait_dscnt 0x0
	v_min_i32_e32 v0, v0, v18
	ds_bpermute_b32 v18, v8, v0
	s_wait_dscnt 0x0
	v_min_i32_e32 v0, v18, v0
	;; [unrolled: 3-line block ×6, first 2 shown]
	ds_bpermute_b32 v19, v15, v0
	s_wait_dscnt 0x0
	v_cmp_le_i32_e64 s2, s5, v19
	s_or_b32 s13, s2, s13
	s_delay_alu instid0(SALU_CYCLE_1)
	s_and_not1_b32 exec_lo, exec_lo, s13
	s_cbranch_execz .LBB6_17
.LBB6_7:                                ; =>This Loop Header: Depth=1
                                        ;     Child Loop BB6_10 Depth 2
	v_dual_mov_b32 v18, s5 :: v_dual_add_nc_u32 v17, v17, v7
	v_mov_b32_e32 v20, v5
	s_mov_b32 s14, exec_lo
	ds_store_b8 v4, v1 offset:16
	s_wait_dscnt 0x0
	v_cmpx_lt_i32_e64 v17, v5
	s_cbranch_execz .LBB6_15
; %bb.8:                                ;   in Loop: Header=BB6_7 Depth=1
	v_dual_mov_b32 v18, s5 :: v_dual_mov_b32 v20, v5
	s_mov_b32 s15, 0
	s_branch .LBB6_10
.LBB6_9:                                ;   in Loop: Header=BB6_10 Depth=2
	s_or_b32 exec_lo, exec_lo, s3
	v_add_nc_u32_e32 v17, 32, v17
	s_xor_b32 s2, s2, -1
	s_delay_alu instid0(VALU_DEP_1) | instskip(SKIP_1) | instid1(SALU_CYCLE_1)
	v_cmp_ge_i32_e64 s3, v17, v5
	s_or_b32 s2, s2, s3
	s_and_b32 s2, exec_lo, s2
	s_delay_alu instid0(SALU_CYCLE_1) | instskip(NEXT) | instid1(SALU_CYCLE_1)
	s_or_b32 s15, s2, s15
	s_and_not1_b32 exec_lo, exec_lo, s15
	s_cbranch_execz .LBB6_14
.LBB6_10:                               ;   Parent Loop BB6_7 Depth=1
                                        ; =>  This Inner Loop Header: Depth=2
	s_wait_kmcnt 0x0
	global_load_b32 v0, v17, s[8:9] scale_offset
	s_wait_loadcnt 0x0
	v_subrev_nc_u32_e32 v21, s12, v0
	s_delay_alu instid0(VALU_DEP_1) | instskip(NEXT) | instid1(VALU_DEP_1)
	v_sub_nc_u32_e32 v0, 0, v21
	v_dual_ashrrev_i32 v21, 31, v21 :: v_dual_max_i32 v0, v21, v0
	s_delay_alu instid0(VALU_DEP_1) | instskip(NEXT) | instid1(VALU_DEP_1)
	v_mul_u64_e32 v[22:23], s[10:11], v[0:1]
	v_mul_lo_u32 v22, v23, s6
	s_delay_alu instid0(VALU_DEP_1) | instskip(NEXT) | instid1(VALU_DEP_1)
	v_dual_sub_nc_u32 v0, v0, v22 :: v_dual_add_nc_u32 v22, 1, v23
	v_subrev_nc_u32_e32 v24, s6, v0
	v_cmp_le_u32_e64 s2, s6, v0
	s_delay_alu instid0(VALU_DEP_1) | instskip(NEXT) | instid1(VALU_DEP_1)
	v_dual_cndmask_b32 v22, v23, v22, s2 :: v_dual_cndmask_b32 v0, v0, v24, s2
	v_add_nc_u32_e32 v23, 1, v22
	s_delay_alu instid0(VALU_DEP_2) | instskip(NEXT) | instid1(VALU_DEP_1)
	v_cmp_le_u32_e64 s2, s6, v0
	v_dual_cndmask_b32 v0, v22, v23, s2 :: v_dual_bitop2_b32 v21, s7, v21 bitop3:0x14
	s_delay_alu instid0(VALU_DEP_1) | instskip(NEXT) | instid1(VALU_DEP_1)
	v_xor_b32_e32 v0, v0, v21
	v_sub_nc_u32_e32 v21, v0, v21
	v_mov_b32_e32 v0, v20
	s_delay_alu instid0(VALU_DEP_2) | instskip(SKIP_3) | instid1(SALU_CYCLE_1)
	v_cmp_eq_u32_e64 s2, v21, v19
	v_cmp_ne_u32_e64 s3, v21, v19
	s_wait_xcnt 0x0
	s_and_saveexec_b32 s16, s3
	s_xor_b32 s3, exec_lo, s16
; %bb.11:                               ;   in Loop: Header=BB6_10 Depth=2
	v_min_i32_e32 v18, v21, v18
                                        ; implicit-def: $vgpr0
; %bb.12:                               ;   in Loop: Header=BB6_10 Depth=2
	s_or_saveexec_b32 s3, s3
	v_mov_b32_e32 v20, v17
	s_xor_b32 exec_lo, exec_lo, s3
	s_cbranch_execz .LBB6_9
; %bb.13:                               ;   in Loop: Header=BB6_10 Depth=2
	v_mov_b32_e32 v20, v0
	ds_store_b8 v4, v16 offset:16
	s_branch .LBB6_9
.LBB6_14:                               ;   in Loop: Header=BB6_7 Depth=1
	s_or_b32 exec_lo, exec_lo, s15
.LBB6_15:                               ;   in Loop: Header=BB6_7 Depth=1
	s_delay_alu instid0(SALU_CYCLE_1)
	s_or_b32 exec_lo, exec_lo, s14
	ds_bpermute_b32 v0, v8, v20
	s_wait_dscnt 0x0
	ds_load_u8 v19, v4 offset:16
	v_min_i32_e32 v0, v0, v20
	ds_bpermute_b32 v17, v9, v0
	s_wait_dscnt 0x0
	v_min_i32_e32 v0, v17, v0
	ds_bpermute_b32 v17, v10, v0
	s_wait_dscnt 0x0
	;; [unrolled: 3-line block ×4, first 2 shown]
	v_min_i32_e32 v0, v17, v0
	ds_bpermute_b32 v17, v13, v0
	v_and_b32_e32 v0, 1, v19
	s_delay_alu instid0(VALU_DEP_1) | instskip(SKIP_1) | instid1(SALU_CYCLE_1)
	v_cmp_eq_u32_e64 s2, 1, v0
	s_and_b32 s3, vcc_lo, s2
	s_and_saveexec_b32 s2, s3
	s_cbranch_execz .LBB6_6
; %bb.16:                               ;   in Loop: Header=BB6_7 Depth=1
	ds_load_b32 v0, v3
	s_wait_dscnt 0x0
	v_add_nc_u32_e32 v0, 1, v0
	ds_store_b32 v3, v0
	s_branch .LBB6_6
.LBB6_17:
	s_or_b32 exec_lo, exec_lo, s13
.LBB6_18:
	s_delay_alu instid0(SALU_CYCLE_1)
	s_mov_b32 s2, exec_lo
	v_cmpx_eq_u32_e32 0, v6
	s_cbranch_execz .LBB6_21
; %bb.19:
	s_clause 0x1
	s_load_b32 s5, s[0:1], 0x30
	s_load_b64 s[2:3], s[0:1], 0x38
	v_mov_b32_e32 v0, 0
	v_cmp_gt_u32_e32 vcc_lo, s4, v2
	s_wait_kmcnt 0x0
	v_mov_b32_e32 v1, s5
	global_store_b32 v0, v1, s[2:3]
	s_wait_xcnt 0x0
	s_and_b32 exec_lo, exec_lo, vcc_lo
	s_cbranch_execz .LBB6_21
; %bb.20:
	ds_load_b32 v0, v3
	s_wait_dscnt 0x0
	global_store_b32 v2, v0, s[2:3] offset:4 scale_offset
.LBB6_21:
	s_endpgm
	.section	.rodata,"a",@progbits
	.p2align	6, 0x0
	.amdhsa_kernel _ZN9rocsparseL48csr2gebsr_nnz_wavefront_per_row_multipass_kernelILj256ELj2ELi64EEEviiiiii21rocsparse_index_base_PKiS3_S1_Pi
		.amdhsa_group_segment_fixed_size 20
		.amdhsa_private_segment_fixed_size 0
		.amdhsa_kernarg_size 64
		.amdhsa_user_sgpr_count 2
		.amdhsa_user_sgpr_dispatch_ptr 0
		.amdhsa_user_sgpr_queue_ptr 0
		.amdhsa_user_sgpr_kernarg_segment_ptr 1
		.amdhsa_user_sgpr_dispatch_id 0
		.amdhsa_user_sgpr_kernarg_preload_length 0
		.amdhsa_user_sgpr_kernarg_preload_offset 0
		.amdhsa_user_sgpr_private_segment_size 0
		.amdhsa_wavefront_size32 1
		.amdhsa_uses_dynamic_stack 0
		.amdhsa_enable_private_segment 0
		.amdhsa_system_sgpr_workgroup_id_x 1
		.amdhsa_system_sgpr_workgroup_id_y 0
		.amdhsa_system_sgpr_workgroup_id_z 0
		.amdhsa_system_sgpr_workgroup_info 0
		.amdhsa_system_vgpr_workitem_id 0
		.amdhsa_next_free_vgpr 25
		.amdhsa_next_free_sgpr 17
		.amdhsa_named_barrier_count 0
		.amdhsa_reserve_vcc 1
		.amdhsa_float_round_mode_32 0
		.amdhsa_float_round_mode_16_64 0
		.amdhsa_float_denorm_mode_32 3
		.amdhsa_float_denorm_mode_16_64 3
		.amdhsa_fp16_overflow 0
		.amdhsa_memory_ordered 1
		.amdhsa_forward_progress 1
		.amdhsa_inst_pref_size 10
		.amdhsa_round_robin_scheduling 0
		.amdhsa_exception_fp_ieee_invalid_op 0
		.amdhsa_exception_fp_denorm_src 0
		.amdhsa_exception_fp_ieee_div_zero 0
		.amdhsa_exception_fp_ieee_overflow 0
		.amdhsa_exception_fp_ieee_underflow 0
		.amdhsa_exception_fp_ieee_inexact 0
		.amdhsa_exception_int_div_zero 0
	.end_amdhsa_kernel
	.section	.text._ZN9rocsparseL48csr2gebsr_nnz_wavefront_per_row_multipass_kernelILj256ELj2ELi64EEEviiiiii21rocsparse_index_base_PKiS3_S1_Pi,"axG",@progbits,_ZN9rocsparseL48csr2gebsr_nnz_wavefront_per_row_multipass_kernelILj256ELj2ELi64EEEviiiiii21rocsparse_index_base_PKiS3_S1_Pi,comdat
.Lfunc_end6:
	.size	_ZN9rocsparseL48csr2gebsr_nnz_wavefront_per_row_multipass_kernelILj256ELj2ELi64EEEviiiiii21rocsparse_index_base_PKiS3_S1_Pi, .Lfunc_end6-_ZN9rocsparseL48csr2gebsr_nnz_wavefront_per_row_multipass_kernelILj256ELj2ELi64EEEviiiiii21rocsparse_index_base_PKiS3_S1_Pi
                                        ; -- End function
	.set _ZN9rocsparseL48csr2gebsr_nnz_wavefront_per_row_multipass_kernelILj256ELj2ELi64EEEviiiiii21rocsparse_index_base_PKiS3_S1_Pi.num_vgpr, 25
	.set _ZN9rocsparseL48csr2gebsr_nnz_wavefront_per_row_multipass_kernelILj256ELj2ELi64EEEviiiiii21rocsparse_index_base_PKiS3_S1_Pi.num_agpr, 0
	.set _ZN9rocsparseL48csr2gebsr_nnz_wavefront_per_row_multipass_kernelILj256ELj2ELi64EEEviiiiii21rocsparse_index_base_PKiS3_S1_Pi.numbered_sgpr, 17
	.set _ZN9rocsparseL48csr2gebsr_nnz_wavefront_per_row_multipass_kernelILj256ELj2ELi64EEEviiiiii21rocsparse_index_base_PKiS3_S1_Pi.num_named_barrier, 0
	.set _ZN9rocsparseL48csr2gebsr_nnz_wavefront_per_row_multipass_kernelILj256ELj2ELi64EEEviiiiii21rocsparse_index_base_PKiS3_S1_Pi.private_seg_size, 0
	.set _ZN9rocsparseL48csr2gebsr_nnz_wavefront_per_row_multipass_kernelILj256ELj2ELi64EEEviiiiii21rocsparse_index_base_PKiS3_S1_Pi.uses_vcc, 1
	.set _ZN9rocsparseL48csr2gebsr_nnz_wavefront_per_row_multipass_kernelILj256ELj2ELi64EEEviiiiii21rocsparse_index_base_PKiS3_S1_Pi.uses_flat_scratch, 0
	.set _ZN9rocsparseL48csr2gebsr_nnz_wavefront_per_row_multipass_kernelILj256ELj2ELi64EEEviiiiii21rocsparse_index_base_PKiS3_S1_Pi.has_dyn_sized_stack, 0
	.set _ZN9rocsparseL48csr2gebsr_nnz_wavefront_per_row_multipass_kernelILj256ELj2ELi64EEEviiiiii21rocsparse_index_base_PKiS3_S1_Pi.has_recursion, 0
	.set _ZN9rocsparseL48csr2gebsr_nnz_wavefront_per_row_multipass_kernelILj256ELj2ELi64EEEviiiiii21rocsparse_index_base_PKiS3_S1_Pi.has_indirect_call, 0
	.section	.AMDGPU.csdata,"",@progbits
; Kernel info:
; codeLenInByte = 1252
; TotalNumSgprs: 19
; NumVgprs: 25
; ScratchSize: 0
; MemoryBound: 0
; FloatMode: 240
; IeeeMode: 1
; LDSByteSize: 20 bytes/workgroup (compile time only)
; SGPRBlocks: 0
; VGPRBlocks: 1
; NumSGPRsForWavesPerEU: 19
; NumVGPRsForWavesPerEU: 25
; NamedBarCnt: 0
; Occupancy: 16
; WaveLimiterHint : 0
; COMPUTE_PGM_RSRC2:SCRATCH_EN: 0
; COMPUTE_PGM_RSRC2:USER_SGPR: 2
; COMPUTE_PGM_RSRC2:TRAP_HANDLER: 0
; COMPUTE_PGM_RSRC2:TGID_X_EN: 1
; COMPUTE_PGM_RSRC2:TGID_Y_EN: 0
; COMPUTE_PGM_RSRC2:TGID_Z_EN: 0
; COMPUTE_PGM_RSRC2:TIDIG_COMP_CNT: 0
	.section	.text._ZN9rocsparseL48csr2gebsr_nnz_wavefront_per_row_multipass_kernelILj256ELj4ELi8EEEviiiiii21rocsparse_index_base_PKiS3_S1_Pi,"axG",@progbits,_ZN9rocsparseL48csr2gebsr_nnz_wavefront_per_row_multipass_kernelILj256ELj4ELi8EEEviiiiii21rocsparse_index_base_PKiS3_S1_Pi,comdat
	.globl	_ZN9rocsparseL48csr2gebsr_nnz_wavefront_per_row_multipass_kernelILj256ELj4ELi8EEEviiiiii21rocsparse_index_base_PKiS3_S1_Pi ; -- Begin function _ZN9rocsparseL48csr2gebsr_nnz_wavefront_per_row_multipass_kernelILj256ELj4ELi8EEEviiiiii21rocsparse_index_base_PKiS3_S1_Pi
	.p2align	8
	.type	_ZN9rocsparseL48csr2gebsr_nnz_wavefront_per_row_multipass_kernelILj256ELj4ELi8EEEviiiiii21rocsparse_index_base_PKiS3_S1_Pi,@function
_ZN9rocsparseL48csr2gebsr_nnz_wavefront_per_row_multipass_kernelILj256ELj4ELi8EEEviiiiii21rocsparse_index_base_PKiS3_S1_Pi: ; @_ZN9rocsparseL48csr2gebsr_nnz_wavefront_per_row_multipass_kernelILj256ELj4ELi8EEEviiiiii21rocsparse_index_base_PKiS3_S1_Pi
; %bb.0:
	s_clause 0x1
	s_load_b128 s[4:7], s[0:1], 0x8
	s_load_b32 s2, s[0:1], 0x0
	s_bfe_u32 s3, ttmp6, 0x4000c
	s_and_b32 s8, ttmp6, 15
	s_add_co_i32 s3, s3, 1
	s_getreg_b32 s9, hwreg(HW_REG_IB_STS2, 6, 4)
	s_mul_i32 s3, ttmp9, s3
	v_dual_mov_b32 v5, 0 :: v_dual_lshrrev_b32 v4, 3, v0
	s_add_co_i32 s8, s8, s3
	s_cmp_eq_u32 s9, 0
	v_bfe_u32 v6, v0, 1, 2
	s_cselect_b32 s3, ttmp9, s8
	s_clause 0x1
	s_load_b32 s12, s[0:1], 0x18
	s_load_b64 s[8:9], s[0:1], 0x20
	v_lshl_or_b32 v2, s3, 5, v4
	v_dual_mov_b32 v14, 0 :: v_dual_lshlrev_b32 v3, 2, v4
	ds_store_b32 v3, v5
	s_wait_kmcnt 0x0
	v_mad_u32 v1, v2, s6, v6
	s_wait_dscnt 0x0
	s_barrier_signal -1
	s_barrier_wait -1
	s_delay_alu instid0(VALU_DEP_1) | instskip(SKIP_2) | instid1(SALU_CYCLE_1)
	v_cmp_gt_i32_e32 vcc_lo, s2, v1
	v_cmp_gt_i32_e64 s2, s6, v6
	s_and_b32 s2, s2, vcc_lo
	s_and_saveexec_b32 s3, s2
	s_cbranch_execz .LBB7_2
; %bb.1:
	global_load_b32 v6, v1, s[8:9] scale_offset
	s_wait_loadcnt 0x0
	v_subrev_nc_u32_e32 v14, s12, v6
.LBB7_2:
	s_or_b32 exec_lo, exec_lo, s3
	s_and_saveexec_b32 s3, s2
	s_cbranch_execz .LBB7_4
; %bb.3:
	global_load_b32 v1, v1, s[8:9] offset:4 scale_offset
	s_wait_loadcnt 0x0
	v_subrev_nc_u32_e32 v5, s12, v1
.LBB7_4:
	s_or_b32 exec_lo, exec_lo, s3
	v_and_b32_e32 v6, 7, v0
	s_cmp_lt_i32 s5, 1
	s_delay_alu instid0(VALU_DEP_1)
	v_cmp_eq_u32_e32 vcc_lo, 0, v6
	s_cbranch_scc1 .LBB7_18
; %bb.5:
	v_dual_mov_b32 v1, 0 :: v_dual_bitop2_b32 v7, 1, v0 bitop3:0x40
	v_mbcnt_lo_u32_b32 v0, -1, 0
	s_abs_i32 s6, s7
	s_load_b64 s[8:9], s[0:1], 0x28
	s_cvt_f32_u32 s2, s6
	s_sub_co_i32 s3, 0, s6
	v_dual_lshlrev_b32 v10, 2, v0 :: v_dual_bitop2_b32 v9, 1, v0 bitop3:0x14
	s_delay_alu instid0(SALU_CYCLE_1) | instskip(SKIP_2) | instid1(VALU_DEP_1)
	v_rcp_iflag_f32_e32 v8, s2
	s_mov_b32 s11, 0
	s_ashr_i32 s7, s7, 31
	v_cmp_gt_i32_e64 s2, 32, v9
	v_xor_b32_e32 v11, 4, v0
	s_mov_b32 s13, s11
	v_mov_b32_e32 v16, 0
	v_readfirstlane_b32 s10, v8
	v_cndmask_b32_e64 v13, v0, v9, s2
	v_cmp_gt_i32_e64 s2, 32, v11
	v_xor_b32_e32 v12, 2, v0
	v_or_b32_e32 v9, 28, v10
	s_mul_f32 s10, s10, 0x4f7ffffe
	v_cndmask_b32_e64 v11, v0, v11, s2
	s_delay_alu instid0(VALU_DEP_3) | instskip(SKIP_1) | instid1(VALU_DEP_2)
	v_cmp_gt_i32_e64 s2, 32, v12
	v_dual_lshlrev_b32 v10, 2, v13 :: v_dual_bitop2_b32 v8, 4, v10 bitop3:0x54
	v_dual_mov_b32 v13, 1 :: v_dual_cndmask_b32 v0, v0, v12, s2
	s_cvt_u32_f32 s2, s10
	s_delay_alu instid0(VALU_DEP_1) | instskip(NEXT) | instid1(SALU_CYCLE_2)
	v_dual_lshlrev_b32 v11, 2, v11 :: v_dual_lshlrev_b32 v12, 2, v0
	s_mul_i32 s3, s3, s2
	s_delay_alu instid0(SALU_CYCLE_1) | instskip(NEXT) | instid1(SALU_CYCLE_1)
	s_mul_hi_u32 s3, s2, s3
	s_add_co_i32 s10, s2, s3
	s_branch .LBB7_7
.LBB7_6:                                ;   in Loop: Header=BB7_7 Depth=1
	s_or_b32 exec_lo, exec_lo, s2
	ds_bpermute_b32 v0, v11, v15
	s_wait_dscnt 0x0
	v_min_i32_e32 v0, v0, v15
	ds_bpermute_b32 v15, v12, v0
	s_wait_dscnt 0x0
	v_min_i32_e32 v0, v15, v0
	;; [unrolled: 3-line block ×3, first 2 shown]
	ds_bpermute_b32 v16, v9, v0
	s_wait_dscnt 0x0
	v_cmp_le_i32_e64 s2, s5, v16
	s_or_b32 s13, s2, s13
	s_delay_alu instid0(SALU_CYCLE_1)
	s_and_not1_b32 exec_lo, exec_lo, s13
	s_cbranch_execz .LBB7_17
.LBB7_7:                                ; =>This Loop Header: Depth=1
                                        ;     Child Loop BB7_10 Depth 2
	v_dual_mov_b32 v15, s5 :: v_dual_add_nc_u32 v14, v14, v7
	v_mov_b32_e32 v17, v5
	s_mov_b32 s14, exec_lo
	ds_store_b8 v4, v1 offset:128
	s_wait_dscnt 0x0
	v_cmpx_lt_i32_e64 v14, v5
	s_cbranch_execz .LBB7_15
; %bb.8:                                ;   in Loop: Header=BB7_7 Depth=1
	v_dual_mov_b32 v15, s5 :: v_dual_mov_b32 v17, v5
	s_mov_b32 s15, 0
	s_branch .LBB7_10
.LBB7_9:                                ;   in Loop: Header=BB7_10 Depth=2
	s_or_b32 exec_lo, exec_lo, s3
	v_add_nc_u32_e32 v14, 2, v14
	s_xor_b32 s2, s2, -1
	s_delay_alu instid0(VALU_DEP_1) | instskip(SKIP_1) | instid1(SALU_CYCLE_1)
	v_cmp_ge_i32_e64 s3, v14, v5
	s_or_b32 s2, s2, s3
	s_and_b32 s2, exec_lo, s2
	s_delay_alu instid0(SALU_CYCLE_1) | instskip(NEXT) | instid1(SALU_CYCLE_1)
	s_or_b32 s15, s2, s15
	s_and_not1_b32 exec_lo, exec_lo, s15
	s_cbranch_execz .LBB7_14
.LBB7_10:                               ;   Parent Loop BB7_7 Depth=1
                                        ; =>  This Inner Loop Header: Depth=2
	s_wait_kmcnt 0x0
	global_load_b32 v0, v14, s[8:9] scale_offset
	s_wait_loadcnt 0x0
	v_subrev_nc_u32_e32 v20, s12, v0
	s_delay_alu instid0(VALU_DEP_1) | instskip(NEXT) | instid1(VALU_DEP_1)
	v_sub_nc_u32_e32 v0, 0, v20
	v_max_i32_e32 v0, v20, v0
	s_delay_alu instid0(VALU_DEP_1) | instskip(NEXT) | instid1(VALU_DEP_1)
	v_mul_u64_e32 v[18:19], s[10:11], v[0:1]
	v_mul_lo_u32 v18, v19, s6
	s_delay_alu instid0(VALU_DEP_1) | instskip(NEXT) | instid1(VALU_DEP_1)
	v_dual_sub_nc_u32 v0, v0, v18 :: v_dual_add_nc_u32 v18, 1, v19
	v_cmp_le_u32_e64 s2, s6, v0
	s_delay_alu instid0(VALU_DEP_1) | instskip(SKIP_1) | instid1(VALU_DEP_1)
	v_dual_cndmask_b32 v18, v19, v18, s2 :: v_dual_ashrrev_i32 v19, 31, v20
	v_subrev_nc_u32_e32 v21, s6, v0
	v_dual_add_nc_u32 v20, 1, v18 :: v_dual_cndmask_b32 v0, v0, v21, s2
	s_delay_alu instid0(VALU_DEP_1) | instskip(NEXT) | instid1(VALU_DEP_1)
	v_cmp_le_u32_e64 s2, s6, v0
	v_dual_cndmask_b32 v0, v18, v20, s2 :: v_dual_bitop2_b32 v19, s7, v19 bitop3:0x14
	s_delay_alu instid0(VALU_DEP_1) | instskip(NEXT) | instid1(VALU_DEP_1)
	v_xor_b32_e32 v0, v0, v19
	v_dual_sub_nc_u32 v18, v0, v19 :: v_dual_mov_b32 v0, v17
	s_delay_alu instid0(VALU_DEP_1) | instskip(SKIP_3) | instid1(SALU_CYCLE_1)
	v_cmp_eq_u32_e64 s2, v18, v16
	v_cmp_ne_u32_e64 s3, v18, v16
	s_wait_xcnt 0x0
	s_and_saveexec_b32 s16, s3
	s_xor_b32 s3, exec_lo, s16
; %bb.11:                               ;   in Loop: Header=BB7_10 Depth=2
	v_min_i32_e32 v15, v18, v15
                                        ; implicit-def: $vgpr0
; %bb.12:                               ;   in Loop: Header=BB7_10 Depth=2
	s_or_saveexec_b32 s3, s3
	v_mov_b32_e32 v17, v14
	s_xor_b32 exec_lo, exec_lo, s3
	s_cbranch_execz .LBB7_9
; %bb.13:                               ;   in Loop: Header=BB7_10 Depth=2
	v_mov_b32_e32 v17, v0
	ds_store_b8 v4, v13 offset:128
	s_branch .LBB7_9
.LBB7_14:                               ;   in Loop: Header=BB7_7 Depth=1
	s_or_b32 exec_lo, exec_lo, s15
.LBB7_15:                               ;   in Loop: Header=BB7_7 Depth=1
	s_delay_alu instid0(SALU_CYCLE_1)
	s_or_b32 exec_lo, exec_lo, s14
	ds_bpermute_b32 v0, v10, v17
	s_wait_dscnt 0x0
	ds_load_u8 v16, v4 offset:128
	v_min_i32_e32 v0, v0, v17
	ds_bpermute_b32 v14, v8, v0
	s_wait_dscnt 0x1
	v_and_b32_e32 v0, 1, v16
	s_delay_alu instid0(VALU_DEP_1) | instskip(SKIP_1) | instid1(SALU_CYCLE_1)
	v_cmp_eq_u32_e64 s2, 1, v0
	s_and_b32 s3, vcc_lo, s2
	s_and_saveexec_b32 s2, s3
	s_cbranch_execz .LBB7_6
; %bb.16:                               ;   in Loop: Header=BB7_7 Depth=1
	ds_load_b32 v0, v3
	s_wait_dscnt 0x0
	v_add_nc_u32_e32 v0, 1, v0
	ds_store_b32 v3, v0
	s_branch .LBB7_6
.LBB7_17:
	s_or_b32 exec_lo, exec_lo, s13
.LBB7_18:
	s_delay_alu instid0(SALU_CYCLE_1)
	s_mov_b32 s2, exec_lo
	v_cmpx_eq_u32_e32 0, v6
	s_cbranch_execz .LBB7_21
; %bb.19:
	s_clause 0x1
	s_load_b32 s5, s[0:1], 0x30
	s_load_b64 s[2:3], s[0:1], 0x38
	v_mov_b32_e32 v0, 0
	v_cmp_gt_u32_e32 vcc_lo, s4, v2
	s_wait_kmcnt 0x0
	v_mov_b32_e32 v1, s5
	global_store_b32 v0, v1, s[2:3]
	s_wait_xcnt 0x0
	s_and_b32 exec_lo, exec_lo, vcc_lo
	s_cbranch_execz .LBB7_21
; %bb.20:
	ds_load_b32 v0, v3
	s_wait_dscnt 0x0
	global_store_b32 v2, v0, s[2:3] offset:4 scale_offset
.LBB7_21:
	s_endpgm
	.section	.rodata,"a",@progbits
	.p2align	6, 0x0
	.amdhsa_kernel _ZN9rocsparseL48csr2gebsr_nnz_wavefront_per_row_multipass_kernelILj256ELj4ELi8EEEviiiiii21rocsparse_index_base_PKiS3_S1_Pi
		.amdhsa_group_segment_fixed_size 160
		.amdhsa_private_segment_fixed_size 0
		.amdhsa_kernarg_size 64
		.amdhsa_user_sgpr_count 2
		.amdhsa_user_sgpr_dispatch_ptr 0
		.amdhsa_user_sgpr_queue_ptr 0
		.amdhsa_user_sgpr_kernarg_segment_ptr 1
		.amdhsa_user_sgpr_dispatch_id 0
		.amdhsa_user_sgpr_kernarg_preload_length 0
		.amdhsa_user_sgpr_kernarg_preload_offset 0
		.amdhsa_user_sgpr_private_segment_size 0
		.amdhsa_wavefront_size32 1
		.amdhsa_uses_dynamic_stack 0
		.amdhsa_enable_private_segment 0
		.amdhsa_system_sgpr_workgroup_id_x 1
		.amdhsa_system_sgpr_workgroup_id_y 0
		.amdhsa_system_sgpr_workgroup_id_z 0
		.amdhsa_system_sgpr_workgroup_info 0
		.amdhsa_system_vgpr_workitem_id 0
		.amdhsa_next_free_vgpr 22
		.amdhsa_next_free_sgpr 17
		.amdhsa_named_barrier_count 0
		.amdhsa_reserve_vcc 1
		.amdhsa_float_round_mode_32 0
		.amdhsa_float_round_mode_16_64 0
		.amdhsa_float_denorm_mode_32 3
		.amdhsa_float_denorm_mode_16_64 3
		.amdhsa_fp16_overflow 0
		.amdhsa_memory_ordered 1
		.amdhsa_forward_progress 1
		.amdhsa_inst_pref_size 9
		.amdhsa_round_robin_scheduling 0
		.amdhsa_exception_fp_ieee_invalid_op 0
		.amdhsa_exception_fp_denorm_src 0
		.amdhsa_exception_fp_ieee_div_zero 0
		.amdhsa_exception_fp_ieee_overflow 0
		.amdhsa_exception_fp_ieee_underflow 0
		.amdhsa_exception_fp_ieee_inexact 0
		.amdhsa_exception_int_div_zero 0
	.end_amdhsa_kernel
	.section	.text._ZN9rocsparseL48csr2gebsr_nnz_wavefront_per_row_multipass_kernelILj256ELj4ELi8EEEviiiiii21rocsparse_index_base_PKiS3_S1_Pi,"axG",@progbits,_ZN9rocsparseL48csr2gebsr_nnz_wavefront_per_row_multipass_kernelILj256ELj4ELi8EEEviiiiii21rocsparse_index_base_PKiS3_S1_Pi,comdat
.Lfunc_end7:
	.size	_ZN9rocsparseL48csr2gebsr_nnz_wavefront_per_row_multipass_kernelILj256ELj4ELi8EEEviiiiii21rocsparse_index_base_PKiS3_S1_Pi, .Lfunc_end7-_ZN9rocsparseL48csr2gebsr_nnz_wavefront_per_row_multipass_kernelILj256ELj4ELi8EEEviiiiii21rocsparse_index_base_PKiS3_S1_Pi
                                        ; -- End function
	.set _ZN9rocsparseL48csr2gebsr_nnz_wavefront_per_row_multipass_kernelILj256ELj4ELi8EEEviiiiii21rocsparse_index_base_PKiS3_S1_Pi.num_vgpr, 22
	.set _ZN9rocsparseL48csr2gebsr_nnz_wavefront_per_row_multipass_kernelILj256ELj4ELi8EEEviiiiii21rocsparse_index_base_PKiS3_S1_Pi.num_agpr, 0
	.set _ZN9rocsparseL48csr2gebsr_nnz_wavefront_per_row_multipass_kernelILj256ELj4ELi8EEEviiiiii21rocsparse_index_base_PKiS3_S1_Pi.numbered_sgpr, 17
	.set _ZN9rocsparseL48csr2gebsr_nnz_wavefront_per_row_multipass_kernelILj256ELj4ELi8EEEviiiiii21rocsparse_index_base_PKiS3_S1_Pi.num_named_barrier, 0
	.set _ZN9rocsparseL48csr2gebsr_nnz_wavefront_per_row_multipass_kernelILj256ELj4ELi8EEEviiiiii21rocsparse_index_base_PKiS3_S1_Pi.private_seg_size, 0
	.set _ZN9rocsparseL48csr2gebsr_nnz_wavefront_per_row_multipass_kernelILj256ELj4ELi8EEEviiiiii21rocsparse_index_base_PKiS3_S1_Pi.uses_vcc, 1
	.set _ZN9rocsparseL48csr2gebsr_nnz_wavefront_per_row_multipass_kernelILj256ELj4ELi8EEEviiiiii21rocsparse_index_base_PKiS3_S1_Pi.uses_flat_scratch, 0
	.set _ZN9rocsparseL48csr2gebsr_nnz_wavefront_per_row_multipass_kernelILj256ELj4ELi8EEEviiiiii21rocsparse_index_base_PKiS3_S1_Pi.has_dyn_sized_stack, 0
	.set _ZN9rocsparseL48csr2gebsr_nnz_wavefront_per_row_multipass_kernelILj256ELj4ELi8EEEviiiiii21rocsparse_index_base_PKiS3_S1_Pi.has_recursion, 0
	.set _ZN9rocsparseL48csr2gebsr_nnz_wavefront_per_row_multipass_kernelILj256ELj4ELi8EEEviiiiii21rocsparse_index_base_PKiS3_S1_Pi.has_indirect_call, 0
	.section	.AMDGPU.csdata,"",@progbits
; Kernel info:
; codeLenInByte = 1080
; TotalNumSgprs: 19
; NumVgprs: 22
; ScratchSize: 0
; MemoryBound: 0
; FloatMode: 240
; IeeeMode: 1
; LDSByteSize: 160 bytes/workgroup (compile time only)
; SGPRBlocks: 0
; VGPRBlocks: 1
; NumSGPRsForWavesPerEU: 19
; NumVGPRsForWavesPerEU: 22
; NamedBarCnt: 0
; Occupancy: 16
; WaveLimiterHint : 0
; COMPUTE_PGM_RSRC2:SCRATCH_EN: 0
; COMPUTE_PGM_RSRC2:USER_SGPR: 2
; COMPUTE_PGM_RSRC2:TRAP_HANDLER: 0
; COMPUTE_PGM_RSRC2:TGID_X_EN: 1
; COMPUTE_PGM_RSRC2:TGID_Y_EN: 0
; COMPUTE_PGM_RSRC2:TGID_Z_EN: 0
; COMPUTE_PGM_RSRC2:TIDIG_COMP_CNT: 0
	.section	.text._ZN9rocsparseL48csr2gebsr_nnz_wavefront_per_row_multipass_kernelILj256ELj4ELi16EEEviiiiii21rocsparse_index_base_PKiS3_S1_Pi,"axG",@progbits,_ZN9rocsparseL48csr2gebsr_nnz_wavefront_per_row_multipass_kernelILj256ELj4ELi16EEEviiiiii21rocsparse_index_base_PKiS3_S1_Pi,comdat
	.globl	_ZN9rocsparseL48csr2gebsr_nnz_wavefront_per_row_multipass_kernelILj256ELj4ELi16EEEviiiiii21rocsparse_index_base_PKiS3_S1_Pi ; -- Begin function _ZN9rocsparseL48csr2gebsr_nnz_wavefront_per_row_multipass_kernelILj256ELj4ELi16EEEviiiiii21rocsparse_index_base_PKiS3_S1_Pi
	.p2align	8
	.type	_ZN9rocsparseL48csr2gebsr_nnz_wavefront_per_row_multipass_kernelILj256ELj4ELi16EEEviiiiii21rocsparse_index_base_PKiS3_S1_Pi,@function
_ZN9rocsparseL48csr2gebsr_nnz_wavefront_per_row_multipass_kernelILj256ELj4ELi16EEEviiiiii21rocsparse_index_base_PKiS3_S1_Pi: ; @_ZN9rocsparseL48csr2gebsr_nnz_wavefront_per_row_multipass_kernelILj256ELj4ELi16EEEviiiiii21rocsparse_index_base_PKiS3_S1_Pi
; %bb.0:
	s_clause 0x1
	s_load_b128 s[4:7], s[0:1], 0x8
	s_load_b32 s2, s[0:1], 0x0
	s_bfe_u32 s3, ttmp6, 0x4000c
	s_and_b32 s8, ttmp6, 15
	s_add_co_i32 s3, s3, 1
	s_getreg_b32 s9, hwreg(HW_REG_IB_STS2, 6, 4)
	s_mul_i32 s3, ttmp9, s3
	v_dual_mov_b32 v5, 0 :: v_dual_lshrrev_b32 v4, 4, v0
	s_add_co_i32 s8, s8, s3
	s_cmp_eq_u32 s9, 0
	v_bfe_u32 v6, v0, 2, 2
	s_cselect_b32 s3, ttmp9, s8
	s_clause 0x1
	s_load_b32 s12, s[0:1], 0x18
	s_load_b64 s[8:9], s[0:1], 0x20
	v_lshl_or_b32 v2, s3, 4, v4
	v_dual_lshlrev_b32 v3, 2, v4 :: v_dual_mov_b32 v15, 0
	ds_store_b32 v3, v5
	s_wait_kmcnt 0x0
	v_mad_u32 v1, v2, s6, v6
	s_wait_dscnt 0x0
	s_barrier_signal -1
	s_barrier_wait -1
	s_delay_alu instid0(VALU_DEP_1) | instskip(SKIP_2) | instid1(SALU_CYCLE_1)
	v_cmp_gt_i32_e32 vcc_lo, s2, v1
	v_cmp_gt_i32_e64 s2, s6, v6
	s_and_b32 s2, s2, vcc_lo
	s_and_saveexec_b32 s3, s2
	s_cbranch_execz .LBB8_2
; %bb.1:
	global_load_b32 v6, v1, s[8:9] scale_offset
	s_wait_loadcnt 0x0
	v_subrev_nc_u32_e32 v15, s12, v6
.LBB8_2:
	s_or_b32 exec_lo, exec_lo, s3
	s_and_saveexec_b32 s3, s2
	s_cbranch_execz .LBB8_4
; %bb.3:
	global_load_b32 v1, v1, s[8:9] offset:4 scale_offset
	s_wait_loadcnt 0x0
	v_subrev_nc_u32_e32 v5, s12, v1
.LBB8_4:
	s_or_b32 exec_lo, exec_lo, s3
	v_and_b32_e32 v6, 15, v0
	s_cmp_lt_i32 s5, 1
	s_delay_alu instid0(VALU_DEP_1)
	v_cmp_eq_u32_e32 vcc_lo, 0, v6
	s_cbranch_scc1 .LBB8_18
; %bb.5:
	v_mbcnt_lo_u32_b32 v1, -1, 0
	s_abs_i32 s6, s7
	s_load_b64 s[8:9], s[0:1], 0x28
	s_cvt_f32_u32 s2, s6
	s_delay_alu instid0(VALU_DEP_1) | instskip(SKIP_1) | instid1(SALU_CYCLE_1)
	v_dual_mov_b32 v17, 0 :: v_dual_bitop2_b32 v8, 1, v1 bitop3:0x14
	v_xor_b32_e32 v7, 2, v1
	v_rcp_iflag_f32_e32 v10, s2
	s_mov_b32 s11, 0
	s_ashr_i32 s7, s7, 31
	s_mov_b32 s13, s11
	v_cmp_gt_i32_e64 s2, 32, v7
	v_dual_mov_b32 v14, 1 :: v_dual_lshlrev_b32 v13, 2, v1
	s_delay_alu instid0(TRANS32_DEP_1) | instskip(NEXT) | instid1(VALU_DEP_3)
	v_readfirstlane_b32 s3, v10
	v_dual_cndmask_b32 v9, v1, v7, s2 :: v_dual_bitop2_b32 v10, 4, v1 bitop3:0x14
	v_cmp_gt_i32_e64 s2, 32, v8
	v_and_b32_e32 v7, 3, v0
	s_mul_f32 s3, s3, 0x4f7ffffe
	v_dual_cndmask_b32 v11, v1, v8, s2 :: v_dual_bitop2_b32 v0, 8, v1 bitop3:0x14
	s_delay_alu instid0(VALU_DEP_1) | instskip(NEXT) | instid1(VALU_DEP_2)
	v_dual_lshlrev_b32 v8, 2, v9 :: v_dual_lshlrev_b32 v9, 2, v11
	v_cmp_gt_i32_e64 s2, 32, v0
	s_delay_alu instid0(VALU_DEP_1) | instskip(SKIP_1) | instid1(VALU_DEP_1)
	v_cndmask_b32_e64 v0, v1, v0, s2
	v_cmp_gt_i32_e64 s2, 32, v10
	v_cndmask_b32_e64 v1, v1, v10, s2
	s_cvt_u32_f32 s2, s3
	s_sub_co_i32 s3, 0, s6
	v_dual_lshlrev_b32 v11, 2, v0 :: v_dual_bitop2_b32 v10, 12, v13 bitop3:0x54
	s_delay_alu instid0(SALU_CYCLE_1) | instskip(SKIP_3) | instid1(SALU_CYCLE_1)
	s_mul_i32 s3, s3, s2
	v_dual_mov_b32 v1, 0 :: v_dual_lshlrev_b32 v12, 2, v1
	v_or_b32_e32 v13, 60, v13
	s_mul_hi_u32 s3, s2, s3
	s_add_co_i32 s10, s2, s3
	s_branch .LBB8_7
.LBB8_6:                                ;   in Loop: Header=BB8_7 Depth=1
	s_or_b32 exec_lo, exec_lo, s2
	ds_bpermute_b32 v0, v11, v16
	s_wait_dscnt 0x0
	v_min_i32_e32 v0, v0, v16
	ds_bpermute_b32 v16, v12, v0
	s_wait_dscnt 0x0
	v_min_i32_e32 v0, v16, v0
	;; [unrolled: 3-line block ×4, first 2 shown]
	ds_bpermute_b32 v17, v13, v0
	s_wait_dscnt 0x0
	v_cmp_le_i32_e64 s2, s5, v17
	s_or_b32 s13, s2, s13
	s_delay_alu instid0(SALU_CYCLE_1)
	s_and_not1_b32 exec_lo, exec_lo, s13
	s_cbranch_execz .LBB8_17
.LBB8_7:                                ; =>This Loop Header: Depth=1
                                        ;     Child Loop BB8_10 Depth 2
	v_dual_mov_b32 v16, s5 :: v_dual_add_nc_u32 v15, v15, v7
	v_mov_b32_e32 v18, v5
	s_mov_b32 s14, exec_lo
	ds_store_b8 v4, v1 offset:64
	s_wait_dscnt 0x0
	v_cmpx_lt_i32_e64 v15, v5
	s_cbranch_execz .LBB8_15
; %bb.8:                                ;   in Loop: Header=BB8_7 Depth=1
	v_dual_mov_b32 v16, s5 :: v_dual_mov_b32 v18, v5
	s_mov_b32 s15, 0
	s_branch .LBB8_10
.LBB8_9:                                ;   in Loop: Header=BB8_10 Depth=2
	s_or_b32 exec_lo, exec_lo, s3
	v_add_nc_u32_e32 v15, 4, v15
	s_xor_b32 s2, s2, -1
	s_delay_alu instid0(VALU_DEP_1) | instskip(SKIP_1) | instid1(SALU_CYCLE_1)
	v_cmp_ge_i32_e64 s3, v15, v5
	s_or_b32 s2, s2, s3
	s_and_b32 s2, exec_lo, s2
	s_delay_alu instid0(SALU_CYCLE_1) | instskip(NEXT) | instid1(SALU_CYCLE_1)
	s_or_b32 s15, s2, s15
	s_and_not1_b32 exec_lo, exec_lo, s15
	s_cbranch_execz .LBB8_14
.LBB8_10:                               ;   Parent Loop BB8_7 Depth=1
                                        ; =>  This Inner Loop Header: Depth=2
	s_wait_kmcnt 0x0
	global_load_b32 v0, v15, s[8:9] scale_offset
	s_wait_loadcnt 0x0
	v_subrev_nc_u32_e32 v19, s12, v0
	s_delay_alu instid0(VALU_DEP_1) | instskip(NEXT) | instid1(VALU_DEP_1)
	v_sub_nc_u32_e32 v0, 0, v19
	v_dual_ashrrev_i32 v19, 31, v19 :: v_dual_max_i32 v0, v19, v0
	s_delay_alu instid0(VALU_DEP_1) | instskip(NEXT) | instid1(VALU_DEP_1)
	v_mul_u64_e32 v[20:21], s[10:11], v[0:1]
	v_mul_lo_u32 v20, v21, s6
	s_delay_alu instid0(VALU_DEP_1) | instskip(NEXT) | instid1(VALU_DEP_1)
	v_dual_sub_nc_u32 v0, v0, v20 :: v_dual_add_nc_u32 v20, 1, v21
	v_cmp_le_u32_e64 s2, s6, v0
	s_delay_alu instid0(VALU_DEP_1) | instskip(SKIP_1) | instid1(VALU_DEP_1)
	v_cndmask_b32_e64 v20, v21, v20, s2
	v_subrev_nc_u32_e32 v22, s6, v0
	v_dual_add_nc_u32 v21, 1, v20 :: v_dual_cndmask_b32 v0, v0, v22, s2
	s_delay_alu instid0(VALU_DEP_1) | instskip(NEXT) | instid1(VALU_DEP_1)
	v_cmp_le_u32_e64 s2, s6, v0
	v_dual_cndmask_b32 v0, v20, v21, s2 :: v_dual_bitop2_b32 v19, s7, v19 bitop3:0x14
	s_delay_alu instid0(VALU_DEP_1) | instskip(NEXT) | instid1(VALU_DEP_1)
	v_xor_b32_e32 v0, v0, v19
	v_dual_mov_b32 v0, v18 :: v_dual_sub_nc_u32 v19, v0, v19
	s_delay_alu instid0(VALU_DEP_1) | instskip(SKIP_3) | instid1(SALU_CYCLE_1)
	v_cmp_eq_u32_e64 s2, v19, v17
	v_cmp_ne_u32_e64 s3, v19, v17
	s_wait_xcnt 0x0
	s_and_saveexec_b32 s16, s3
	s_xor_b32 s3, exec_lo, s16
; %bb.11:                               ;   in Loop: Header=BB8_10 Depth=2
	v_min_i32_e32 v16, v19, v16
                                        ; implicit-def: $vgpr0
; %bb.12:                               ;   in Loop: Header=BB8_10 Depth=2
	s_or_saveexec_b32 s3, s3
	v_mov_b32_e32 v18, v15
	s_xor_b32 exec_lo, exec_lo, s3
	s_cbranch_execz .LBB8_9
; %bb.13:                               ;   in Loop: Header=BB8_10 Depth=2
	v_mov_b32_e32 v18, v0
	ds_store_b8 v4, v14 offset:64
	s_branch .LBB8_9
.LBB8_14:                               ;   in Loop: Header=BB8_7 Depth=1
	s_or_b32 exec_lo, exec_lo, s15
.LBB8_15:                               ;   in Loop: Header=BB8_7 Depth=1
	s_delay_alu instid0(SALU_CYCLE_1)
	s_or_b32 exec_lo, exec_lo, s14
	ds_bpermute_b32 v0, v8, v18
	s_wait_dscnt 0x0
	ds_load_u8 v17, v4 offset:64
	v_min_i32_e32 v0, v0, v18
	ds_bpermute_b32 v15, v9, v0
	s_wait_dscnt 0x0
	v_min_i32_e32 v0, v15, v0
	ds_bpermute_b32 v15, v10, v0
	v_and_b32_e32 v0, 1, v17
	s_delay_alu instid0(VALU_DEP_1) | instskip(SKIP_1) | instid1(SALU_CYCLE_1)
	v_cmp_eq_u32_e64 s2, 1, v0
	s_and_b32 s3, vcc_lo, s2
	s_and_saveexec_b32 s2, s3
	s_cbranch_execz .LBB8_6
; %bb.16:                               ;   in Loop: Header=BB8_7 Depth=1
	ds_load_b32 v0, v3
	s_wait_dscnt 0x0
	v_add_nc_u32_e32 v0, 1, v0
	ds_store_b32 v3, v0
	s_branch .LBB8_6
.LBB8_17:
	s_or_b32 exec_lo, exec_lo, s13
.LBB8_18:
	s_delay_alu instid0(SALU_CYCLE_1)
	s_mov_b32 s2, exec_lo
	v_cmpx_eq_u32_e32 0, v6
	s_cbranch_execz .LBB8_21
; %bb.19:
	s_clause 0x1
	s_load_b32 s5, s[0:1], 0x30
	s_load_b64 s[2:3], s[0:1], 0x38
	v_mov_b32_e32 v0, 0
	v_cmp_gt_u32_e32 vcc_lo, s4, v2
	s_wait_kmcnt 0x0
	v_mov_b32_e32 v1, s5
	global_store_b32 v0, v1, s[2:3]
	s_wait_xcnt 0x0
	s_and_b32 exec_lo, exec_lo, vcc_lo
	s_cbranch_execz .LBB8_21
; %bb.20:
	ds_load_b32 v0, v3
	s_wait_dscnt 0x0
	global_store_b32 v2, v0, s[2:3] offset:4 scale_offset
.LBB8_21:
	s_endpgm
	.section	.rodata,"a",@progbits
	.p2align	6, 0x0
	.amdhsa_kernel _ZN9rocsparseL48csr2gebsr_nnz_wavefront_per_row_multipass_kernelILj256ELj4ELi16EEEviiiiii21rocsparse_index_base_PKiS3_S1_Pi
		.amdhsa_group_segment_fixed_size 80
		.amdhsa_private_segment_fixed_size 0
		.amdhsa_kernarg_size 64
		.amdhsa_user_sgpr_count 2
		.amdhsa_user_sgpr_dispatch_ptr 0
		.amdhsa_user_sgpr_queue_ptr 0
		.amdhsa_user_sgpr_kernarg_segment_ptr 1
		.amdhsa_user_sgpr_dispatch_id 0
		.amdhsa_user_sgpr_kernarg_preload_length 0
		.amdhsa_user_sgpr_kernarg_preload_offset 0
		.amdhsa_user_sgpr_private_segment_size 0
		.amdhsa_wavefront_size32 1
		.amdhsa_uses_dynamic_stack 0
		.amdhsa_enable_private_segment 0
		.amdhsa_system_sgpr_workgroup_id_x 1
		.amdhsa_system_sgpr_workgroup_id_y 0
		.amdhsa_system_sgpr_workgroup_id_z 0
		.amdhsa_system_sgpr_workgroup_info 0
		.amdhsa_system_vgpr_workitem_id 0
		.amdhsa_next_free_vgpr 23
		.amdhsa_next_free_sgpr 17
		.amdhsa_named_barrier_count 0
		.amdhsa_reserve_vcc 1
		.amdhsa_float_round_mode_32 0
		.amdhsa_float_round_mode_16_64 0
		.amdhsa_float_denorm_mode_32 3
		.amdhsa_float_denorm_mode_16_64 3
		.amdhsa_fp16_overflow 0
		.amdhsa_memory_ordered 1
		.amdhsa_forward_progress 1
		.amdhsa_inst_pref_size 9
		.amdhsa_round_robin_scheduling 0
		.amdhsa_exception_fp_ieee_invalid_op 0
		.amdhsa_exception_fp_denorm_src 0
		.amdhsa_exception_fp_ieee_div_zero 0
		.amdhsa_exception_fp_ieee_overflow 0
		.amdhsa_exception_fp_ieee_underflow 0
		.amdhsa_exception_fp_ieee_inexact 0
		.amdhsa_exception_int_div_zero 0
	.end_amdhsa_kernel
	.section	.text._ZN9rocsparseL48csr2gebsr_nnz_wavefront_per_row_multipass_kernelILj256ELj4ELi16EEEviiiiii21rocsparse_index_base_PKiS3_S1_Pi,"axG",@progbits,_ZN9rocsparseL48csr2gebsr_nnz_wavefront_per_row_multipass_kernelILj256ELj4ELi16EEEviiiiii21rocsparse_index_base_PKiS3_S1_Pi,comdat
.Lfunc_end8:
	.size	_ZN9rocsparseL48csr2gebsr_nnz_wavefront_per_row_multipass_kernelILj256ELj4ELi16EEEviiiiii21rocsparse_index_base_PKiS3_S1_Pi, .Lfunc_end8-_ZN9rocsparseL48csr2gebsr_nnz_wavefront_per_row_multipass_kernelILj256ELj4ELi16EEEviiiiii21rocsparse_index_base_PKiS3_S1_Pi
                                        ; -- End function
	.set _ZN9rocsparseL48csr2gebsr_nnz_wavefront_per_row_multipass_kernelILj256ELj4ELi16EEEviiiiii21rocsparse_index_base_PKiS3_S1_Pi.num_vgpr, 23
	.set _ZN9rocsparseL48csr2gebsr_nnz_wavefront_per_row_multipass_kernelILj256ELj4ELi16EEEviiiiii21rocsparse_index_base_PKiS3_S1_Pi.num_agpr, 0
	.set _ZN9rocsparseL48csr2gebsr_nnz_wavefront_per_row_multipass_kernelILj256ELj4ELi16EEEviiiiii21rocsparse_index_base_PKiS3_S1_Pi.numbered_sgpr, 17
	.set _ZN9rocsparseL48csr2gebsr_nnz_wavefront_per_row_multipass_kernelILj256ELj4ELi16EEEviiiiii21rocsparse_index_base_PKiS3_S1_Pi.num_named_barrier, 0
	.set _ZN9rocsparseL48csr2gebsr_nnz_wavefront_per_row_multipass_kernelILj256ELj4ELi16EEEviiiiii21rocsparse_index_base_PKiS3_S1_Pi.private_seg_size, 0
	.set _ZN9rocsparseL48csr2gebsr_nnz_wavefront_per_row_multipass_kernelILj256ELj4ELi16EEEviiiiii21rocsparse_index_base_PKiS3_S1_Pi.uses_vcc, 1
	.set _ZN9rocsparseL48csr2gebsr_nnz_wavefront_per_row_multipass_kernelILj256ELj4ELi16EEEviiiiii21rocsparse_index_base_PKiS3_S1_Pi.uses_flat_scratch, 0
	.set _ZN9rocsparseL48csr2gebsr_nnz_wavefront_per_row_multipass_kernelILj256ELj4ELi16EEEviiiiii21rocsparse_index_base_PKiS3_S1_Pi.has_dyn_sized_stack, 0
	.set _ZN9rocsparseL48csr2gebsr_nnz_wavefront_per_row_multipass_kernelILj256ELj4ELi16EEEviiiiii21rocsparse_index_base_PKiS3_S1_Pi.has_recursion, 0
	.set _ZN9rocsparseL48csr2gebsr_nnz_wavefront_per_row_multipass_kernelILj256ELj4ELi16EEEviiiiii21rocsparse_index_base_PKiS3_S1_Pi.has_indirect_call, 0
	.section	.AMDGPU.csdata,"",@progbits
; Kernel info:
; codeLenInByte = 1136
; TotalNumSgprs: 19
; NumVgprs: 23
; ScratchSize: 0
; MemoryBound: 0
; FloatMode: 240
; IeeeMode: 1
; LDSByteSize: 80 bytes/workgroup (compile time only)
; SGPRBlocks: 0
; VGPRBlocks: 1
; NumSGPRsForWavesPerEU: 19
; NumVGPRsForWavesPerEU: 23
; NamedBarCnt: 0
; Occupancy: 16
; WaveLimiterHint : 0
; COMPUTE_PGM_RSRC2:SCRATCH_EN: 0
; COMPUTE_PGM_RSRC2:USER_SGPR: 2
; COMPUTE_PGM_RSRC2:TRAP_HANDLER: 0
; COMPUTE_PGM_RSRC2:TGID_X_EN: 1
; COMPUTE_PGM_RSRC2:TGID_Y_EN: 0
; COMPUTE_PGM_RSRC2:TGID_Z_EN: 0
; COMPUTE_PGM_RSRC2:TIDIG_COMP_CNT: 0
	.section	.text._ZN9rocsparseL48csr2gebsr_nnz_wavefront_per_row_multipass_kernelILj256ELj4ELi32EEEviiiiii21rocsparse_index_base_PKiS3_S1_Pi,"axG",@progbits,_ZN9rocsparseL48csr2gebsr_nnz_wavefront_per_row_multipass_kernelILj256ELj4ELi32EEEviiiiii21rocsparse_index_base_PKiS3_S1_Pi,comdat
	.globl	_ZN9rocsparseL48csr2gebsr_nnz_wavefront_per_row_multipass_kernelILj256ELj4ELi32EEEviiiiii21rocsparse_index_base_PKiS3_S1_Pi ; -- Begin function _ZN9rocsparseL48csr2gebsr_nnz_wavefront_per_row_multipass_kernelILj256ELj4ELi32EEEviiiiii21rocsparse_index_base_PKiS3_S1_Pi
	.p2align	8
	.type	_ZN9rocsparseL48csr2gebsr_nnz_wavefront_per_row_multipass_kernelILj256ELj4ELi32EEEviiiiii21rocsparse_index_base_PKiS3_S1_Pi,@function
_ZN9rocsparseL48csr2gebsr_nnz_wavefront_per_row_multipass_kernelILj256ELj4ELi32EEEviiiiii21rocsparse_index_base_PKiS3_S1_Pi: ; @_ZN9rocsparseL48csr2gebsr_nnz_wavefront_per_row_multipass_kernelILj256ELj4ELi32EEEviiiiii21rocsparse_index_base_PKiS3_S1_Pi
; %bb.0:
	s_clause 0x1
	s_load_b128 s[4:7], s[0:1], 0x8
	s_load_b32 s2, s[0:1], 0x0
	s_bfe_u32 s3, ttmp6, 0x4000c
	s_and_b32 s8, ttmp6, 15
	s_add_co_i32 s3, s3, 1
	s_getreg_b32 s9, hwreg(HW_REG_IB_STS2, 6, 4)
	s_mul_i32 s3, ttmp9, s3
	v_dual_mov_b32 v5, 0 :: v_dual_lshrrev_b32 v4, 5, v0
	s_add_co_i32 s8, s8, s3
	s_cmp_eq_u32 s9, 0
	v_bfe_u32 v6, v0, 3, 2
	s_cselect_b32 s3, ttmp9, s8
	s_clause 0x1
	s_load_b32 s12, s[0:1], 0x18
	s_load_b64 s[8:9], s[0:1], 0x20
	v_lshl_or_b32 v2, s3, 3, v4
	v_dual_mov_b32 v16, 0 :: v_dual_lshlrev_b32 v3, 2, v4
	ds_store_b32 v3, v5
	s_wait_kmcnt 0x0
	v_mad_u32 v1, v2, s6, v6
	s_wait_dscnt 0x0
	s_barrier_signal -1
	s_barrier_wait -1
	s_delay_alu instid0(VALU_DEP_1) | instskip(SKIP_2) | instid1(SALU_CYCLE_1)
	v_cmp_gt_i32_e32 vcc_lo, s2, v1
	v_cmp_gt_i32_e64 s2, s6, v6
	s_and_b32 s2, s2, vcc_lo
	s_and_saveexec_b32 s3, s2
	s_cbranch_execz .LBB9_2
; %bb.1:
	global_load_b32 v6, v1, s[8:9] scale_offset
	s_wait_loadcnt 0x0
	v_subrev_nc_u32_e32 v16, s12, v6
.LBB9_2:
	s_or_b32 exec_lo, exec_lo, s3
	s_and_saveexec_b32 s3, s2
	s_cbranch_execz .LBB9_4
; %bb.3:
	global_load_b32 v1, v1, s[8:9] offset:4 scale_offset
	s_wait_loadcnt 0x0
	v_subrev_nc_u32_e32 v5, s12, v1
.LBB9_4:
	s_or_b32 exec_lo, exec_lo, s3
	v_and_b32_e32 v6, 31, v0
	s_cmp_lt_i32 s5, 1
	s_delay_alu instid0(VALU_DEP_1)
	v_cmp_eq_u32_e32 vcc_lo, 0, v6
	s_cbranch_scc1 .LBB9_18
; %bb.5:
	v_mbcnt_lo_u32_b32 v1, -1, 0
	v_and_b32_e32 v7, 7, v0
	s_abs_i32 s6, s7
	s_load_b64 s[8:9], s[0:1], 0x28
	s_cvt_f32_u32 s3, s6
	v_xor_b32_e32 v8, 2, v1
	v_xor_b32_e32 v0, 4, v1
	v_mov_b32_e32 v14, 0x7c
	v_rcp_iflag_f32_e32 v10, s3
	v_dual_mov_b32 v15, 1 :: v_dual_mov_b32 v18, 0
	s_delay_alu instid0(VALU_DEP_3) | instskip(SKIP_3) | instid1(TRANS32_DEP_1)
	v_cmp_gt_i32_e64 s2, 32, v0
	s_mov_b32 s11, 0
	s_ashr_i32 s7, s7, 31
	s_mov_b32 s13, s11
	v_readfirstlane_b32 s3, v10
	v_dual_cndmask_b32 v0, v1, v0, s2 :: v_dual_bitop2_b32 v9, 1, v1 bitop3:0x14
	v_cmp_gt_i32_e64 s2, 32, v8
	s_mul_f32 s3, s3, 0x4f7ffffe
	v_cndmask_b32_e64 v11, v1, v8, s2
	v_lshlrev_b32_e32 v8, 2, v0
	v_cmp_gt_i32_e64 s2, 32, v9
	s_delay_alu instid0(VALU_DEP_1) | instskip(NEXT) | instid1(VALU_DEP_4)
	v_cndmask_b32_e64 v0, v1, v9, s2
	v_dual_lshlrev_b32 v9, 2, v11 :: v_dual_bitop2_b32 v12, 16, v1 bitop3:0x14
	s_delay_alu instid0(VALU_DEP_2) | instskip(NEXT) | instid1(VALU_DEP_2)
	v_lshlrev_b32_e32 v10, 2, v0
	v_cmp_gt_i32_e64 s2, 32, v12
	s_delay_alu instid0(VALU_DEP_1) | instskip(NEXT) | instid1(VALU_DEP_1)
	v_dual_cndmask_b32 v0, v1, v12, s2 :: v_dual_bitop2_b32 v11, 8, v1 bitop3:0x14
	v_cmp_gt_i32_e64 s2, 32, v11
	s_delay_alu instid0(VALU_DEP_1) | instskip(SKIP_3) | instid1(VALU_DEP_2)
	v_cndmask_b32_e64 v13, v1, v11, s2
	s_cvt_u32_f32 s2, s3
	s_sub_co_i32 s3, 0, s6
	v_lshl_or_b32 v11, v1, 2, 28
	v_dual_lshlrev_b32 v12, 2, v0 :: v_dual_lshlrev_b32 v13, 2, v13
	s_mul_i32 s3, s3, s2
	v_mov_b32_e32 v1, 0
	s_mul_hi_u32 s3, s2, s3
	s_delay_alu instid0(SALU_CYCLE_1)
	s_add_co_i32 s10, s2, s3
	s_branch .LBB9_7
.LBB9_6:                                ;   in Loop: Header=BB9_7 Depth=1
	s_or_b32 exec_lo, exec_lo, s2
	ds_bpermute_b32 v0, v12, v17
	s_wait_dscnt 0x0
	v_min_i32_e32 v0, v0, v17
	ds_bpermute_b32 v17, v13, v0
	s_wait_dscnt 0x0
	v_min_i32_e32 v0, v17, v0
	;; [unrolled: 3-line block ×5, first 2 shown]
	ds_bpermute_b32 v18, v14, v0
	s_wait_dscnt 0x0
	v_cmp_le_i32_e64 s2, s5, v18
	s_or_b32 s13, s2, s13
	s_delay_alu instid0(SALU_CYCLE_1)
	s_and_not1_b32 exec_lo, exec_lo, s13
	s_cbranch_execz .LBB9_17
.LBB9_7:                                ; =>This Loop Header: Depth=1
                                        ;     Child Loop BB9_10 Depth 2
	v_dual_mov_b32 v17, s5 :: v_dual_add_nc_u32 v16, v16, v7
	v_mov_b32_e32 v19, v5
	s_mov_b32 s14, exec_lo
	ds_store_b8 v4, v1 offset:32
	s_wait_dscnt 0x0
	v_cmpx_lt_i32_e64 v16, v5
	s_cbranch_execz .LBB9_15
; %bb.8:                                ;   in Loop: Header=BB9_7 Depth=1
	v_dual_mov_b32 v17, s5 :: v_dual_mov_b32 v19, v5
	s_mov_b32 s15, 0
	s_branch .LBB9_10
.LBB9_9:                                ;   in Loop: Header=BB9_10 Depth=2
	s_or_b32 exec_lo, exec_lo, s3
	v_add_nc_u32_e32 v16, 8, v16
	s_xor_b32 s2, s2, -1
	s_delay_alu instid0(VALU_DEP_1) | instskip(SKIP_1) | instid1(SALU_CYCLE_1)
	v_cmp_ge_i32_e64 s3, v16, v5
	s_or_b32 s2, s2, s3
	s_and_b32 s2, exec_lo, s2
	s_delay_alu instid0(SALU_CYCLE_1) | instskip(NEXT) | instid1(SALU_CYCLE_1)
	s_or_b32 s15, s2, s15
	s_and_not1_b32 exec_lo, exec_lo, s15
	s_cbranch_execz .LBB9_14
.LBB9_10:                               ;   Parent Loop BB9_7 Depth=1
                                        ; =>  This Inner Loop Header: Depth=2
	s_wait_kmcnt 0x0
	global_load_b32 v0, v16, s[8:9] scale_offset
	s_wait_loadcnt 0x0
	v_subrev_nc_u32_e32 v22, s12, v0
	s_delay_alu instid0(VALU_DEP_1) | instskip(NEXT) | instid1(VALU_DEP_1)
	v_sub_nc_u32_e32 v0, 0, v22
	v_max_i32_e32 v0, v22, v0
	s_delay_alu instid0(VALU_DEP_1) | instskip(NEXT) | instid1(VALU_DEP_1)
	v_mul_u64_e32 v[20:21], s[10:11], v[0:1]
	v_mul_lo_u32 v20, v21, s6
	s_delay_alu instid0(VALU_DEP_1) | instskip(NEXT) | instid1(VALU_DEP_1)
	v_dual_sub_nc_u32 v0, v0, v20 :: v_dual_add_nc_u32 v20, 1, v21
	v_cmp_le_u32_e64 s2, s6, v0
	s_delay_alu instid0(VALU_DEP_1) | instskip(SKIP_1) | instid1(VALU_DEP_2)
	v_cndmask_b32_e64 v20, v21, v20, s2
	v_subrev_nc_u32_e32 v23, s6, v0
	v_dual_ashrrev_i32 v21, 31, v22 :: v_dual_add_nc_u32 v22, 1, v20
	s_delay_alu instid0(VALU_DEP_2) | instskip(NEXT) | instid1(VALU_DEP_1)
	v_cndmask_b32_e64 v0, v0, v23, s2
	v_cmp_le_u32_e64 s2, s6, v0
	s_delay_alu instid0(VALU_DEP_1) | instskip(NEXT) | instid1(VALU_DEP_1)
	v_dual_cndmask_b32 v0, v20, v22, s2 :: v_dual_bitop2_b32 v21, s7, v21 bitop3:0x14
	v_xor_b32_e32 v0, v0, v21
	s_delay_alu instid0(VALU_DEP_1) | instskip(NEXT) | instid1(VALU_DEP_1)
	v_dual_sub_nc_u32 v20, v0, v21 :: v_dual_mov_b32 v0, v19
	v_cmp_eq_u32_e64 s2, v20, v18
	v_cmp_ne_u32_e64 s3, v20, v18
	s_wait_xcnt 0x0
	s_and_saveexec_b32 s16, s3
	s_delay_alu instid0(SALU_CYCLE_1)
	s_xor_b32 s3, exec_lo, s16
; %bb.11:                               ;   in Loop: Header=BB9_10 Depth=2
	v_min_i32_e32 v17, v20, v17
                                        ; implicit-def: $vgpr0
; %bb.12:                               ;   in Loop: Header=BB9_10 Depth=2
	s_or_saveexec_b32 s3, s3
	v_mov_b32_e32 v19, v16
	s_xor_b32 exec_lo, exec_lo, s3
	s_cbranch_execz .LBB9_9
; %bb.13:                               ;   in Loop: Header=BB9_10 Depth=2
	v_mov_b32_e32 v19, v0
	ds_store_b8 v4, v15 offset:32
	s_branch .LBB9_9
.LBB9_14:                               ;   in Loop: Header=BB9_7 Depth=1
	s_or_b32 exec_lo, exec_lo, s15
.LBB9_15:                               ;   in Loop: Header=BB9_7 Depth=1
	s_delay_alu instid0(SALU_CYCLE_1)
	s_or_b32 exec_lo, exec_lo, s14
	ds_bpermute_b32 v0, v8, v19
	s_wait_dscnt 0x0
	ds_load_u8 v18, v4 offset:32
	v_min_i32_e32 v0, v0, v19
	ds_bpermute_b32 v16, v9, v0
	s_wait_dscnt 0x0
	v_min_i32_e32 v0, v16, v0
	ds_bpermute_b32 v16, v10, v0
	s_wait_dscnt 0x0
	v_min_i32_e32 v0, v16, v0
	ds_bpermute_b32 v16, v11, v0
	v_and_b32_e32 v0, 1, v18
	s_delay_alu instid0(VALU_DEP_1) | instskip(SKIP_1) | instid1(SALU_CYCLE_1)
	v_cmp_eq_u32_e64 s2, 1, v0
	s_and_b32 s3, vcc_lo, s2
	s_and_saveexec_b32 s2, s3
	s_cbranch_execz .LBB9_6
; %bb.16:                               ;   in Loop: Header=BB9_7 Depth=1
	ds_load_b32 v0, v3
	s_wait_dscnt 0x0
	v_add_nc_u32_e32 v0, 1, v0
	ds_store_b32 v3, v0
	s_branch .LBB9_6
.LBB9_17:
	s_or_b32 exec_lo, exec_lo, s13
.LBB9_18:
	s_delay_alu instid0(SALU_CYCLE_1)
	s_mov_b32 s2, exec_lo
	v_cmpx_eq_u32_e32 0, v6
	s_cbranch_execz .LBB9_21
; %bb.19:
	s_clause 0x1
	s_load_b32 s5, s[0:1], 0x30
	s_load_b64 s[2:3], s[0:1], 0x38
	v_mov_b32_e32 v0, 0
	v_cmp_gt_u32_e32 vcc_lo, s4, v2
	s_wait_kmcnt 0x0
	v_mov_b32_e32 v1, s5
	global_store_b32 v0, v1, s[2:3]
	s_wait_xcnt 0x0
	s_and_b32 exec_lo, exec_lo, vcc_lo
	s_cbranch_execz .LBB9_21
; %bb.20:
	ds_load_b32 v0, v3
	s_wait_dscnt 0x0
	global_store_b32 v2, v0, s[2:3] offset:4 scale_offset
.LBB9_21:
	s_endpgm
	.section	.rodata,"a",@progbits
	.p2align	6, 0x0
	.amdhsa_kernel _ZN9rocsparseL48csr2gebsr_nnz_wavefront_per_row_multipass_kernelILj256ELj4ELi32EEEviiiiii21rocsparse_index_base_PKiS3_S1_Pi
		.amdhsa_group_segment_fixed_size 40
		.amdhsa_private_segment_fixed_size 0
		.amdhsa_kernarg_size 64
		.amdhsa_user_sgpr_count 2
		.amdhsa_user_sgpr_dispatch_ptr 0
		.amdhsa_user_sgpr_queue_ptr 0
		.amdhsa_user_sgpr_kernarg_segment_ptr 1
		.amdhsa_user_sgpr_dispatch_id 0
		.amdhsa_user_sgpr_kernarg_preload_length 0
		.amdhsa_user_sgpr_kernarg_preload_offset 0
		.amdhsa_user_sgpr_private_segment_size 0
		.amdhsa_wavefront_size32 1
		.amdhsa_uses_dynamic_stack 0
		.amdhsa_enable_private_segment 0
		.amdhsa_system_sgpr_workgroup_id_x 1
		.amdhsa_system_sgpr_workgroup_id_y 0
		.amdhsa_system_sgpr_workgroup_id_z 0
		.amdhsa_system_sgpr_workgroup_info 0
		.amdhsa_system_vgpr_workitem_id 0
		.amdhsa_next_free_vgpr 24
		.amdhsa_next_free_sgpr 17
		.amdhsa_named_barrier_count 0
		.amdhsa_reserve_vcc 1
		.amdhsa_float_round_mode_32 0
		.amdhsa_float_round_mode_16_64 0
		.amdhsa_float_denorm_mode_32 3
		.amdhsa_float_denorm_mode_16_64 3
		.amdhsa_fp16_overflow 0
		.amdhsa_memory_ordered 1
		.amdhsa_forward_progress 1
		.amdhsa_inst_pref_size 10
		.amdhsa_round_robin_scheduling 0
		.amdhsa_exception_fp_ieee_invalid_op 0
		.amdhsa_exception_fp_denorm_src 0
		.amdhsa_exception_fp_ieee_div_zero 0
		.amdhsa_exception_fp_ieee_overflow 0
		.amdhsa_exception_fp_ieee_underflow 0
		.amdhsa_exception_fp_ieee_inexact 0
		.amdhsa_exception_int_div_zero 0
	.end_amdhsa_kernel
	.section	.text._ZN9rocsparseL48csr2gebsr_nnz_wavefront_per_row_multipass_kernelILj256ELj4ELi32EEEviiiiii21rocsparse_index_base_PKiS3_S1_Pi,"axG",@progbits,_ZN9rocsparseL48csr2gebsr_nnz_wavefront_per_row_multipass_kernelILj256ELj4ELi32EEEviiiiii21rocsparse_index_base_PKiS3_S1_Pi,comdat
.Lfunc_end9:
	.size	_ZN9rocsparseL48csr2gebsr_nnz_wavefront_per_row_multipass_kernelILj256ELj4ELi32EEEviiiiii21rocsparse_index_base_PKiS3_S1_Pi, .Lfunc_end9-_ZN9rocsparseL48csr2gebsr_nnz_wavefront_per_row_multipass_kernelILj256ELj4ELi32EEEviiiiii21rocsparse_index_base_PKiS3_S1_Pi
                                        ; -- End function
	.set _ZN9rocsparseL48csr2gebsr_nnz_wavefront_per_row_multipass_kernelILj256ELj4ELi32EEEviiiiii21rocsparse_index_base_PKiS3_S1_Pi.num_vgpr, 24
	.set _ZN9rocsparseL48csr2gebsr_nnz_wavefront_per_row_multipass_kernelILj256ELj4ELi32EEEviiiiii21rocsparse_index_base_PKiS3_S1_Pi.num_agpr, 0
	.set _ZN9rocsparseL48csr2gebsr_nnz_wavefront_per_row_multipass_kernelILj256ELj4ELi32EEEviiiiii21rocsparse_index_base_PKiS3_S1_Pi.numbered_sgpr, 17
	.set _ZN9rocsparseL48csr2gebsr_nnz_wavefront_per_row_multipass_kernelILj256ELj4ELi32EEEviiiiii21rocsparse_index_base_PKiS3_S1_Pi.num_named_barrier, 0
	.set _ZN9rocsparseL48csr2gebsr_nnz_wavefront_per_row_multipass_kernelILj256ELj4ELi32EEEviiiiii21rocsparse_index_base_PKiS3_S1_Pi.private_seg_size, 0
	.set _ZN9rocsparseL48csr2gebsr_nnz_wavefront_per_row_multipass_kernelILj256ELj4ELi32EEEviiiiii21rocsparse_index_base_PKiS3_S1_Pi.uses_vcc, 1
	.set _ZN9rocsparseL48csr2gebsr_nnz_wavefront_per_row_multipass_kernelILj256ELj4ELi32EEEviiiiii21rocsparse_index_base_PKiS3_S1_Pi.uses_flat_scratch, 0
	.set _ZN9rocsparseL48csr2gebsr_nnz_wavefront_per_row_multipass_kernelILj256ELj4ELi32EEEviiiiii21rocsparse_index_base_PKiS3_S1_Pi.has_dyn_sized_stack, 0
	.set _ZN9rocsparseL48csr2gebsr_nnz_wavefront_per_row_multipass_kernelILj256ELj4ELi32EEEviiiiii21rocsparse_index_base_PKiS3_S1_Pi.has_recursion, 0
	.set _ZN9rocsparseL48csr2gebsr_nnz_wavefront_per_row_multipass_kernelILj256ELj4ELi32EEEviiiiii21rocsparse_index_base_PKiS3_S1_Pi.has_indirect_call, 0
	.section	.AMDGPU.csdata,"",@progbits
; Kernel info:
; codeLenInByte = 1200
; TotalNumSgprs: 19
; NumVgprs: 24
; ScratchSize: 0
; MemoryBound: 0
; FloatMode: 240
; IeeeMode: 1
; LDSByteSize: 40 bytes/workgroup (compile time only)
; SGPRBlocks: 0
; VGPRBlocks: 1
; NumSGPRsForWavesPerEU: 19
; NumVGPRsForWavesPerEU: 24
; NamedBarCnt: 0
; Occupancy: 16
; WaveLimiterHint : 0
; COMPUTE_PGM_RSRC2:SCRATCH_EN: 0
; COMPUTE_PGM_RSRC2:USER_SGPR: 2
; COMPUTE_PGM_RSRC2:TRAP_HANDLER: 0
; COMPUTE_PGM_RSRC2:TGID_X_EN: 1
; COMPUTE_PGM_RSRC2:TGID_Y_EN: 0
; COMPUTE_PGM_RSRC2:TGID_Z_EN: 0
; COMPUTE_PGM_RSRC2:TIDIG_COMP_CNT: 0
	.section	.text._ZN9rocsparseL48csr2gebsr_nnz_wavefront_per_row_multipass_kernelILj256ELj4ELi64EEEviiiiii21rocsparse_index_base_PKiS3_S1_Pi,"axG",@progbits,_ZN9rocsparseL48csr2gebsr_nnz_wavefront_per_row_multipass_kernelILj256ELj4ELi64EEEviiiiii21rocsparse_index_base_PKiS3_S1_Pi,comdat
	.globl	_ZN9rocsparseL48csr2gebsr_nnz_wavefront_per_row_multipass_kernelILj256ELj4ELi64EEEviiiiii21rocsparse_index_base_PKiS3_S1_Pi ; -- Begin function _ZN9rocsparseL48csr2gebsr_nnz_wavefront_per_row_multipass_kernelILj256ELj4ELi64EEEviiiiii21rocsparse_index_base_PKiS3_S1_Pi
	.p2align	8
	.type	_ZN9rocsparseL48csr2gebsr_nnz_wavefront_per_row_multipass_kernelILj256ELj4ELi64EEEviiiiii21rocsparse_index_base_PKiS3_S1_Pi,@function
_ZN9rocsparseL48csr2gebsr_nnz_wavefront_per_row_multipass_kernelILj256ELj4ELi64EEEviiiiii21rocsparse_index_base_PKiS3_S1_Pi: ; @_ZN9rocsparseL48csr2gebsr_nnz_wavefront_per_row_multipass_kernelILj256ELj4ELi64EEEviiiiii21rocsparse_index_base_PKiS3_S1_Pi
; %bb.0:
	s_clause 0x1
	s_load_b128 s[4:7], s[0:1], 0x8
	s_load_b32 s2, s[0:1], 0x0
	s_bfe_u32 s3, ttmp6, 0x4000c
	s_and_b32 s8, ttmp6, 15
	s_add_co_i32 s3, s3, 1
	s_getreg_b32 s9, hwreg(HW_REG_IB_STS2, 6, 4)
	s_mul_i32 s3, ttmp9, s3
	v_dual_mov_b32 v5, 0 :: v_dual_lshrrev_b32 v4, 6, v0
	s_add_co_i32 s8, s8, s3
	s_cmp_eq_u32 s9, 0
	v_bfe_u32 v6, v0, 4, 2
	s_cselect_b32 s3, ttmp9, s8
	s_clause 0x1
	s_load_b32 s12, s[0:1], 0x18
	s_load_b64 s[8:9], s[0:1], 0x20
	v_lshl_or_b32 v2, s3, 2, v4
	v_dual_lshlrev_b32 v3, 2, v4 :: v_dual_mov_b32 v17, 0
	ds_store_b32 v3, v5
	s_wait_kmcnt 0x0
	v_mad_u32 v1, v2, s6, v6
	s_wait_dscnt 0x0
	s_barrier_signal -1
	s_barrier_wait -1
	s_delay_alu instid0(VALU_DEP_1) | instskip(SKIP_2) | instid1(SALU_CYCLE_1)
	v_cmp_gt_i32_e32 vcc_lo, s2, v1
	v_cmp_gt_i32_e64 s2, s6, v6
	s_and_b32 s2, s2, vcc_lo
	s_and_saveexec_b32 s3, s2
	s_cbranch_execz .LBB10_2
; %bb.1:
	global_load_b32 v6, v1, s[8:9] scale_offset
	s_wait_loadcnt 0x0
	v_subrev_nc_u32_e32 v17, s12, v6
.LBB10_2:
	s_or_b32 exec_lo, exec_lo, s3
	s_and_saveexec_b32 s3, s2
	s_cbranch_execz .LBB10_4
; %bb.3:
	global_load_b32 v1, v1, s[8:9] offset:4 scale_offset
	s_wait_loadcnt 0x0
	v_subrev_nc_u32_e32 v5, s12, v1
.LBB10_4:
	s_or_b32 exec_lo, exec_lo, s3
	v_and_b32_e32 v6, 63, v0
	s_cmp_lt_i32 s5, 1
	s_delay_alu instid0(VALU_DEP_1)
	v_cmp_eq_u32_e32 vcc_lo, 0, v6
	s_cbranch_scc1 .LBB10_18
; %bb.5:
	v_mbcnt_lo_u32_b32 v1, -1, 0
	v_and_b32_e32 v7, 15, v0
	s_abs_i32 s6, s7
	s_load_b64 s[8:9], s[0:1], 0x28
	s_cvt_f32_u32 s3, s6
	v_xor_b32_e32 v8, 4, v1
	v_xor_b32_e32 v0, 8, v1
	;; [unrolled: 1-line block ×3, first 2 shown]
	v_rcp_iflag_f32_e32 v12, s3
	v_bfrev_b32_e32 v15, 0.5
	v_dual_mov_b32 v16, 1 :: v_dual_mov_b32 v19, 0
	v_cmp_gt_i32_e64 s2, 32, v0
	s_mov_b32 s11, 0
	s_ashr_i32 s7, s7, 31
	s_delay_alu instid0(TRANS32_DEP_1)
	v_readfirstlane_b32 s3, v12
	v_lshl_or_b32 v12, v1, 2, 60
	v_dual_cndmask_b32 v0, v1, v0, s2 :: v_dual_bitop2_b32 v9, 2, v1 bitop3:0x14
	v_cmp_gt_i32_e64 s2, 32, v8
	s_mul_f32 s3, s3, 0x4f7ffffe
	s_mov_b32 s13, s11
	v_cndmask_b32_e64 v11, v1, v8, s2
	v_lshlrev_b32_e32 v8, 2, v0
	v_cmp_gt_i32_e64 s2, 32, v9
	s_delay_alu instid0(VALU_DEP_1) | instskip(SKIP_2) | instid1(VALU_DEP_2)
	v_cndmask_b32_e64 v0, v1, v9, s2
	v_cmp_gt_i32_e64 s2, 32, v10
	v_dual_lshlrev_b32 v9, 2, v11 :: v_dual_bitop2_b32 v13, 32, v1 bitop3:0x54
	v_dual_cndmask_b32 v11, v1, v10, s2 :: v_dual_lshlrev_b32 v10, 2, v0
	v_xor_b32_e32 v0, 16, v1
	s_delay_alu instid0(VALU_DEP_3) | instskip(NEXT) | instid1(VALU_DEP_1)
	v_cmp_gt_i32_e64 s2, 32, v13
	v_dual_lshlrev_b32 v11, 2, v11 :: v_dual_cndmask_b32 v13, v1, v13, s2
	s_delay_alu instid0(VALU_DEP_3) | instskip(NEXT) | instid1(VALU_DEP_1)
	v_cmp_gt_i32_e64 s2, 32, v0
	v_cndmask_b32_e64 v0, v1, v0, s2
	s_cvt_u32_f32 s2, s3
	s_sub_co_i32 s3, 0, s6
	v_dual_lshlrev_b32 v13, 2, v13 :: v_dual_mov_b32 v1, 0
	s_delay_alu instid0(SALU_CYCLE_1) | instskip(SKIP_2) | instid1(SALU_CYCLE_1)
	s_mul_i32 s3, s3, s2
	v_lshlrev_b32_e32 v14, 2, v0
	s_mul_hi_u32 s3, s2, s3
	s_add_co_i32 s10, s2, s3
	s_branch .LBB10_7
.LBB10_6:                               ;   in Loop: Header=BB10_7 Depth=1
	s_or_b32 exec_lo, exec_lo, s2
	ds_bpermute_b32 v0, v13, v18
	s_wait_dscnt 0x0
	v_min_i32_e32 v0, v0, v18
	ds_bpermute_b32 v18, v14, v0
	s_wait_dscnt 0x0
	v_min_i32_e32 v0, v18, v0
	;; [unrolled: 3-line block ×6, first 2 shown]
	ds_bpermute_b32 v19, v15, v0
	s_wait_dscnt 0x0
	v_cmp_le_i32_e64 s2, s5, v19
	s_or_b32 s13, s2, s13
	s_delay_alu instid0(SALU_CYCLE_1)
	s_and_not1_b32 exec_lo, exec_lo, s13
	s_cbranch_execz .LBB10_17
.LBB10_7:                               ; =>This Loop Header: Depth=1
                                        ;     Child Loop BB10_10 Depth 2
	v_dual_mov_b32 v18, s5 :: v_dual_add_nc_u32 v17, v17, v7
	v_mov_b32_e32 v20, v5
	s_mov_b32 s14, exec_lo
	ds_store_b8 v4, v1 offset:16
	s_wait_dscnt 0x0
	v_cmpx_lt_i32_e64 v17, v5
	s_cbranch_execz .LBB10_15
; %bb.8:                                ;   in Loop: Header=BB10_7 Depth=1
	v_dual_mov_b32 v18, s5 :: v_dual_mov_b32 v20, v5
	s_mov_b32 s15, 0
	s_branch .LBB10_10
.LBB10_9:                               ;   in Loop: Header=BB10_10 Depth=2
	s_or_b32 exec_lo, exec_lo, s3
	v_add_nc_u32_e32 v17, 16, v17
	s_xor_b32 s2, s2, -1
	s_delay_alu instid0(VALU_DEP_1) | instskip(SKIP_1) | instid1(SALU_CYCLE_1)
	v_cmp_ge_i32_e64 s3, v17, v5
	s_or_b32 s2, s2, s3
	s_and_b32 s2, exec_lo, s2
	s_delay_alu instid0(SALU_CYCLE_1) | instskip(NEXT) | instid1(SALU_CYCLE_1)
	s_or_b32 s15, s2, s15
	s_and_not1_b32 exec_lo, exec_lo, s15
	s_cbranch_execz .LBB10_14
.LBB10_10:                              ;   Parent Loop BB10_7 Depth=1
                                        ; =>  This Inner Loop Header: Depth=2
	s_wait_kmcnt 0x0
	global_load_b32 v0, v17, s[8:9] scale_offset
	s_wait_loadcnt 0x0
	v_subrev_nc_u32_e32 v21, s12, v0
	s_delay_alu instid0(VALU_DEP_1) | instskip(NEXT) | instid1(VALU_DEP_1)
	v_sub_nc_u32_e32 v0, 0, v21
	v_dual_ashrrev_i32 v21, 31, v21 :: v_dual_max_i32 v0, v21, v0
	s_delay_alu instid0(VALU_DEP_1) | instskip(NEXT) | instid1(VALU_DEP_1)
	v_mul_u64_e32 v[22:23], s[10:11], v[0:1]
	v_mul_lo_u32 v22, v23, s6
	s_delay_alu instid0(VALU_DEP_1) | instskip(NEXT) | instid1(VALU_DEP_1)
	v_dual_sub_nc_u32 v0, v0, v22 :: v_dual_add_nc_u32 v22, 1, v23
	v_subrev_nc_u32_e32 v24, s6, v0
	v_cmp_le_u32_e64 s2, s6, v0
	s_delay_alu instid0(VALU_DEP_1) | instskip(NEXT) | instid1(VALU_DEP_1)
	v_dual_cndmask_b32 v22, v23, v22, s2 :: v_dual_cndmask_b32 v0, v0, v24, s2
	v_add_nc_u32_e32 v23, 1, v22
	s_delay_alu instid0(VALU_DEP_2) | instskip(NEXT) | instid1(VALU_DEP_1)
	v_cmp_le_u32_e64 s2, s6, v0
	v_dual_cndmask_b32 v0, v22, v23, s2 :: v_dual_bitop2_b32 v21, s7, v21 bitop3:0x14
	s_delay_alu instid0(VALU_DEP_1) | instskip(NEXT) | instid1(VALU_DEP_1)
	v_xor_b32_e32 v0, v0, v21
	v_sub_nc_u32_e32 v21, v0, v21
	v_mov_b32_e32 v0, v20
	s_delay_alu instid0(VALU_DEP_2) | instskip(SKIP_3) | instid1(SALU_CYCLE_1)
	v_cmp_eq_u32_e64 s2, v21, v19
	v_cmp_ne_u32_e64 s3, v21, v19
	s_wait_xcnt 0x0
	s_and_saveexec_b32 s16, s3
	s_xor_b32 s3, exec_lo, s16
; %bb.11:                               ;   in Loop: Header=BB10_10 Depth=2
	v_min_i32_e32 v18, v21, v18
                                        ; implicit-def: $vgpr0
; %bb.12:                               ;   in Loop: Header=BB10_10 Depth=2
	s_or_saveexec_b32 s3, s3
	v_mov_b32_e32 v20, v17
	s_xor_b32 exec_lo, exec_lo, s3
	s_cbranch_execz .LBB10_9
; %bb.13:                               ;   in Loop: Header=BB10_10 Depth=2
	v_mov_b32_e32 v20, v0
	ds_store_b8 v4, v16 offset:16
	s_branch .LBB10_9
.LBB10_14:                              ;   in Loop: Header=BB10_7 Depth=1
	s_or_b32 exec_lo, exec_lo, s15
.LBB10_15:                              ;   in Loop: Header=BB10_7 Depth=1
	s_delay_alu instid0(SALU_CYCLE_1)
	s_or_b32 exec_lo, exec_lo, s14
	ds_bpermute_b32 v0, v8, v20
	s_wait_dscnt 0x0
	ds_load_u8 v19, v4 offset:16
	v_min_i32_e32 v0, v0, v20
	ds_bpermute_b32 v17, v9, v0
	s_wait_dscnt 0x0
	v_min_i32_e32 v0, v17, v0
	ds_bpermute_b32 v17, v10, v0
	s_wait_dscnt 0x0
	;; [unrolled: 3-line block ×3, first 2 shown]
	v_min_i32_e32 v0, v17, v0
	ds_bpermute_b32 v17, v12, v0
	v_and_b32_e32 v0, 1, v19
	s_delay_alu instid0(VALU_DEP_1) | instskip(SKIP_1) | instid1(SALU_CYCLE_1)
	v_cmp_eq_u32_e64 s2, 1, v0
	s_and_b32 s3, vcc_lo, s2
	s_and_saveexec_b32 s2, s3
	s_cbranch_execz .LBB10_6
; %bb.16:                               ;   in Loop: Header=BB10_7 Depth=1
	ds_load_b32 v0, v3
	s_wait_dscnt 0x0
	v_add_nc_u32_e32 v0, 1, v0
	ds_store_b32 v3, v0
	s_branch .LBB10_6
.LBB10_17:
	s_or_b32 exec_lo, exec_lo, s13
.LBB10_18:
	s_delay_alu instid0(SALU_CYCLE_1)
	s_mov_b32 s2, exec_lo
	v_cmpx_eq_u32_e32 0, v6
	s_cbranch_execz .LBB10_21
; %bb.19:
	s_clause 0x1
	s_load_b32 s5, s[0:1], 0x30
	s_load_b64 s[2:3], s[0:1], 0x38
	v_mov_b32_e32 v0, 0
	v_cmp_gt_u32_e32 vcc_lo, s4, v2
	s_wait_kmcnt 0x0
	v_mov_b32_e32 v1, s5
	global_store_b32 v0, v1, s[2:3]
	s_wait_xcnt 0x0
	s_and_b32 exec_lo, exec_lo, vcc_lo
	s_cbranch_execz .LBB10_21
; %bb.20:
	ds_load_b32 v0, v3
	s_wait_dscnt 0x0
	global_store_b32 v2, v0, s[2:3] offset:4 scale_offset
.LBB10_21:
	s_endpgm
	.section	.rodata,"a",@progbits
	.p2align	6, 0x0
	.amdhsa_kernel _ZN9rocsparseL48csr2gebsr_nnz_wavefront_per_row_multipass_kernelILj256ELj4ELi64EEEviiiiii21rocsparse_index_base_PKiS3_S1_Pi
		.amdhsa_group_segment_fixed_size 20
		.amdhsa_private_segment_fixed_size 0
		.amdhsa_kernarg_size 64
		.amdhsa_user_sgpr_count 2
		.amdhsa_user_sgpr_dispatch_ptr 0
		.amdhsa_user_sgpr_queue_ptr 0
		.amdhsa_user_sgpr_kernarg_segment_ptr 1
		.amdhsa_user_sgpr_dispatch_id 0
		.amdhsa_user_sgpr_kernarg_preload_length 0
		.amdhsa_user_sgpr_kernarg_preload_offset 0
		.amdhsa_user_sgpr_private_segment_size 0
		.amdhsa_wavefront_size32 1
		.amdhsa_uses_dynamic_stack 0
		.amdhsa_enable_private_segment 0
		.amdhsa_system_sgpr_workgroup_id_x 1
		.amdhsa_system_sgpr_workgroup_id_y 0
		.amdhsa_system_sgpr_workgroup_id_z 0
		.amdhsa_system_sgpr_workgroup_info 0
		.amdhsa_system_vgpr_workitem_id 0
		.amdhsa_next_free_vgpr 25
		.amdhsa_next_free_sgpr 17
		.amdhsa_named_barrier_count 0
		.amdhsa_reserve_vcc 1
		.amdhsa_float_round_mode_32 0
		.amdhsa_float_round_mode_16_64 0
		.amdhsa_float_denorm_mode_32 3
		.amdhsa_float_denorm_mode_16_64 3
		.amdhsa_fp16_overflow 0
		.amdhsa_memory_ordered 1
		.amdhsa_forward_progress 1
		.amdhsa_inst_pref_size 10
		.amdhsa_round_robin_scheduling 0
		.amdhsa_exception_fp_ieee_invalid_op 0
		.amdhsa_exception_fp_denorm_src 0
		.amdhsa_exception_fp_ieee_div_zero 0
		.amdhsa_exception_fp_ieee_overflow 0
		.amdhsa_exception_fp_ieee_underflow 0
		.amdhsa_exception_fp_ieee_inexact 0
		.amdhsa_exception_int_div_zero 0
	.end_amdhsa_kernel
	.section	.text._ZN9rocsparseL48csr2gebsr_nnz_wavefront_per_row_multipass_kernelILj256ELj4ELi64EEEviiiiii21rocsparse_index_base_PKiS3_S1_Pi,"axG",@progbits,_ZN9rocsparseL48csr2gebsr_nnz_wavefront_per_row_multipass_kernelILj256ELj4ELi64EEEviiiiii21rocsparse_index_base_PKiS3_S1_Pi,comdat
.Lfunc_end10:
	.size	_ZN9rocsparseL48csr2gebsr_nnz_wavefront_per_row_multipass_kernelILj256ELj4ELi64EEEviiiiii21rocsparse_index_base_PKiS3_S1_Pi, .Lfunc_end10-_ZN9rocsparseL48csr2gebsr_nnz_wavefront_per_row_multipass_kernelILj256ELj4ELi64EEEviiiiii21rocsparse_index_base_PKiS3_S1_Pi
                                        ; -- End function
	.set _ZN9rocsparseL48csr2gebsr_nnz_wavefront_per_row_multipass_kernelILj256ELj4ELi64EEEviiiiii21rocsparse_index_base_PKiS3_S1_Pi.num_vgpr, 25
	.set _ZN9rocsparseL48csr2gebsr_nnz_wavefront_per_row_multipass_kernelILj256ELj4ELi64EEEviiiiii21rocsparse_index_base_PKiS3_S1_Pi.num_agpr, 0
	.set _ZN9rocsparseL48csr2gebsr_nnz_wavefront_per_row_multipass_kernelILj256ELj4ELi64EEEviiiiii21rocsparse_index_base_PKiS3_S1_Pi.numbered_sgpr, 17
	.set _ZN9rocsparseL48csr2gebsr_nnz_wavefront_per_row_multipass_kernelILj256ELj4ELi64EEEviiiiii21rocsparse_index_base_PKiS3_S1_Pi.num_named_barrier, 0
	.set _ZN9rocsparseL48csr2gebsr_nnz_wavefront_per_row_multipass_kernelILj256ELj4ELi64EEEviiiiii21rocsparse_index_base_PKiS3_S1_Pi.private_seg_size, 0
	.set _ZN9rocsparseL48csr2gebsr_nnz_wavefront_per_row_multipass_kernelILj256ELj4ELi64EEEviiiiii21rocsparse_index_base_PKiS3_S1_Pi.uses_vcc, 1
	.set _ZN9rocsparseL48csr2gebsr_nnz_wavefront_per_row_multipass_kernelILj256ELj4ELi64EEEviiiiii21rocsparse_index_base_PKiS3_S1_Pi.uses_flat_scratch, 0
	.set _ZN9rocsparseL48csr2gebsr_nnz_wavefront_per_row_multipass_kernelILj256ELj4ELi64EEEviiiiii21rocsparse_index_base_PKiS3_S1_Pi.has_dyn_sized_stack, 0
	.set _ZN9rocsparseL48csr2gebsr_nnz_wavefront_per_row_multipass_kernelILj256ELj4ELi64EEEviiiiii21rocsparse_index_base_PKiS3_S1_Pi.has_recursion, 0
	.set _ZN9rocsparseL48csr2gebsr_nnz_wavefront_per_row_multipass_kernelILj256ELj4ELi64EEEviiiiii21rocsparse_index_base_PKiS3_S1_Pi.has_indirect_call, 0
	.section	.AMDGPU.csdata,"",@progbits
; Kernel info:
; codeLenInByte = 1240
; TotalNumSgprs: 19
; NumVgprs: 25
; ScratchSize: 0
; MemoryBound: 0
; FloatMode: 240
; IeeeMode: 1
; LDSByteSize: 20 bytes/workgroup (compile time only)
; SGPRBlocks: 0
; VGPRBlocks: 1
; NumSGPRsForWavesPerEU: 19
; NumVGPRsForWavesPerEU: 25
; NamedBarCnt: 0
; Occupancy: 16
; WaveLimiterHint : 0
; COMPUTE_PGM_RSRC2:SCRATCH_EN: 0
; COMPUTE_PGM_RSRC2:USER_SGPR: 2
; COMPUTE_PGM_RSRC2:TRAP_HANDLER: 0
; COMPUTE_PGM_RSRC2:TGID_X_EN: 1
; COMPUTE_PGM_RSRC2:TGID_Y_EN: 0
; COMPUTE_PGM_RSRC2:TGID_Z_EN: 0
; COMPUTE_PGM_RSRC2:TIDIG_COMP_CNT: 0
	.section	.text._ZN9rocsparseL48csr2gebsr_nnz_wavefront_per_row_multipass_kernelILj256ELj8ELi16EEEviiiiii21rocsparse_index_base_PKiS3_S1_Pi,"axG",@progbits,_ZN9rocsparseL48csr2gebsr_nnz_wavefront_per_row_multipass_kernelILj256ELj8ELi16EEEviiiiii21rocsparse_index_base_PKiS3_S1_Pi,comdat
	.globl	_ZN9rocsparseL48csr2gebsr_nnz_wavefront_per_row_multipass_kernelILj256ELj8ELi16EEEviiiiii21rocsparse_index_base_PKiS3_S1_Pi ; -- Begin function _ZN9rocsparseL48csr2gebsr_nnz_wavefront_per_row_multipass_kernelILj256ELj8ELi16EEEviiiiii21rocsparse_index_base_PKiS3_S1_Pi
	.p2align	8
	.type	_ZN9rocsparseL48csr2gebsr_nnz_wavefront_per_row_multipass_kernelILj256ELj8ELi16EEEviiiiii21rocsparse_index_base_PKiS3_S1_Pi,@function
_ZN9rocsparseL48csr2gebsr_nnz_wavefront_per_row_multipass_kernelILj256ELj8ELi16EEEviiiiii21rocsparse_index_base_PKiS3_S1_Pi: ; @_ZN9rocsparseL48csr2gebsr_nnz_wavefront_per_row_multipass_kernelILj256ELj8ELi16EEEviiiiii21rocsparse_index_base_PKiS3_S1_Pi
; %bb.0:
	s_clause 0x1
	s_load_b128 s[4:7], s[0:1], 0x8
	s_load_b32 s2, s[0:1], 0x0
	s_bfe_u32 s3, ttmp6, 0x4000c
	s_and_b32 s8, ttmp6, 15
	s_add_co_i32 s3, s3, 1
	s_getreg_b32 s9, hwreg(HW_REG_IB_STS2, 6, 4)
	s_mul_i32 s3, ttmp9, s3
	v_dual_mov_b32 v5, 0 :: v_dual_lshrrev_b32 v4, 4, v0
	s_add_co_i32 s8, s8, s3
	s_cmp_eq_u32 s9, 0
	v_bfe_u32 v6, v0, 1, 3
	s_cselect_b32 s3, ttmp9, s8
	s_clause 0x1
	s_load_b32 s12, s[0:1], 0x18
	s_load_b64 s[8:9], s[0:1], 0x20
	v_lshl_or_b32 v2, s3, 4, v4
	v_dual_lshlrev_b32 v3, 2, v4 :: v_dual_mov_b32 v15, 0
	ds_store_b32 v3, v5
	s_wait_kmcnt 0x0
	v_mad_u32 v1, v2, s6, v6
	s_wait_dscnt 0x0
	s_barrier_signal -1
	s_barrier_wait -1
	s_delay_alu instid0(VALU_DEP_1) | instskip(SKIP_2) | instid1(SALU_CYCLE_1)
	v_cmp_gt_i32_e32 vcc_lo, s2, v1
	v_cmp_gt_i32_e64 s2, s6, v6
	s_and_b32 s2, s2, vcc_lo
	s_and_saveexec_b32 s3, s2
	s_cbranch_execz .LBB11_2
; %bb.1:
	global_load_b32 v6, v1, s[8:9] scale_offset
	s_wait_loadcnt 0x0
	v_subrev_nc_u32_e32 v15, s12, v6
.LBB11_2:
	s_or_b32 exec_lo, exec_lo, s3
	s_and_saveexec_b32 s3, s2
	s_cbranch_execz .LBB11_4
; %bb.3:
	global_load_b32 v1, v1, s[8:9] offset:4 scale_offset
	s_wait_loadcnt 0x0
	v_subrev_nc_u32_e32 v5, s12, v1
.LBB11_4:
	s_or_b32 exec_lo, exec_lo, s3
	v_and_b32_e32 v6, 15, v0
	s_cmp_lt_i32 s5, 1
	s_delay_alu instid0(VALU_DEP_1)
	v_cmp_eq_u32_e32 vcc_lo, 0, v6
	s_cbranch_scc1 .LBB11_18
; %bb.5:
	v_mbcnt_lo_u32_b32 v1, -1, 0
	s_abs_i32 s6, s7
	v_and_b32_e32 v7, 1, v0
	s_cvt_f32_u32 s2, s6
	s_load_b64 s[8:9], s[0:1], 0x28
	v_dual_lshlrev_b32 v0, 2, v1 :: v_dual_bitop2_b32 v8, 1, v1 bitop3:0x14
	s_delay_alu instid0(SALU_CYCLE_1) | instskip(SKIP_2) | instid1(VALU_DEP_2)
	v_rcp_iflag_f32_e32 v10, s2
	v_mov_b32_e32 v17, 0
	s_mov_b32 s11, 0
	v_cmp_gt_i32_e64 s2, 32, v8
	s_ashr_i32 s7, s7, 31
	s_mov_b32 s13, s11
	v_xor_b32_e32 v11, 8, v1
	v_readfirstlane_b32 s3, v10
	v_dual_cndmask_b32 v9, v1, v8, s2 :: v_dual_mov_b32 v14, 1
	s_delay_alu instid0(VALU_DEP_3) | instskip(SKIP_3) | instid1(VALU_DEP_2)
	v_cmp_gt_i32_e64 s2, 32, v11
	v_xor_b32_e32 v12, 4, v1
	s_mul_f32 s3, s3, 0x4f7ffffe
	v_dual_lshlrev_b32 v9, 2, v9 :: v_dual_cndmask_b32 v10, v1, v11, s2
	v_cmp_gt_i32_e64 s2, 32, v12
	s_delay_alu instid0(VALU_DEP_1) | instskip(NEXT) | instid1(VALU_DEP_1)
	v_dual_cndmask_b32 v11, v1, v12, s2 :: v_dual_bitop2_b32 v13, 2, v1 bitop3:0x14
	v_cmp_gt_i32_e64 s2, 32, v13
	s_delay_alu instid0(VALU_DEP_4) | instskip(NEXT) | instid1(VALU_DEP_2)
	v_dual_lshlrev_b32 v10, 2, v10 :: v_dual_bitop2_b32 v8, 4, v0 bitop3:0x54
	v_dual_lshlrev_b32 v11, 2, v11 :: v_dual_cndmask_b32 v1, v1, v13, s2
	s_cvt_u32_f32 s2, s3
	s_sub_co_i32 s3, 0, s6
	s_delay_alu instid0(VALU_DEP_1) | instskip(NEXT) | instid1(SALU_CYCLE_1)
	v_dual_lshlrev_b32 v12, 2, v1 :: v_dual_bitop2_b32 v13, 60, v0 bitop3:0x54
	s_mul_i32 s3, s3, s2
	v_mov_b32_e32 v1, 0
	s_mul_hi_u32 s3, s2, s3
	s_delay_alu instid0(SALU_CYCLE_1)
	s_add_co_i32 s10, s2, s3
	s_branch .LBB11_7
.LBB11_6:                               ;   in Loop: Header=BB11_7 Depth=1
	s_or_b32 exec_lo, exec_lo, s2
	ds_bpermute_b32 v0, v10, v16
	s_wait_dscnt 0x0
	v_min_i32_e32 v0, v0, v16
	ds_bpermute_b32 v16, v11, v0
	s_wait_dscnt 0x0
	v_min_i32_e32 v0, v16, v0
	;; [unrolled: 3-line block ×4, first 2 shown]
	ds_bpermute_b32 v17, v13, v0
	s_wait_dscnt 0x0
	v_cmp_le_i32_e64 s2, s5, v17
	s_or_b32 s13, s2, s13
	s_delay_alu instid0(SALU_CYCLE_1)
	s_and_not1_b32 exec_lo, exec_lo, s13
	s_cbranch_execz .LBB11_17
.LBB11_7:                               ; =>This Loop Header: Depth=1
                                        ;     Child Loop BB11_10 Depth 2
	v_dual_mov_b32 v16, s5 :: v_dual_add_nc_u32 v15, v15, v7
	v_mov_b32_e32 v18, v5
	s_mov_b32 s14, exec_lo
	ds_store_b8 v4, v1 offset:64
	s_wait_dscnt 0x0
	v_cmpx_lt_i32_e64 v15, v5
	s_cbranch_execz .LBB11_15
; %bb.8:                                ;   in Loop: Header=BB11_7 Depth=1
	v_dual_mov_b32 v16, s5 :: v_dual_mov_b32 v18, v5
	s_mov_b32 s15, 0
	s_branch .LBB11_10
.LBB11_9:                               ;   in Loop: Header=BB11_10 Depth=2
	s_or_b32 exec_lo, exec_lo, s3
	v_add_nc_u32_e32 v15, 2, v15
	s_xor_b32 s2, s2, -1
	s_delay_alu instid0(VALU_DEP_1) | instskip(SKIP_1) | instid1(SALU_CYCLE_1)
	v_cmp_ge_i32_e64 s3, v15, v5
	s_or_b32 s2, s2, s3
	s_and_b32 s2, exec_lo, s2
	s_delay_alu instid0(SALU_CYCLE_1) | instskip(NEXT) | instid1(SALU_CYCLE_1)
	s_or_b32 s15, s2, s15
	s_and_not1_b32 exec_lo, exec_lo, s15
	s_cbranch_execz .LBB11_14
.LBB11_10:                              ;   Parent Loop BB11_7 Depth=1
                                        ; =>  This Inner Loop Header: Depth=2
	s_wait_kmcnt 0x0
	global_load_b32 v0, v15, s[8:9] scale_offset
	s_wait_loadcnt 0x0
	v_subrev_nc_u32_e32 v19, s12, v0
	s_delay_alu instid0(VALU_DEP_1) | instskip(NEXT) | instid1(VALU_DEP_1)
	v_sub_nc_u32_e32 v0, 0, v19
	v_dual_ashrrev_i32 v19, 31, v19 :: v_dual_max_i32 v0, v19, v0
	s_delay_alu instid0(VALU_DEP_1) | instskip(NEXT) | instid1(VALU_DEP_1)
	v_mul_u64_e32 v[20:21], s[10:11], v[0:1]
	v_mul_lo_u32 v20, v21, s6
	s_delay_alu instid0(VALU_DEP_1) | instskip(NEXT) | instid1(VALU_DEP_1)
	v_dual_sub_nc_u32 v0, v0, v20 :: v_dual_add_nc_u32 v20, 1, v21
	v_cmp_le_u32_e64 s2, s6, v0
	s_delay_alu instid0(VALU_DEP_1) | instskip(SKIP_1) | instid1(VALU_DEP_1)
	v_cndmask_b32_e64 v20, v21, v20, s2
	v_subrev_nc_u32_e32 v22, s6, v0
	v_dual_add_nc_u32 v21, 1, v20 :: v_dual_cndmask_b32 v0, v0, v22, s2
	s_delay_alu instid0(VALU_DEP_1) | instskip(NEXT) | instid1(VALU_DEP_1)
	v_cmp_le_u32_e64 s2, s6, v0
	v_dual_cndmask_b32 v0, v20, v21, s2 :: v_dual_bitop2_b32 v19, s7, v19 bitop3:0x14
	s_delay_alu instid0(VALU_DEP_1) | instskip(NEXT) | instid1(VALU_DEP_1)
	v_xor_b32_e32 v0, v0, v19
	v_dual_mov_b32 v0, v18 :: v_dual_sub_nc_u32 v19, v0, v19
	s_delay_alu instid0(VALU_DEP_1) | instskip(SKIP_3) | instid1(SALU_CYCLE_1)
	v_cmp_eq_u32_e64 s2, v19, v17
	v_cmp_ne_u32_e64 s3, v19, v17
	s_wait_xcnt 0x0
	s_and_saveexec_b32 s16, s3
	s_xor_b32 s3, exec_lo, s16
; %bb.11:                               ;   in Loop: Header=BB11_10 Depth=2
	v_min_i32_e32 v16, v19, v16
                                        ; implicit-def: $vgpr0
; %bb.12:                               ;   in Loop: Header=BB11_10 Depth=2
	s_or_saveexec_b32 s3, s3
	v_mov_b32_e32 v18, v15
	s_xor_b32 exec_lo, exec_lo, s3
	s_cbranch_execz .LBB11_9
; %bb.13:                               ;   in Loop: Header=BB11_10 Depth=2
	v_mov_b32_e32 v18, v0
	ds_store_b8 v4, v14 offset:64
	s_branch .LBB11_9
.LBB11_14:                              ;   in Loop: Header=BB11_7 Depth=1
	s_or_b32 exec_lo, exec_lo, s15
.LBB11_15:                              ;   in Loop: Header=BB11_7 Depth=1
	s_delay_alu instid0(SALU_CYCLE_1)
	s_or_b32 exec_lo, exec_lo, s14
	ds_bpermute_b32 v0, v9, v18
	s_wait_dscnt 0x0
	ds_load_u8 v17, v4 offset:64
	v_min_i32_e32 v0, v0, v18
	ds_bpermute_b32 v15, v8, v0
	s_wait_dscnt 0x1
	v_and_b32_e32 v0, 1, v17
	s_delay_alu instid0(VALU_DEP_1) | instskip(SKIP_1) | instid1(SALU_CYCLE_1)
	v_cmp_eq_u32_e64 s2, 1, v0
	s_and_b32 s3, vcc_lo, s2
	s_and_saveexec_b32 s2, s3
	s_cbranch_execz .LBB11_6
; %bb.16:                               ;   in Loop: Header=BB11_7 Depth=1
	ds_load_b32 v0, v3
	s_wait_dscnt 0x0
	v_add_nc_u32_e32 v0, 1, v0
	ds_store_b32 v3, v0
	s_branch .LBB11_6
.LBB11_17:
	s_or_b32 exec_lo, exec_lo, s13
.LBB11_18:
	s_delay_alu instid0(SALU_CYCLE_1)
	s_mov_b32 s2, exec_lo
	v_cmpx_eq_u32_e32 0, v6
	s_cbranch_execz .LBB11_21
; %bb.19:
	s_clause 0x1
	s_load_b32 s5, s[0:1], 0x30
	s_load_b64 s[2:3], s[0:1], 0x38
	v_mov_b32_e32 v0, 0
	v_cmp_gt_u32_e32 vcc_lo, s4, v2
	s_wait_kmcnt 0x0
	v_mov_b32_e32 v1, s5
	global_store_b32 v0, v1, s[2:3]
	s_wait_xcnt 0x0
	s_and_b32 exec_lo, exec_lo, vcc_lo
	s_cbranch_execz .LBB11_21
; %bb.20:
	ds_load_b32 v0, v3
	s_wait_dscnt 0x0
	global_store_b32 v2, v0, s[2:3] offset:4 scale_offset
.LBB11_21:
	s_endpgm
	.section	.rodata,"a",@progbits
	.p2align	6, 0x0
	.amdhsa_kernel _ZN9rocsparseL48csr2gebsr_nnz_wavefront_per_row_multipass_kernelILj256ELj8ELi16EEEviiiiii21rocsparse_index_base_PKiS3_S1_Pi
		.amdhsa_group_segment_fixed_size 80
		.amdhsa_private_segment_fixed_size 0
		.amdhsa_kernarg_size 64
		.amdhsa_user_sgpr_count 2
		.amdhsa_user_sgpr_dispatch_ptr 0
		.amdhsa_user_sgpr_queue_ptr 0
		.amdhsa_user_sgpr_kernarg_segment_ptr 1
		.amdhsa_user_sgpr_dispatch_id 0
		.amdhsa_user_sgpr_kernarg_preload_length 0
		.amdhsa_user_sgpr_kernarg_preload_offset 0
		.amdhsa_user_sgpr_private_segment_size 0
		.amdhsa_wavefront_size32 1
		.amdhsa_uses_dynamic_stack 0
		.amdhsa_enable_private_segment 0
		.amdhsa_system_sgpr_workgroup_id_x 1
		.amdhsa_system_sgpr_workgroup_id_y 0
		.amdhsa_system_sgpr_workgroup_id_z 0
		.amdhsa_system_sgpr_workgroup_info 0
		.amdhsa_system_vgpr_workitem_id 0
		.amdhsa_next_free_vgpr 23
		.amdhsa_next_free_sgpr 17
		.amdhsa_named_barrier_count 0
		.amdhsa_reserve_vcc 1
		.amdhsa_float_round_mode_32 0
		.amdhsa_float_round_mode_16_64 0
		.amdhsa_float_denorm_mode_32 3
		.amdhsa_float_denorm_mode_16_64 3
		.amdhsa_fp16_overflow 0
		.amdhsa_memory_ordered 1
		.amdhsa_forward_progress 1
		.amdhsa_inst_pref_size 9
		.amdhsa_round_robin_scheduling 0
		.amdhsa_exception_fp_ieee_invalid_op 0
		.amdhsa_exception_fp_denorm_src 0
		.amdhsa_exception_fp_ieee_div_zero 0
		.amdhsa_exception_fp_ieee_overflow 0
		.amdhsa_exception_fp_ieee_underflow 0
		.amdhsa_exception_fp_ieee_inexact 0
		.amdhsa_exception_int_div_zero 0
	.end_amdhsa_kernel
	.section	.text._ZN9rocsparseL48csr2gebsr_nnz_wavefront_per_row_multipass_kernelILj256ELj8ELi16EEEviiiiii21rocsparse_index_base_PKiS3_S1_Pi,"axG",@progbits,_ZN9rocsparseL48csr2gebsr_nnz_wavefront_per_row_multipass_kernelILj256ELj8ELi16EEEviiiiii21rocsparse_index_base_PKiS3_S1_Pi,comdat
.Lfunc_end11:
	.size	_ZN9rocsparseL48csr2gebsr_nnz_wavefront_per_row_multipass_kernelILj256ELj8ELi16EEEviiiiii21rocsparse_index_base_PKiS3_S1_Pi, .Lfunc_end11-_ZN9rocsparseL48csr2gebsr_nnz_wavefront_per_row_multipass_kernelILj256ELj8ELi16EEEviiiiii21rocsparse_index_base_PKiS3_S1_Pi
                                        ; -- End function
	.set _ZN9rocsparseL48csr2gebsr_nnz_wavefront_per_row_multipass_kernelILj256ELj8ELi16EEEviiiiii21rocsparse_index_base_PKiS3_S1_Pi.num_vgpr, 23
	.set _ZN9rocsparseL48csr2gebsr_nnz_wavefront_per_row_multipass_kernelILj256ELj8ELi16EEEviiiiii21rocsparse_index_base_PKiS3_S1_Pi.num_agpr, 0
	.set _ZN9rocsparseL48csr2gebsr_nnz_wavefront_per_row_multipass_kernelILj256ELj8ELi16EEEviiiiii21rocsparse_index_base_PKiS3_S1_Pi.numbered_sgpr, 17
	.set _ZN9rocsparseL48csr2gebsr_nnz_wavefront_per_row_multipass_kernelILj256ELj8ELi16EEEviiiiii21rocsparse_index_base_PKiS3_S1_Pi.num_named_barrier, 0
	.set _ZN9rocsparseL48csr2gebsr_nnz_wavefront_per_row_multipass_kernelILj256ELj8ELi16EEEviiiiii21rocsparse_index_base_PKiS3_S1_Pi.private_seg_size, 0
	.set _ZN9rocsparseL48csr2gebsr_nnz_wavefront_per_row_multipass_kernelILj256ELj8ELi16EEEviiiiii21rocsparse_index_base_PKiS3_S1_Pi.uses_vcc, 1
	.set _ZN9rocsparseL48csr2gebsr_nnz_wavefront_per_row_multipass_kernelILj256ELj8ELi16EEEviiiiii21rocsparse_index_base_PKiS3_S1_Pi.uses_flat_scratch, 0
	.set _ZN9rocsparseL48csr2gebsr_nnz_wavefront_per_row_multipass_kernelILj256ELj8ELi16EEEviiiiii21rocsparse_index_base_PKiS3_S1_Pi.has_dyn_sized_stack, 0
	.set _ZN9rocsparseL48csr2gebsr_nnz_wavefront_per_row_multipass_kernelILj256ELj8ELi16EEEviiiiii21rocsparse_index_base_PKiS3_S1_Pi.has_recursion, 0
	.set _ZN9rocsparseL48csr2gebsr_nnz_wavefront_per_row_multipass_kernelILj256ELj8ELi16EEEviiiiii21rocsparse_index_base_PKiS3_S1_Pi.has_indirect_call, 0
	.section	.AMDGPU.csdata,"",@progbits
; Kernel info:
; codeLenInByte = 1128
; TotalNumSgprs: 19
; NumVgprs: 23
; ScratchSize: 0
; MemoryBound: 0
; FloatMode: 240
; IeeeMode: 1
; LDSByteSize: 80 bytes/workgroup (compile time only)
; SGPRBlocks: 0
; VGPRBlocks: 1
; NumSGPRsForWavesPerEU: 19
; NumVGPRsForWavesPerEU: 23
; NamedBarCnt: 0
; Occupancy: 16
; WaveLimiterHint : 0
; COMPUTE_PGM_RSRC2:SCRATCH_EN: 0
; COMPUTE_PGM_RSRC2:USER_SGPR: 2
; COMPUTE_PGM_RSRC2:TRAP_HANDLER: 0
; COMPUTE_PGM_RSRC2:TGID_X_EN: 1
; COMPUTE_PGM_RSRC2:TGID_Y_EN: 0
; COMPUTE_PGM_RSRC2:TGID_Z_EN: 0
; COMPUTE_PGM_RSRC2:TIDIG_COMP_CNT: 0
	.section	.text._ZN9rocsparseL48csr2gebsr_nnz_wavefront_per_row_multipass_kernelILj256ELj8ELi32EEEviiiiii21rocsparse_index_base_PKiS3_S1_Pi,"axG",@progbits,_ZN9rocsparseL48csr2gebsr_nnz_wavefront_per_row_multipass_kernelILj256ELj8ELi32EEEviiiiii21rocsparse_index_base_PKiS3_S1_Pi,comdat
	.globl	_ZN9rocsparseL48csr2gebsr_nnz_wavefront_per_row_multipass_kernelILj256ELj8ELi32EEEviiiiii21rocsparse_index_base_PKiS3_S1_Pi ; -- Begin function _ZN9rocsparseL48csr2gebsr_nnz_wavefront_per_row_multipass_kernelILj256ELj8ELi32EEEviiiiii21rocsparse_index_base_PKiS3_S1_Pi
	.p2align	8
	.type	_ZN9rocsparseL48csr2gebsr_nnz_wavefront_per_row_multipass_kernelILj256ELj8ELi32EEEviiiiii21rocsparse_index_base_PKiS3_S1_Pi,@function
_ZN9rocsparseL48csr2gebsr_nnz_wavefront_per_row_multipass_kernelILj256ELj8ELi32EEEviiiiii21rocsparse_index_base_PKiS3_S1_Pi: ; @_ZN9rocsparseL48csr2gebsr_nnz_wavefront_per_row_multipass_kernelILj256ELj8ELi32EEEviiiiii21rocsparse_index_base_PKiS3_S1_Pi
; %bb.0:
	s_clause 0x1
	s_load_b128 s[4:7], s[0:1], 0x8
	s_load_b32 s2, s[0:1], 0x0
	s_bfe_u32 s3, ttmp6, 0x4000c
	s_and_b32 s8, ttmp6, 15
	s_add_co_i32 s3, s3, 1
	s_getreg_b32 s9, hwreg(HW_REG_IB_STS2, 6, 4)
	s_mul_i32 s3, ttmp9, s3
	v_dual_mov_b32 v5, 0 :: v_dual_lshrrev_b32 v4, 5, v0
	s_add_co_i32 s8, s8, s3
	s_cmp_eq_u32 s9, 0
	v_bfe_u32 v6, v0, 2, 3
	s_cselect_b32 s3, ttmp9, s8
	s_clause 0x1
	s_load_b32 s12, s[0:1], 0x18
	s_load_b64 s[8:9], s[0:1], 0x20
	v_lshl_or_b32 v2, s3, 3, v4
	v_dual_mov_b32 v16, 0 :: v_dual_lshlrev_b32 v3, 2, v4
	ds_store_b32 v3, v5
	s_wait_kmcnt 0x0
	v_mad_u32 v1, v2, s6, v6
	s_wait_dscnt 0x0
	s_barrier_signal -1
	s_barrier_wait -1
	s_delay_alu instid0(VALU_DEP_1) | instskip(SKIP_2) | instid1(SALU_CYCLE_1)
	v_cmp_gt_i32_e32 vcc_lo, s2, v1
	v_cmp_gt_i32_e64 s2, s6, v6
	s_and_b32 s2, s2, vcc_lo
	s_and_saveexec_b32 s3, s2
	s_cbranch_execz .LBB12_2
; %bb.1:
	global_load_b32 v6, v1, s[8:9] scale_offset
	s_wait_loadcnt 0x0
	v_subrev_nc_u32_e32 v16, s12, v6
.LBB12_2:
	s_or_b32 exec_lo, exec_lo, s3
	s_and_saveexec_b32 s3, s2
	s_cbranch_execz .LBB12_4
; %bb.3:
	global_load_b32 v1, v1, s[8:9] offset:4 scale_offset
	s_wait_loadcnt 0x0
	v_subrev_nc_u32_e32 v5, s12, v1
.LBB12_4:
	s_or_b32 exec_lo, exec_lo, s3
	v_and_b32_e32 v6, 31, v0
	s_cmp_lt_i32 s5, 1
	s_delay_alu instid0(VALU_DEP_1)
	v_cmp_eq_u32_e32 vcc_lo, 0, v6
	s_cbranch_scc1 .LBB12_18
; %bb.5:
	v_mbcnt_lo_u32_b32 v1, -1, 0
	s_abs_i32 s6, s7
	s_load_b64 s[8:9], s[0:1], 0x28
	s_cvt_f32_u32 s3, s6
	s_mov_b32 s11, 0
	v_xor_b32_e32 v12, 16, v1
	v_xor_b32_e32 v8, 2, v1
	v_rcp_iflag_f32_e32 v11, s3
	v_lshl_or_b32 v10, v1, 2, 12
	s_ashr_i32 s7, s7, 31
	s_mov_b32 s13, s11
	v_cmp_gt_i32_e64 s2, 32, v8
	v_xor_b32_e32 v9, 1, v1
	v_and_b32_e32 v7, 3, v0
	v_readfirstlane_b32 s3, v11
	s_delay_alu instid0(VALU_DEP_4) | instskip(NEXT) | instid1(VALU_DEP_4)
	v_dual_mov_b32 v15, 1 :: v_dual_cndmask_b32 v0, v1, v8, s2
	v_cmp_gt_i32_e64 s2, 32, v9
	v_mov_b32_e32 v14, 0x7c
	s_mul_f32 s3, s3, 0x4f7ffffe
	v_dual_mov_b32 v18, 0 :: v_dual_lshlrev_b32 v8, 2, v0
	v_cndmask_b32_e64 v9, v1, v9, s2
	v_cmp_gt_i32_e64 s2, 32, v12
	s_delay_alu instid0(VALU_DEP_1) | instskip(NEXT) | instid1(VALU_DEP_1)
	v_dual_cndmask_b32 v11, v1, v12, s2 :: v_dual_bitop2_b32 v0, 8, v1 bitop3:0x14
	v_lshlrev_b32_e32 v11, 2, v11
	s_delay_alu instid0(VALU_DEP_2) | instskip(NEXT) | instid1(VALU_DEP_1)
	v_cmp_gt_i32_e64 s2, 32, v0
	v_dual_lshlrev_b32 v9, 2, v9 :: v_dual_cndmask_b32 v0, v1, v0, s2
	s_delay_alu instid0(VALU_DEP_1) | instskip(NEXT) | instid1(VALU_DEP_1)
	v_dual_lshlrev_b32 v12, 2, v0 :: v_dual_bitop2_b32 v13, 4, v1 bitop3:0x14
	v_cmp_gt_i32_e64 s2, 32, v13
	s_delay_alu instid0(VALU_DEP_1) | instskip(SKIP_2) | instid1(SALU_CYCLE_2)
	v_cndmask_b32_e64 v1, v1, v13, s2
	s_cvt_u32_f32 s2, s3
	s_sub_co_i32 s3, 0, s6
	s_mul_i32 s3, s3, s2
	s_delay_alu instid0(VALU_DEP_1) | instskip(SKIP_1) | instid1(SALU_CYCLE_1)
	v_dual_lshlrev_b32 v13, 2, v1 :: v_dual_mov_b32 v1, 0
	s_mul_hi_u32 s3, s2, s3
	s_add_co_i32 s10, s2, s3
	s_branch .LBB12_7
.LBB12_6:                               ;   in Loop: Header=BB12_7 Depth=1
	s_or_b32 exec_lo, exec_lo, s2
	ds_bpermute_b32 v0, v11, v17
	s_wait_dscnt 0x0
	v_min_i32_e32 v0, v0, v17
	ds_bpermute_b32 v17, v12, v0
	s_wait_dscnt 0x0
	v_min_i32_e32 v0, v17, v0
	;; [unrolled: 3-line block ×5, first 2 shown]
	ds_bpermute_b32 v18, v14, v0
	s_wait_dscnt 0x0
	v_cmp_le_i32_e64 s2, s5, v18
	s_or_b32 s13, s2, s13
	s_delay_alu instid0(SALU_CYCLE_1)
	s_and_not1_b32 exec_lo, exec_lo, s13
	s_cbranch_execz .LBB12_17
.LBB12_7:                               ; =>This Loop Header: Depth=1
                                        ;     Child Loop BB12_10 Depth 2
	v_dual_mov_b32 v17, s5 :: v_dual_add_nc_u32 v16, v16, v7
	v_mov_b32_e32 v19, v5
	s_mov_b32 s14, exec_lo
	ds_store_b8 v4, v1 offset:32
	s_wait_dscnt 0x0
	v_cmpx_lt_i32_e64 v16, v5
	s_cbranch_execz .LBB12_15
; %bb.8:                                ;   in Loop: Header=BB12_7 Depth=1
	v_dual_mov_b32 v17, s5 :: v_dual_mov_b32 v19, v5
	s_mov_b32 s15, 0
	s_branch .LBB12_10
.LBB12_9:                               ;   in Loop: Header=BB12_10 Depth=2
	s_or_b32 exec_lo, exec_lo, s3
	v_add_nc_u32_e32 v16, 4, v16
	s_xor_b32 s2, s2, -1
	s_delay_alu instid0(VALU_DEP_1) | instskip(SKIP_1) | instid1(SALU_CYCLE_1)
	v_cmp_ge_i32_e64 s3, v16, v5
	s_or_b32 s2, s2, s3
	s_and_b32 s2, exec_lo, s2
	s_delay_alu instid0(SALU_CYCLE_1) | instskip(NEXT) | instid1(SALU_CYCLE_1)
	s_or_b32 s15, s2, s15
	s_and_not1_b32 exec_lo, exec_lo, s15
	s_cbranch_execz .LBB12_14
.LBB12_10:                              ;   Parent Loop BB12_7 Depth=1
                                        ; =>  This Inner Loop Header: Depth=2
	s_wait_kmcnt 0x0
	global_load_b32 v0, v16, s[8:9] scale_offset
	s_wait_loadcnt 0x0
	v_subrev_nc_u32_e32 v22, s12, v0
	s_delay_alu instid0(VALU_DEP_1) | instskip(NEXT) | instid1(VALU_DEP_1)
	v_sub_nc_u32_e32 v0, 0, v22
	v_max_i32_e32 v0, v22, v0
	s_delay_alu instid0(VALU_DEP_1) | instskip(NEXT) | instid1(VALU_DEP_1)
	v_mul_u64_e32 v[20:21], s[10:11], v[0:1]
	v_mul_lo_u32 v20, v21, s6
	s_delay_alu instid0(VALU_DEP_1) | instskip(NEXT) | instid1(VALU_DEP_1)
	v_dual_sub_nc_u32 v0, v0, v20 :: v_dual_add_nc_u32 v20, 1, v21
	v_cmp_le_u32_e64 s2, s6, v0
	s_delay_alu instid0(VALU_DEP_1) | instskip(SKIP_1) | instid1(VALU_DEP_2)
	v_cndmask_b32_e64 v20, v21, v20, s2
	v_subrev_nc_u32_e32 v23, s6, v0
	v_dual_ashrrev_i32 v21, 31, v22 :: v_dual_add_nc_u32 v22, 1, v20
	s_delay_alu instid0(VALU_DEP_2) | instskip(NEXT) | instid1(VALU_DEP_1)
	v_cndmask_b32_e64 v0, v0, v23, s2
	v_cmp_le_u32_e64 s2, s6, v0
	s_delay_alu instid0(VALU_DEP_1) | instskip(NEXT) | instid1(VALU_DEP_1)
	v_dual_cndmask_b32 v0, v20, v22, s2 :: v_dual_bitop2_b32 v21, s7, v21 bitop3:0x14
	v_xor_b32_e32 v0, v0, v21
	s_delay_alu instid0(VALU_DEP_1) | instskip(NEXT) | instid1(VALU_DEP_1)
	v_dual_sub_nc_u32 v20, v0, v21 :: v_dual_mov_b32 v0, v19
	v_cmp_eq_u32_e64 s2, v20, v18
	v_cmp_ne_u32_e64 s3, v20, v18
	s_wait_xcnt 0x0
	s_and_saveexec_b32 s16, s3
	s_delay_alu instid0(SALU_CYCLE_1)
	s_xor_b32 s3, exec_lo, s16
; %bb.11:                               ;   in Loop: Header=BB12_10 Depth=2
	v_min_i32_e32 v17, v20, v17
                                        ; implicit-def: $vgpr0
; %bb.12:                               ;   in Loop: Header=BB12_10 Depth=2
	s_or_saveexec_b32 s3, s3
	v_mov_b32_e32 v19, v16
	s_xor_b32 exec_lo, exec_lo, s3
	s_cbranch_execz .LBB12_9
; %bb.13:                               ;   in Loop: Header=BB12_10 Depth=2
	v_mov_b32_e32 v19, v0
	ds_store_b8 v4, v15 offset:32
	s_branch .LBB12_9
.LBB12_14:                              ;   in Loop: Header=BB12_7 Depth=1
	s_or_b32 exec_lo, exec_lo, s15
.LBB12_15:                              ;   in Loop: Header=BB12_7 Depth=1
	s_delay_alu instid0(SALU_CYCLE_1)
	s_or_b32 exec_lo, exec_lo, s14
	ds_bpermute_b32 v0, v8, v19
	s_wait_dscnt 0x0
	ds_load_u8 v18, v4 offset:32
	v_min_i32_e32 v0, v0, v19
	ds_bpermute_b32 v16, v9, v0
	s_wait_dscnt 0x0
	v_min_i32_e32 v0, v16, v0
	ds_bpermute_b32 v16, v10, v0
	v_and_b32_e32 v0, 1, v18
	s_delay_alu instid0(VALU_DEP_1) | instskip(SKIP_1) | instid1(SALU_CYCLE_1)
	v_cmp_eq_u32_e64 s2, 1, v0
	s_and_b32 s3, vcc_lo, s2
	s_and_saveexec_b32 s2, s3
	s_cbranch_execz .LBB12_6
; %bb.16:                               ;   in Loop: Header=BB12_7 Depth=1
	ds_load_b32 v0, v3
	s_wait_dscnt 0x0
	v_add_nc_u32_e32 v0, 1, v0
	ds_store_b32 v3, v0
	s_branch .LBB12_6
.LBB12_17:
	s_or_b32 exec_lo, exec_lo, s13
.LBB12_18:
	s_delay_alu instid0(SALU_CYCLE_1)
	s_mov_b32 s2, exec_lo
	v_cmpx_eq_u32_e32 0, v6
	s_cbranch_execz .LBB12_21
; %bb.19:
	s_clause 0x1
	s_load_b32 s5, s[0:1], 0x30
	s_load_b64 s[2:3], s[0:1], 0x38
	v_mov_b32_e32 v0, 0
	v_cmp_gt_u32_e32 vcc_lo, s4, v2
	s_wait_kmcnt 0x0
	v_mov_b32_e32 v1, s5
	global_store_b32 v0, v1, s[2:3]
	s_wait_xcnt 0x0
	s_and_b32 exec_lo, exec_lo, vcc_lo
	s_cbranch_execz .LBB12_21
; %bb.20:
	ds_load_b32 v0, v3
	s_wait_dscnt 0x0
	global_store_b32 v2, v0, s[2:3] offset:4 scale_offset
.LBB12_21:
	s_endpgm
	.section	.rodata,"a",@progbits
	.p2align	6, 0x0
	.amdhsa_kernel _ZN9rocsparseL48csr2gebsr_nnz_wavefront_per_row_multipass_kernelILj256ELj8ELi32EEEviiiiii21rocsparse_index_base_PKiS3_S1_Pi
		.amdhsa_group_segment_fixed_size 40
		.amdhsa_private_segment_fixed_size 0
		.amdhsa_kernarg_size 64
		.amdhsa_user_sgpr_count 2
		.amdhsa_user_sgpr_dispatch_ptr 0
		.amdhsa_user_sgpr_queue_ptr 0
		.amdhsa_user_sgpr_kernarg_segment_ptr 1
		.amdhsa_user_sgpr_dispatch_id 0
		.amdhsa_user_sgpr_kernarg_preload_length 0
		.amdhsa_user_sgpr_kernarg_preload_offset 0
		.amdhsa_user_sgpr_private_segment_size 0
		.amdhsa_wavefront_size32 1
		.amdhsa_uses_dynamic_stack 0
		.amdhsa_enable_private_segment 0
		.amdhsa_system_sgpr_workgroup_id_x 1
		.amdhsa_system_sgpr_workgroup_id_y 0
		.amdhsa_system_sgpr_workgroup_id_z 0
		.amdhsa_system_sgpr_workgroup_info 0
		.amdhsa_system_vgpr_workitem_id 0
		.amdhsa_next_free_vgpr 24
		.amdhsa_next_free_sgpr 17
		.amdhsa_named_barrier_count 0
		.amdhsa_reserve_vcc 1
		.amdhsa_float_round_mode_32 0
		.amdhsa_float_round_mode_16_64 0
		.amdhsa_float_denorm_mode_32 3
		.amdhsa_float_denorm_mode_16_64 3
		.amdhsa_fp16_overflow 0
		.amdhsa_memory_ordered 1
		.amdhsa_forward_progress 1
		.amdhsa_inst_pref_size 10
		.amdhsa_round_robin_scheduling 0
		.amdhsa_exception_fp_ieee_invalid_op 0
		.amdhsa_exception_fp_denorm_src 0
		.amdhsa_exception_fp_ieee_div_zero 0
		.amdhsa_exception_fp_ieee_overflow 0
		.amdhsa_exception_fp_ieee_underflow 0
		.amdhsa_exception_fp_ieee_inexact 0
		.amdhsa_exception_int_div_zero 0
	.end_amdhsa_kernel
	.section	.text._ZN9rocsparseL48csr2gebsr_nnz_wavefront_per_row_multipass_kernelILj256ELj8ELi32EEEviiiiii21rocsparse_index_base_PKiS3_S1_Pi,"axG",@progbits,_ZN9rocsparseL48csr2gebsr_nnz_wavefront_per_row_multipass_kernelILj256ELj8ELi32EEEviiiiii21rocsparse_index_base_PKiS3_S1_Pi,comdat
.Lfunc_end12:
	.size	_ZN9rocsparseL48csr2gebsr_nnz_wavefront_per_row_multipass_kernelILj256ELj8ELi32EEEviiiiii21rocsparse_index_base_PKiS3_S1_Pi, .Lfunc_end12-_ZN9rocsparseL48csr2gebsr_nnz_wavefront_per_row_multipass_kernelILj256ELj8ELi32EEEviiiiii21rocsparse_index_base_PKiS3_S1_Pi
                                        ; -- End function
	.set _ZN9rocsparseL48csr2gebsr_nnz_wavefront_per_row_multipass_kernelILj256ELj8ELi32EEEviiiiii21rocsparse_index_base_PKiS3_S1_Pi.num_vgpr, 24
	.set _ZN9rocsparseL48csr2gebsr_nnz_wavefront_per_row_multipass_kernelILj256ELj8ELi32EEEviiiiii21rocsparse_index_base_PKiS3_S1_Pi.num_agpr, 0
	.set _ZN9rocsparseL48csr2gebsr_nnz_wavefront_per_row_multipass_kernelILj256ELj8ELi32EEEviiiiii21rocsparse_index_base_PKiS3_S1_Pi.numbered_sgpr, 17
	.set _ZN9rocsparseL48csr2gebsr_nnz_wavefront_per_row_multipass_kernelILj256ELj8ELi32EEEviiiiii21rocsparse_index_base_PKiS3_S1_Pi.num_named_barrier, 0
	.set _ZN9rocsparseL48csr2gebsr_nnz_wavefront_per_row_multipass_kernelILj256ELj8ELi32EEEviiiiii21rocsparse_index_base_PKiS3_S1_Pi.private_seg_size, 0
	.set _ZN9rocsparseL48csr2gebsr_nnz_wavefront_per_row_multipass_kernelILj256ELj8ELi32EEEviiiiii21rocsparse_index_base_PKiS3_S1_Pi.uses_vcc, 1
	.set _ZN9rocsparseL48csr2gebsr_nnz_wavefront_per_row_multipass_kernelILj256ELj8ELi32EEEviiiiii21rocsparse_index_base_PKiS3_S1_Pi.uses_flat_scratch, 0
	.set _ZN9rocsparseL48csr2gebsr_nnz_wavefront_per_row_multipass_kernelILj256ELj8ELi32EEEviiiiii21rocsparse_index_base_PKiS3_S1_Pi.has_dyn_sized_stack, 0
	.set _ZN9rocsparseL48csr2gebsr_nnz_wavefront_per_row_multipass_kernelILj256ELj8ELi32EEEviiiiii21rocsparse_index_base_PKiS3_S1_Pi.has_recursion, 0
	.set _ZN9rocsparseL48csr2gebsr_nnz_wavefront_per_row_multipass_kernelILj256ELj8ELi32EEEviiiiii21rocsparse_index_base_PKiS3_S1_Pi.has_indirect_call, 0
	.section	.AMDGPU.csdata,"",@progbits
; Kernel info:
; codeLenInByte = 1188
; TotalNumSgprs: 19
; NumVgprs: 24
; ScratchSize: 0
; MemoryBound: 0
; FloatMode: 240
; IeeeMode: 1
; LDSByteSize: 40 bytes/workgroup (compile time only)
; SGPRBlocks: 0
; VGPRBlocks: 1
; NumSGPRsForWavesPerEU: 19
; NumVGPRsForWavesPerEU: 24
; NamedBarCnt: 0
; Occupancy: 16
; WaveLimiterHint : 0
; COMPUTE_PGM_RSRC2:SCRATCH_EN: 0
; COMPUTE_PGM_RSRC2:USER_SGPR: 2
; COMPUTE_PGM_RSRC2:TRAP_HANDLER: 0
; COMPUTE_PGM_RSRC2:TGID_X_EN: 1
; COMPUTE_PGM_RSRC2:TGID_Y_EN: 0
; COMPUTE_PGM_RSRC2:TGID_Z_EN: 0
; COMPUTE_PGM_RSRC2:TIDIG_COMP_CNT: 0
	.section	.text._ZN9rocsparseL48csr2gebsr_nnz_wavefront_per_row_multipass_kernelILj256ELj8ELi64EEEviiiiii21rocsparse_index_base_PKiS3_S1_Pi,"axG",@progbits,_ZN9rocsparseL48csr2gebsr_nnz_wavefront_per_row_multipass_kernelILj256ELj8ELi64EEEviiiiii21rocsparse_index_base_PKiS3_S1_Pi,comdat
	.globl	_ZN9rocsparseL48csr2gebsr_nnz_wavefront_per_row_multipass_kernelILj256ELj8ELi64EEEviiiiii21rocsparse_index_base_PKiS3_S1_Pi ; -- Begin function _ZN9rocsparseL48csr2gebsr_nnz_wavefront_per_row_multipass_kernelILj256ELj8ELi64EEEviiiiii21rocsparse_index_base_PKiS3_S1_Pi
	.p2align	8
	.type	_ZN9rocsparseL48csr2gebsr_nnz_wavefront_per_row_multipass_kernelILj256ELj8ELi64EEEviiiiii21rocsparse_index_base_PKiS3_S1_Pi,@function
_ZN9rocsparseL48csr2gebsr_nnz_wavefront_per_row_multipass_kernelILj256ELj8ELi64EEEviiiiii21rocsparse_index_base_PKiS3_S1_Pi: ; @_ZN9rocsparseL48csr2gebsr_nnz_wavefront_per_row_multipass_kernelILj256ELj8ELi64EEEviiiiii21rocsparse_index_base_PKiS3_S1_Pi
; %bb.0:
	s_clause 0x1
	s_load_b128 s[4:7], s[0:1], 0x8
	s_load_b32 s2, s[0:1], 0x0
	s_bfe_u32 s3, ttmp6, 0x4000c
	s_and_b32 s8, ttmp6, 15
	s_add_co_i32 s3, s3, 1
	s_getreg_b32 s9, hwreg(HW_REG_IB_STS2, 6, 4)
	s_mul_i32 s3, ttmp9, s3
	v_dual_mov_b32 v5, 0 :: v_dual_lshrrev_b32 v4, 6, v0
	s_add_co_i32 s8, s8, s3
	s_cmp_eq_u32 s9, 0
	v_bfe_u32 v6, v0, 3, 3
	s_cselect_b32 s3, ttmp9, s8
	s_clause 0x1
	s_load_b32 s12, s[0:1], 0x18
	s_load_b64 s[8:9], s[0:1], 0x20
	v_lshl_or_b32 v2, s3, 2, v4
	v_dual_lshlrev_b32 v3, 2, v4 :: v_dual_mov_b32 v17, 0
	ds_store_b32 v3, v5
	s_wait_kmcnt 0x0
	v_mad_u32 v1, v2, s6, v6
	s_wait_dscnt 0x0
	s_barrier_signal -1
	s_barrier_wait -1
	s_delay_alu instid0(VALU_DEP_1) | instskip(SKIP_2) | instid1(SALU_CYCLE_1)
	v_cmp_gt_i32_e32 vcc_lo, s2, v1
	v_cmp_gt_i32_e64 s2, s6, v6
	s_and_b32 s2, s2, vcc_lo
	s_and_saveexec_b32 s3, s2
	s_cbranch_execz .LBB13_2
; %bb.1:
	global_load_b32 v6, v1, s[8:9] scale_offset
	s_wait_loadcnt 0x0
	v_subrev_nc_u32_e32 v17, s12, v6
.LBB13_2:
	s_or_b32 exec_lo, exec_lo, s3
	s_and_saveexec_b32 s3, s2
	s_cbranch_execz .LBB13_4
; %bb.3:
	global_load_b32 v1, v1, s[8:9] offset:4 scale_offset
	s_wait_loadcnt 0x0
	v_subrev_nc_u32_e32 v5, s12, v1
.LBB13_4:
	s_or_b32 exec_lo, exec_lo, s3
	v_and_b32_e32 v6, 63, v0
	s_cmp_lt_i32 s5, 1
	s_delay_alu instid0(VALU_DEP_1)
	v_cmp_eq_u32_e32 vcc_lo, 0, v6
	s_cbranch_scc1 .LBB13_18
; %bb.5:
	v_mbcnt_lo_u32_b32 v1, -1, 0
	v_and_b32_e32 v7, 7, v0
	s_abs_i32 s6, s7
	s_load_b64 s[8:9], s[0:1], 0x28
	s_cvt_f32_u32 s3, s6
	v_xor_b32_e32 v8, 2, v1
	v_xor_b32_e32 v0, 4, v1
	;; [unrolled: 1-line block ×3, first 2 shown]
	v_or_b32_e32 v12, 32, v1
	v_bfrev_b32_e32 v15, 0.5
	s_mov_b32 s11, 0
	v_cmp_gt_i32_e64 s2, 32, v0
	s_ashr_i32 s7, s7, 31
	s_mov_b32 s13, s11
	v_dual_mov_b32 v16, 1 :: v_dual_bitop2_b32 v13, 16, v1 bitop3:0x14
	v_dual_cndmask_b32 v0, v1, v0, s2 :: v_dual_bitop2_b32 v9, 1, v1 bitop3:0x14
	v_cmp_gt_i32_e64 s2, 32, v8
	s_delay_alu instid0(VALU_DEP_1) | instskip(NEXT) | instid1(VALU_DEP_3)
	v_dual_mov_b32 v19, 0 :: v_dual_cndmask_b32 v10, v1, v8, s2
	v_lshlrev_b32_e32 v8, 2, v0
	s_delay_alu instid0(VALU_DEP_4) | instskip(SKIP_1) | instid1(VALU_DEP_1)
	v_cmp_gt_i32_e64 s2, 32, v9
	v_rcp_iflag_f32_e32 v0, s3
	v_cndmask_b32_e64 v11, v1, v9, s2
	v_cmp_gt_i32_e64 s2, 32, v12
	v_lshlrev_b32_e32 v9, 2, v10
	s_delay_alu instid0(TRANS32_DEP_1) | instskip(NEXT) | instid1(VALU_DEP_3)
	v_readfirstlane_b32 s3, v0
	v_dual_cndmask_b32 v0, v1, v12, s2 :: v_dual_lshlrev_b32 v10, 2, v11
	v_cmp_gt_i32_e64 s2, 32, v13
	s_mul_f32 s3, s3, 0x4f7ffffe
	v_lshl_or_b32 v11, v1, 2, 28
	v_dual_lshlrev_b32 v12, 2, v0 :: v_dual_cndmask_b32 v13, v1, v13, s2
	v_cmp_gt_i32_e64 s2, 32, v14
	s_delay_alu instid0(VALU_DEP_1) | instskip(SKIP_2) | instid1(SALU_CYCLE_2)
	v_cndmask_b32_e64 v1, v1, v14, s2
	s_cvt_u32_f32 s2, s3
	s_sub_co_i32 s3, 0, s6
	s_mul_i32 s3, s3, s2
	s_delay_alu instid0(VALU_DEP_1) | instskip(SKIP_2) | instid1(SALU_CYCLE_1)
	v_dual_mov_b32 v1, 0 :: v_dual_lshlrev_b32 v14, 2, v1
	v_lshlrev_b32_e32 v13, 2, v13
	s_mul_hi_u32 s3, s2, s3
	s_add_co_i32 s10, s2, s3
	s_branch .LBB13_7
.LBB13_6:                               ;   in Loop: Header=BB13_7 Depth=1
	s_or_b32 exec_lo, exec_lo, s2
	ds_bpermute_b32 v0, v12, v18
	s_wait_dscnt 0x0
	v_min_i32_e32 v0, v0, v18
	ds_bpermute_b32 v18, v13, v0
	s_wait_dscnt 0x0
	v_min_i32_e32 v0, v18, v0
	;; [unrolled: 3-line block ×6, first 2 shown]
	ds_bpermute_b32 v19, v15, v0
	s_wait_dscnt 0x0
	v_cmp_le_i32_e64 s2, s5, v19
	s_or_b32 s13, s2, s13
	s_delay_alu instid0(SALU_CYCLE_1)
	s_and_not1_b32 exec_lo, exec_lo, s13
	s_cbranch_execz .LBB13_17
.LBB13_7:                               ; =>This Loop Header: Depth=1
                                        ;     Child Loop BB13_10 Depth 2
	v_dual_mov_b32 v18, s5 :: v_dual_add_nc_u32 v17, v17, v7
	v_mov_b32_e32 v20, v5
	s_mov_b32 s14, exec_lo
	ds_store_b8 v4, v1 offset:16
	s_wait_dscnt 0x0
	v_cmpx_lt_i32_e64 v17, v5
	s_cbranch_execz .LBB13_15
; %bb.8:                                ;   in Loop: Header=BB13_7 Depth=1
	v_dual_mov_b32 v18, s5 :: v_dual_mov_b32 v20, v5
	s_mov_b32 s15, 0
	s_branch .LBB13_10
.LBB13_9:                               ;   in Loop: Header=BB13_10 Depth=2
	s_or_b32 exec_lo, exec_lo, s3
	v_add_nc_u32_e32 v17, 8, v17
	s_xor_b32 s2, s2, -1
	s_delay_alu instid0(VALU_DEP_1) | instskip(SKIP_1) | instid1(SALU_CYCLE_1)
	v_cmp_ge_i32_e64 s3, v17, v5
	s_or_b32 s2, s2, s3
	s_and_b32 s2, exec_lo, s2
	s_delay_alu instid0(SALU_CYCLE_1) | instskip(NEXT) | instid1(SALU_CYCLE_1)
	s_or_b32 s15, s2, s15
	s_and_not1_b32 exec_lo, exec_lo, s15
	s_cbranch_execz .LBB13_14
.LBB13_10:                              ;   Parent Loop BB13_7 Depth=1
                                        ; =>  This Inner Loop Header: Depth=2
	s_wait_kmcnt 0x0
	global_load_b32 v0, v17, s[8:9] scale_offset
	s_wait_loadcnt 0x0
	v_subrev_nc_u32_e32 v21, s12, v0
	s_delay_alu instid0(VALU_DEP_1) | instskip(NEXT) | instid1(VALU_DEP_1)
	v_sub_nc_u32_e32 v0, 0, v21
	v_dual_ashrrev_i32 v21, 31, v21 :: v_dual_max_i32 v0, v21, v0
	s_delay_alu instid0(VALU_DEP_1) | instskip(NEXT) | instid1(VALU_DEP_1)
	v_mul_u64_e32 v[22:23], s[10:11], v[0:1]
	v_mul_lo_u32 v22, v23, s6
	s_delay_alu instid0(VALU_DEP_1) | instskip(NEXT) | instid1(VALU_DEP_1)
	v_dual_sub_nc_u32 v0, v0, v22 :: v_dual_add_nc_u32 v22, 1, v23
	v_subrev_nc_u32_e32 v24, s6, v0
	v_cmp_le_u32_e64 s2, s6, v0
	s_delay_alu instid0(VALU_DEP_1) | instskip(NEXT) | instid1(VALU_DEP_1)
	v_dual_cndmask_b32 v22, v23, v22, s2 :: v_dual_cndmask_b32 v0, v0, v24, s2
	v_add_nc_u32_e32 v23, 1, v22
	s_delay_alu instid0(VALU_DEP_2) | instskip(NEXT) | instid1(VALU_DEP_1)
	v_cmp_le_u32_e64 s2, s6, v0
	v_dual_cndmask_b32 v0, v22, v23, s2 :: v_dual_bitop2_b32 v21, s7, v21 bitop3:0x14
	s_delay_alu instid0(VALU_DEP_1) | instskip(NEXT) | instid1(VALU_DEP_1)
	v_xor_b32_e32 v0, v0, v21
	v_sub_nc_u32_e32 v21, v0, v21
	v_mov_b32_e32 v0, v20
	s_delay_alu instid0(VALU_DEP_2) | instskip(SKIP_3) | instid1(SALU_CYCLE_1)
	v_cmp_eq_u32_e64 s2, v21, v19
	v_cmp_ne_u32_e64 s3, v21, v19
	s_wait_xcnt 0x0
	s_and_saveexec_b32 s16, s3
	s_xor_b32 s3, exec_lo, s16
; %bb.11:                               ;   in Loop: Header=BB13_10 Depth=2
	v_min_i32_e32 v18, v21, v18
                                        ; implicit-def: $vgpr0
; %bb.12:                               ;   in Loop: Header=BB13_10 Depth=2
	s_or_saveexec_b32 s3, s3
	v_mov_b32_e32 v20, v17
	s_xor_b32 exec_lo, exec_lo, s3
	s_cbranch_execz .LBB13_9
; %bb.13:                               ;   in Loop: Header=BB13_10 Depth=2
	v_mov_b32_e32 v20, v0
	ds_store_b8 v4, v16 offset:16
	s_branch .LBB13_9
.LBB13_14:                              ;   in Loop: Header=BB13_7 Depth=1
	s_or_b32 exec_lo, exec_lo, s15
.LBB13_15:                              ;   in Loop: Header=BB13_7 Depth=1
	s_delay_alu instid0(SALU_CYCLE_1)
	s_or_b32 exec_lo, exec_lo, s14
	ds_bpermute_b32 v0, v8, v20
	s_wait_dscnt 0x0
	ds_load_u8 v19, v4 offset:16
	v_min_i32_e32 v0, v0, v20
	ds_bpermute_b32 v17, v9, v0
	s_wait_dscnt 0x0
	v_min_i32_e32 v0, v17, v0
	ds_bpermute_b32 v17, v10, v0
	s_wait_dscnt 0x0
	v_min_i32_e32 v0, v17, v0
	ds_bpermute_b32 v17, v11, v0
	v_and_b32_e32 v0, 1, v19
	s_delay_alu instid0(VALU_DEP_1) | instskip(SKIP_1) | instid1(SALU_CYCLE_1)
	v_cmp_eq_u32_e64 s2, 1, v0
	s_and_b32 s3, vcc_lo, s2
	s_and_saveexec_b32 s2, s3
	s_cbranch_execz .LBB13_6
; %bb.16:                               ;   in Loop: Header=BB13_7 Depth=1
	ds_load_b32 v0, v3
	s_wait_dscnt 0x0
	v_add_nc_u32_e32 v0, 1, v0
	ds_store_b32 v3, v0
	s_branch .LBB13_6
.LBB13_17:
	s_or_b32 exec_lo, exec_lo, s13
.LBB13_18:
	s_delay_alu instid0(SALU_CYCLE_1)
	s_mov_b32 s2, exec_lo
	v_cmpx_eq_u32_e32 0, v6
	s_cbranch_execz .LBB13_21
; %bb.19:
	s_clause 0x1
	s_load_b32 s5, s[0:1], 0x30
	s_load_b64 s[2:3], s[0:1], 0x38
	v_mov_b32_e32 v0, 0
	v_cmp_gt_u32_e32 vcc_lo, s4, v2
	s_wait_kmcnt 0x0
	v_mov_b32_e32 v1, s5
	global_store_b32 v0, v1, s[2:3]
	s_wait_xcnt 0x0
	s_and_b32 exec_lo, exec_lo, vcc_lo
	s_cbranch_execz .LBB13_21
; %bb.20:
	ds_load_b32 v0, v3
	s_wait_dscnt 0x0
	global_store_b32 v2, v0, s[2:3] offset:4 scale_offset
.LBB13_21:
	s_endpgm
	.section	.rodata,"a",@progbits
	.p2align	6, 0x0
	.amdhsa_kernel _ZN9rocsparseL48csr2gebsr_nnz_wavefront_per_row_multipass_kernelILj256ELj8ELi64EEEviiiiii21rocsparse_index_base_PKiS3_S1_Pi
		.amdhsa_group_segment_fixed_size 20
		.amdhsa_private_segment_fixed_size 0
		.amdhsa_kernarg_size 64
		.amdhsa_user_sgpr_count 2
		.amdhsa_user_sgpr_dispatch_ptr 0
		.amdhsa_user_sgpr_queue_ptr 0
		.amdhsa_user_sgpr_kernarg_segment_ptr 1
		.amdhsa_user_sgpr_dispatch_id 0
		.amdhsa_user_sgpr_kernarg_preload_length 0
		.amdhsa_user_sgpr_kernarg_preload_offset 0
		.amdhsa_user_sgpr_private_segment_size 0
		.amdhsa_wavefront_size32 1
		.amdhsa_uses_dynamic_stack 0
		.amdhsa_enable_private_segment 0
		.amdhsa_system_sgpr_workgroup_id_x 1
		.amdhsa_system_sgpr_workgroup_id_y 0
		.amdhsa_system_sgpr_workgroup_id_z 0
		.amdhsa_system_sgpr_workgroup_info 0
		.amdhsa_system_vgpr_workitem_id 0
		.amdhsa_next_free_vgpr 25
		.amdhsa_next_free_sgpr 17
		.amdhsa_named_barrier_count 0
		.amdhsa_reserve_vcc 1
		.amdhsa_float_round_mode_32 0
		.amdhsa_float_round_mode_16_64 0
		.amdhsa_float_denorm_mode_32 3
		.amdhsa_float_denorm_mode_16_64 3
		.amdhsa_fp16_overflow 0
		.amdhsa_memory_ordered 1
		.amdhsa_forward_progress 1
		.amdhsa_inst_pref_size 10
		.amdhsa_round_robin_scheduling 0
		.amdhsa_exception_fp_ieee_invalid_op 0
		.amdhsa_exception_fp_denorm_src 0
		.amdhsa_exception_fp_ieee_div_zero 0
		.amdhsa_exception_fp_ieee_overflow 0
		.amdhsa_exception_fp_ieee_underflow 0
		.amdhsa_exception_fp_ieee_inexact 0
		.amdhsa_exception_int_div_zero 0
	.end_amdhsa_kernel
	.section	.text._ZN9rocsparseL48csr2gebsr_nnz_wavefront_per_row_multipass_kernelILj256ELj8ELi64EEEviiiiii21rocsparse_index_base_PKiS3_S1_Pi,"axG",@progbits,_ZN9rocsparseL48csr2gebsr_nnz_wavefront_per_row_multipass_kernelILj256ELj8ELi64EEEviiiiii21rocsparse_index_base_PKiS3_S1_Pi,comdat
.Lfunc_end13:
	.size	_ZN9rocsparseL48csr2gebsr_nnz_wavefront_per_row_multipass_kernelILj256ELj8ELi64EEEviiiiii21rocsparse_index_base_PKiS3_S1_Pi, .Lfunc_end13-_ZN9rocsparseL48csr2gebsr_nnz_wavefront_per_row_multipass_kernelILj256ELj8ELi64EEEviiiiii21rocsparse_index_base_PKiS3_S1_Pi
                                        ; -- End function
	.set _ZN9rocsparseL48csr2gebsr_nnz_wavefront_per_row_multipass_kernelILj256ELj8ELi64EEEviiiiii21rocsparse_index_base_PKiS3_S1_Pi.num_vgpr, 25
	.set _ZN9rocsparseL48csr2gebsr_nnz_wavefront_per_row_multipass_kernelILj256ELj8ELi64EEEviiiiii21rocsparse_index_base_PKiS3_S1_Pi.num_agpr, 0
	.set _ZN9rocsparseL48csr2gebsr_nnz_wavefront_per_row_multipass_kernelILj256ELj8ELi64EEEviiiiii21rocsparse_index_base_PKiS3_S1_Pi.numbered_sgpr, 17
	.set _ZN9rocsparseL48csr2gebsr_nnz_wavefront_per_row_multipass_kernelILj256ELj8ELi64EEEviiiiii21rocsparse_index_base_PKiS3_S1_Pi.num_named_barrier, 0
	.set _ZN9rocsparseL48csr2gebsr_nnz_wavefront_per_row_multipass_kernelILj256ELj8ELi64EEEviiiiii21rocsparse_index_base_PKiS3_S1_Pi.private_seg_size, 0
	.set _ZN9rocsparseL48csr2gebsr_nnz_wavefront_per_row_multipass_kernelILj256ELj8ELi64EEEviiiiii21rocsparse_index_base_PKiS3_S1_Pi.uses_vcc, 1
	.set _ZN9rocsparseL48csr2gebsr_nnz_wavefront_per_row_multipass_kernelILj256ELj8ELi64EEEviiiiii21rocsparse_index_base_PKiS3_S1_Pi.uses_flat_scratch, 0
	.set _ZN9rocsparseL48csr2gebsr_nnz_wavefront_per_row_multipass_kernelILj256ELj8ELi64EEEviiiiii21rocsparse_index_base_PKiS3_S1_Pi.has_dyn_sized_stack, 0
	.set _ZN9rocsparseL48csr2gebsr_nnz_wavefront_per_row_multipass_kernelILj256ELj8ELi64EEEviiiiii21rocsparse_index_base_PKiS3_S1_Pi.has_recursion, 0
	.set _ZN9rocsparseL48csr2gebsr_nnz_wavefront_per_row_multipass_kernelILj256ELj8ELi64EEEviiiiii21rocsparse_index_base_PKiS3_S1_Pi.has_indirect_call, 0
	.section	.AMDGPU.csdata,"",@progbits
; Kernel info:
; codeLenInByte = 1220
; TotalNumSgprs: 19
; NumVgprs: 25
; ScratchSize: 0
; MemoryBound: 0
; FloatMode: 240
; IeeeMode: 1
; LDSByteSize: 20 bytes/workgroup (compile time only)
; SGPRBlocks: 0
; VGPRBlocks: 1
; NumSGPRsForWavesPerEU: 19
; NumVGPRsForWavesPerEU: 25
; NamedBarCnt: 0
; Occupancy: 16
; WaveLimiterHint : 0
; COMPUTE_PGM_RSRC2:SCRATCH_EN: 0
; COMPUTE_PGM_RSRC2:USER_SGPR: 2
; COMPUTE_PGM_RSRC2:TRAP_HANDLER: 0
; COMPUTE_PGM_RSRC2:TGID_X_EN: 1
; COMPUTE_PGM_RSRC2:TGID_Y_EN: 0
; COMPUTE_PGM_RSRC2:TGID_Z_EN: 0
; COMPUTE_PGM_RSRC2:TIDIG_COMP_CNT: 0
	.section	.text._ZN9rocsparseL44csr2gebsr_nnz_block_per_row_multipass_kernelILj256ELj16EEEviiiiii21rocsparse_index_base_PKiS3_S1_Pi,"axG",@progbits,_ZN9rocsparseL44csr2gebsr_nnz_block_per_row_multipass_kernelILj256ELj16EEEviiiiii21rocsparse_index_base_PKiS3_S1_Pi,comdat
	.globl	_ZN9rocsparseL44csr2gebsr_nnz_block_per_row_multipass_kernelILj256ELj16EEEviiiiii21rocsparse_index_base_PKiS3_S1_Pi ; -- Begin function _ZN9rocsparseL44csr2gebsr_nnz_block_per_row_multipass_kernelILj256ELj16EEEviiiiii21rocsparse_index_base_PKiS3_S1_Pi
	.p2align	8
	.type	_ZN9rocsparseL44csr2gebsr_nnz_block_per_row_multipass_kernelILj256ELj16EEEviiiiii21rocsparse_index_base_PKiS3_S1_Pi,@function
_ZN9rocsparseL44csr2gebsr_nnz_block_per_row_multipass_kernelILj256ELj16EEEviiiiii21rocsparse_index_base_PKiS3_S1_Pi: ; @_ZN9rocsparseL44csr2gebsr_nnz_block_per_row_multipass_kernelILj256ELj16EEEviiiiii21rocsparse_index_base_PKiS3_S1_Pi
; %bb.0:
	s_clause 0x1
	s_load_b128 s[12:15], s[0:1], 0xc
	s_load_b32 s2, s[0:1], 0x0
	s_bfe_u32 s3, ttmp6, 0x4000c
	s_and_b32 s4, ttmp6, 15
	s_add_co_i32 s3, s3, 1
	s_getreg_b32 s5, hwreg(HW_REG_IB_STS2, 6, 4)
	s_mul_i32 s3, ttmp9, s3
	v_dual_mov_b32 v1, 0 :: v_dual_lshrrev_b32 v2, 4, v0
	s_add_co_i32 s4, s4, s3
	s_cmp_eq_u32 s5, 0
	s_cselect_b32 s11, ttmp9, s4
	s_load_b64 s[4:5], s[0:1], 0x20
	ds_store_b32 v1, v1 offset:1024
	s_wait_dscnt 0x0
	s_barrier_signal -1
	s_barrier_wait -1
	s_wait_kmcnt 0x0
	v_mad_u32 v3, s13, s11, v2
	s_delay_alu instid0(VALU_DEP_1) | instskip(SKIP_3) | instid1(SALU_CYCLE_1)
	v_cmp_gt_i32_e32 vcc_lo, s2, v3
	v_cmp_gt_i32_e64 s2, s13, v2
	v_mov_b32_e32 v2, 0
	s_and_b32 s2, s2, vcc_lo
	s_and_saveexec_b32 s3, s2
	s_cbranch_execnz .LBB14_3
; %bb.1:
	s_or_b32 exec_lo, exec_lo, s3
	s_and_saveexec_b32 s3, s2
	s_cbranch_execnz .LBB14_4
.LBB14_2:
	s_or_b32 exec_lo, exec_lo, s3
	v_cmp_eq_u32_e64 s2, 0, v0
	s_cmp_lt_i32 s12, 1
	s_cbranch_scc0 .LBB14_5
	s_branch .LBB14_33
.LBB14_3:
	global_load_b32 v2, v3, s[4:5] scale_offset
	s_wait_loadcnt 0x0
	v_subrev_nc_u32_e32 v2, s15, v2
	s_or_b32 exec_lo, exec_lo, s3
	s_and_saveexec_b32 s3, s2
	s_cbranch_execz .LBB14_2
.LBB14_4:
	global_load_b32 v1, v3, s[4:5] offset:4 scale_offset
	s_wait_loadcnt 0x0
	v_subrev_nc_u32_e32 v1, s15, v1
	s_or_b32 exec_lo, exec_lo, s3
	v_cmp_eq_u32_e64 s2, 0, v0
	s_cmp_lt_i32 s12, 1
	s_cbranch_scc1 .LBB14_33
.LBB14_5:
	v_mbcnt_lo_u32_b32 v3, -1, 0
	s_abs_i32 s13, s14
	s_load_b64 s[16:17], s[0:1], 0x28
	s_cvt_f32_u32 s3, s13
	s_sub_co_i32 s18, 0, s13
	v_xor_b32_e32 v8, 1, v3
	v_xor_b32_e32 v6, 4, v3
	;; [unrolled: 1-line block ×3, first 2 shown]
	v_rcp_iflag_f32_e32 v9, s3
	v_cmp_gt_u32_e64 s3, 0x80, v0
	v_cmp_gt_u32_e64 s4, 64, v0
	;; [unrolled: 1-line block ×3, first 2 shown]
	v_cmp_gt_i32_e32 vcc_lo, 32, v5
	v_and_b32_e32 v4, 15, v0
	v_cmp_gt_u32_e64 s7, 8, v0
	v_readfirstlane_b32 s5, v9
	v_lshl_or_b32 v9, v3, 2, 60
	v_dual_cndmask_b32 v5, v3, v5, vcc_lo :: v_dual_bitop2_b32 v7, 2, v3 bitop3:0x14
	v_cmp_gt_i32_e32 vcc_lo, 32, v6
	s_mul_f32 s8, s5, 0x4f7ffffe
	v_cmp_gt_u32_e64 s5, 32, v0
	s_delay_alu instid0(VALU_DEP_3)
	v_lshlrev_b32_e32 v5, 2, v5
	v_cmp_gt_u32_e64 s9, 2, v0
	v_cndmask_b32_e32 v6, v3, v6, vcc_lo
	v_cmp_gt_i32_e32 vcc_lo, 32, v7
	s_cvt_u32_f32 s10, s8
	v_cmp_gt_u32_e64 s8, 4, v0
	s_delay_alu instid0(VALU_DEP_3)
	v_dual_mov_b32 v13, 0 :: v_dual_lshlrev_b32 v6, 2, v6
	v_cndmask_b32_e32 v7, v3, v7, vcc_lo
	v_cmp_gt_i32_e32 vcc_lo, 32, v8
	s_mul_i32 s18, s18, s10
	v_mov_b32_e32 v11, 1
	s_mul_hi_u32 s18, s10, s18
	v_lshlrev_b32_e32 v10, 2, v0
	v_dual_cndmask_b32 v8, v3, v8 :: v_dual_mov_b32 v3, 0
	s_mov_b32 s19, 0
	s_ashr_i32 s14, s14, 31
	s_add_co_i32 s18, s10, s18
	s_delay_alu instid0(VALU_DEP_1)
	v_dual_lshlrev_b32 v8, 2, v8 :: v_dual_lshlrev_b32 v7, 2, v7
	s_branch .LBB14_7
.LBB14_6:                               ;   in Loop: Header=BB14_7 Depth=1
	s_or_b32 exec_lo, exec_lo, s10
	s_wait_dscnt 0x0
	s_barrier_signal -1
	s_barrier_wait -1
	ds_load_b32 v13, v3
	s_wait_dscnt 0x0
	s_barrier_signal -1
	s_barrier_wait -1
	v_cmp_gt_i32_e32 vcc_lo, s12, v13
	s_cbranch_vccz .LBB14_33
.LBB14_7:                               ; =>This Loop Header: Depth=1
                                        ;     Child Loop BB14_10 Depth 2
	v_dual_add_nc_u32 v14, v2, v4 :: v_dual_mov_b32 v12, s12
	v_mov_b32_e32 v15, v1
	s_mov_b32 s20, exec_lo
	ds_store_b8 v3, v3 offset:1028
	s_wait_dscnt 0x0
	s_barrier_signal -1
	s_barrier_wait -1
	v_cmpx_lt_i32_e64 v14, v1
	s_cbranch_execz .LBB14_15
; %bb.8:                                ;   in Loop: Header=BB14_7 Depth=1
	v_dual_mov_b32 v12, s12 :: v_dual_mov_b32 v15, v1
	s_mov_b32 s21, 0
	s_branch .LBB14_10
.LBB14_9:                               ;   in Loop: Header=BB14_10 Depth=2
	s_or_b32 exec_lo, exec_lo, s10
	v_add_nc_u32_e32 v14, 16, v14
	s_xor_b32 s22, vcc_lo, -1
	s_delay_alu instid0(VALU_DEP_1) | instskip(SKIP_1) | instid1(SALU_CYCLE_1)
	v_cmp_ge_i32_e64 s10, v14, v1
	s_or_b32 s10, s22, s10
	s_and_b32 s10, exec_lo, s10
	s_delay_alu instid0(SALU_CYCLE_1) | instskip(NEXT) | instid1(SALU_CYCLE_1)
	s_or_b32 s21, s10, s21
	s_and_not1_b32 exec_lo, exec_lo, s21
	s_cbranch_execz .LBB14_14
.LBB14_10:                              ;   Parent Loop BB14_7 Depth=1
                                        ; =>  This Inner Loop Header: Depth=2
	s_wait_kmcnt 0x0
	global_load_b32 v2, v14, s[16:17] scale_offset
	s_wait_loadcnt 0x0
	v_subrev_nc_u32_e32 v18, s15, v2
	s_delay_alu instid0(VALU_DEP_1) | instskip(NEXT) | instid1(VALU_DEP_1)
	v_sub_nc_u32_e32 v2, 0, v18
	v_max_i32_e32 v2, v18, v2
	s_delay_alu instid0(VALU_DEP_1) | instskip(NEXT) | instid1(VALU_DEP_1)
	v_mul_u64_e32 v[16:17], s[18:19], v[2:3]
	v_mul_lo_u32 v16, v17, s13
	s_delay_alu instid0(VALU_DEP_1) | instskip(NEXT) | instid1(VALU_DEP_1)
	v_dual_sub_nc_u32 v2, v2, v16 :: v_dual_add_nc_u32 v16, 1, v17
	v_cmp_le_u32_e32 vcc_lo, s13, v2
	s_delay_alu instid0(VALU_DEP_2) | instskip(SKIP_1) | instid1(VALU_DEP_1)
	v_dual_cndmask_b32 v16, v17, v16 :: v_dual_ashrrev_i32 v17, 31, v18
	v_subrev_nc_u32_e32 v19, s13, v2
	v_dual_add_nc_u32 v18, 1, v16 :: v_dual_cndmask_b32 v2, v2, v19, vcc_lo
	s_delay_alu instid0(VALU_DEP_1) | instskip(NEXT) | instid1(VALU_DEP_2)
	v_cmp_le_u32_e32 vcc_lo, s13, v2
	v_dual_cndmask_b32 v2, v16, v18, vcc_lo :: v_dual_bitop2_b32 v17, s14, v17 bitop3:0x14
	s_delay_alu instid0(VALU_DEP_1) | instskip(NEXT) | instid1(VALU_DEP_1)
	v_xor_b32_e32 v2, v2, v17
	v_dual_sub_nc_u32 v16, v2, v17 :: v_dual_mov_b32 v2, v15
	s_delay_alu instid0(VALU_DEP_1) | instskip(SKIP_3) | instid1(SALU_CYCLE_1)
	v_cmp_ne_u32_e64 s10, v16, v13
	v_cmp_eq_u32_e32 vcc_lo, v16, v13
	s_wait_xcnt 0x0
	s_and_saveexec_b32 s22, s10
	s_xor_b32 s10, exec_lo, s22
; %bb.11:                               ;   in Loop: Header=BB14_10 Depth=2
	v_min_i32_e32 v12, v16, v12
                                        ; implicit-def: $vgpr2
; %bb.12:                               ;   in Loop: Header=BB14_10 Depth=2
	s_or_saveexec_b32 s10, s10
	v_mov_b32_e32 v15, v14
	s_xor_b32 exec_lo, exec_lo, s10
	s_cbranch_execz .LBB14_9
; %bb.13:                               ;   in Loop: Header=BB14_10 Depth=2
	v_mov_b32_e32 v15, v2
	ds_store_b8 v3, v11 offset:1028
	s_branch .LBB14_9
.LBB14_14:                              ;   in Loop: Header=BB14_7 Depth=1
	s_or_b32 exec_lo, exec_lo, s21
.LBB14_15:                              ;   in Loop: Header=BB14_7 Depth=1
	s_delay_alu instid0(SALU_CYCLE_1)
	s_or_b32 exec_lo, exec_lo, s20
	ds_bpermute_b32 v2, v5, v15
	s_wait_dscnt 0x0
	s_barrier_signal -1
	s_barrier_wait -1
	ds_load_u8 v14, v3 offset:1028
	v_min_i32_e32 v2, v2, v15
	s_wait_dscnt 0x0
	v_readfirstlane_b32 s10, v14
	ds_bpermute_b32 v13, v6, v2
	s_bitcmp1_b32 s10, 0
	s_cselect_b32 s10, -1, 0
	s_delay_alu instid0(SALU_CYCLE_1)
	s_and_b32 s20, s2, s10
	s_wait_dscnt 0x0
	v_min_i32_e32 v2, v13, v2
	ds_bpermute_b32 v13, v7, v2
	s_wait_dscnt 0x0
	v_min_i32_e32 v2, v13, v2
	ds_bpermute_b32 v13, v8, v2
	s_wait_dscnt 0x0
	v_min_i32_e32 v2, v13, v2
	ds_bpermute_b32 v2, v9, v2
	s_and_saveexec_b32 s10, s20
	s_cbranch_execz .LBB14_17
; %bb.16:                               ;   in Loop: Header=BB14_7 Depth=1
	ds_load_b32 v13, v3 offset:1024
	s_wait_dscnt 0x0
	v_add_nc_u32_e32 v13, 1, v13
	ds_store_b32 v3, v13 offset:1024
.LBB14_17:                              ;   in Loop: Header=BB14_7 Depth=1
	s_or_b32 exec_lo, exec_lo, s10
	ds_store_b32 v10, v12
	s_wait_dscnt 0x0
	s_barrier_signal -1
	s_barrier_wait -1
	s_and_saveexec_b32 s10, s3
	s_cbranch_execz .LBB14_19
; %bb.18:                               ;   in Loop: Header=BB14_7 Depth=1
	ds_load_2addr_stride64_b32 v[12:13], v10 offset1:2
	s_wait_dscnt 0x0
	v_min_i32_e32 v12, v13, v12
	ds_store_b32 v10, v12
.LBB14_19:                              ;   in Loop: Header=BB14_7 Depth=1
	s_or_b32 exec_lo, exec_lo, s10
	s_wait_dscnt 0x0
	s_barrier_signal -1
	s_barrier_wait -1
	s_and_saveexec_b32 s10, s4
	s_cbranch_execz .LBB14_21
; %bb.20:                               ;   in Loop: Header=BB14_7 Depth=1
	ds_load_2addr_stride64_b32 v[12:13], v10 offset1:1
	s_wait_dscnt 0x0
	v_min_i32_e32 v12, v13, v12
	ds_store_b32 v10, v12
.LBB14_21:                              ;   in Loop: Header=BB14_7 Depth=1
	s_or_b32 exec_lo, exec_lo, s10
	s_wait_dscnt 0x0
	s_barrier_signal -1
	s_barrier_wait -1
	s_and_saveexec_b32 s10, s5
	s_cbranch_execz .LBB14_23
; %bb.22:                               ;   in Loop: Header=BB14_7 Depth=1
	ds_load_2addr_b32 v[12:13], v10 offset1:32
	s_wait_dscnt 0x0
	v_min_i32_e32 v12, v13, v12
	ds_store_b32 v10, v12
.LBB14_23:                              ;   in Loop: Header=BB14_7 Depth=1
	s_or_b32 exec_lo, exec_lo, s10
	s_wait_dscnt 0x0
	s_barrier_signal -1
	s_barrier_wait -1
	s_and_saveexec_b32 s10, s6
	s_cbranch_execz .LBB14_25
; %bb.24:                               ;   in Loop: Header=BB14_7 Depth=1
	ds_load_2addr_b32 v[12:13], v10 offset1:16
	s_wait_dscnt 0x0
	v_min_i32_e32 v12, v13, v12
	ds_store_b32 v10, v12
.LBB14_25:                              ;   in Loop: Header=BB14_7 Depth=1
	;; [unrolled: 12-line block ×5, first 2 shown]
	s_or_b32 exec_lo, exec_lo, s10
	s_wait_dscnt 0x0
	s_barrier_signal -1
	s_barrier_wait -1
	s_and_saveexec_b32 s10, s2
	s_cbranch_execz .LBB14_6
; %bb.32:                               ;   in Loop: Header=BB14_7 Depth=1
	ds_load_b64 v[12:13], v3
	s_wait_dscnt 0x0
	v_min_i32_e32 v12, v13, v12
	ds_store_b32 v3, v12
	s_branch .LBB14_6
.LBB14_33:
	s_mov_b32 s2, exec_lo
	v_cmpx_eq_u32_e32 0, v0
	s_cbranch_execz .LBB14_35
; %bb.34:
	s_load_b32 s2, s[0:1], 0x30
	v_mov_b32_e32 v0, 0
	s_wait_xcnt 0x0
	s_load_b64 s[0:1], s[0:1], 0x38
	s_wait_kmcnt 0x0
	v_dual_mov_b32 v3, s11 :: v_dual_mov_b32 v2, s2
	ds_load_b32 v1, v0 offset:1024
	global_store_b32 v0, v2, s[0:1]
	s_wait_dscnt 0x0
	global_store_b32 v3, v1, s[0:1] offset:4 scale_offset
.LBB14_35:
	s_endpgm
	.section	.rodata,"a",@progbits
	.p2align	6, 0x0
	.amdhsa_kernel _ZN9rocsparseL44csr2gebsr_nnz_block_per_row_multipass_kernelILj256ELj16EEEviiiiii21rocsparse_index_base_PKiS3_S1_Pi
		.amdhsa_group_segment_fixed_size 1032
		.amdhsa_private_segment_fixed_size 0
		.amdhsa_kernarg_size 64
		.amdhsa_user_sgpr_count 2
		.amdhsa_user_sgpr_dispatch_ptr 0
		.amdhsa_user_sgpr_queue_ptr 0
		.amdhsa_user_sgpr_kernarg_segment_ptr 1
		.amdhsa_user_sgpr_dispatch_id 0
		.amdhsa_user_sgpr_kernarg_preload_length 0
		.amdhsa_user_sgpr_kernarg_preload_offset 0
		.amdhsa_user_sgpr_private_segment_size 0
		.amdhsa_wavefront_size32 1
		.amdhsa_uses_dynamic_stack 0
		.amdhsa_enable_private_segment 0
		.amdhsa_system_sgpr_workgroup_id_x 1
		.amdhsa_system_sgpr_workgroup_id_y 0
		.amdhsa_system_sgpr_workgroup_id_z 0
		.amdhsa_system_sgpr_workgroup_info 0
		.amdhsa_system_vgpr_workitem_id 0
		.amdhsa_next_free_vgpr 20
		.amdhsa_next_free_sgpr 23
		.amdhsa_named_barrier_count 0
		.amdhsa_reserve_vcc 1
		.amdhsa_float_round_mode_32 0
		.amdhsa_float_round_mode_16_64 0
		.amdhsa_float_denorm_mode_32 3
		.amdhsa_float_denorm_mode_16_64 3
		.amdhsa_fp16_overflow 0
		.amdhsa_memory_ordered 1
		.amdhsa_forward_progress 1
		.amdhsa_inst_pref_size 12
		.amdhsa_round_robin_scheduling 0
		.amdhsa_exception_fp_ieee_invalid_op 0
		.amdhsa_exception_fp_denorm_src 0
		.amdhsa_exception_fp_ieee_div_zero 0
		.amdhsa_exception_fp_ieee_overflow 0
		.amdhsa_exception_fp_ieee_underflow 0
		.amdhsa_exception_fp_ieee_inexact 0
		.amdhsa_exception_int_div_zero 0
	.end_amdhsa_kernel
	.section	.text._ZN9rocsparseL44csr2gebsr_nnz_block_per_row_multipass_kernelILj256ELj16EEEviiiiii21rocsparse_index_base_PKiS3_S1_Pi,"axG",@progbits,_ZN9rocsparseL44csr2gebsr_nnz_block_per_row_multipass_kernelILj256ELj16EEEviiiiii21rocsparse_index_base_PKiS3_S1_Pi,comdat
.Lfunc_end14:
	.size	_ZN9rocsparseL44csr2gebsr_nnz_block_per_row_multipass_kernelILj256ELj16EEEviiiiii21rocsparse_index_base_PKiS3_S1_Pi, .Lfunc_end14-_ZN9rocsparseL44csr2gebsr_nnz_block_per_row_multipass_kernelILj256ELj16EEEviiiiii21rocsparse_index_base_PKiS3_S1_Pi
                                        ; -- End function
	.set _ZN9rocsparseL44csr2gebsr_nnz_block_per_row_multipass_kernelILj256ELj16EEEviiiiii21rocsparse_index_base_PKiS3_S1_Pi.num_vgpr, 20
	.set _ZN9rocsparseL44csr2gebsr_nnz_block_per_row_multipass_kernelILj256ELj16EEEviiiiii21rocsparse_index_base_PKiS3_S1_Pi.num_agpr, 0
	.set _ZN9rocsparseL44csr2gebsr_nnz_block_per_row_multipass_kernelILj256ELj16EEEviiiiii21rocsparse_index_base_PKiS3_S1_Pi.numbered_sgpr, 23
	.set _ZN9rocsparseL44csr2gebsr_nnz_block_per_row_multipass_kernelILj256ELj16EEEviiiiii21rocsparse_index_base_PKiS3_S1_Pi.num_named_barrier, 0
	.set _ZN9rocsparseL44csr2gebsr_nnz_block_per_row_multipass_kernelILj256ELj16EEEviiiiii21rocsparse_index_base_PKiS3_S1_Pi.private_seg_size, 0
	.set _ZN9rocsparseL44csr2gebsr_nnz_block_per_row_multipass_kernelILj256ELj16EEEviiiiii21rocsparse_index_base_PKiS3_S1_Pi.uses_vcc, 1
	.set _ZN9rocsparseL44csr2gebsr_nnz_block_per_row_multipass_kernelILj256ELj16EEEviiiiii21rocsparse_index_base_PKiS3_S1_Pi.uses_flat_scratch, 0
	.set _ZN9rocsparseL44csr2gebsr_nnz_block_per_row_multipass_kernelILj256ELj16EEEviiiiii21rocsparse_index_base_PKiS3_S1_Pi.has_dyn_sized_stack, 0
	.set _ZN9rocsparseL44csr2gebsr_nnz_block_per_row_multipass_kernelILj256ELj16EEEviiiiii21rocsparse_index_base_PKiS3_S1_Pi.has_recursion, 0
	.set _ZN9rocsparseL44csr2gebsr_nnz_block_per_row_multipass_kernelILj256ELj16EEEviiiiii21rocsparse_index_base_PKiS3_S1_Pi.has_indirect_call, 0
	.section	.AMDGPU.csdata,"",@progbits
; Kernel info:
; codeLenInByte = 1492
; TotalNumSgprs: 25
; NumVgprs: 20
; ScratchSize: 0
; MemoryBound: 0
; FloatMode: 240
; IeeeMode: 1
; LDSByteSize: 1032 bytes/workgroup (compile time only)
; SGPRBlocks: 0
; VGPRBlocks: 1
; NumSGPRsForWavesPerEU: 25
; NumVGPRsForWavesPerEU: 20
; NamedBarCnt: 0
; Occupancy: 16
; WaveLimiterHint : 0
; COMPUTE_PGM_RSRC2:SCRATCH_EN: 0
; COMPUTE_PGM_RSRC2:USER_SGPR: 2
; COMPUTE_PGM_RSRC2:TRAP_HANDLER: 0
; COMPUTE_PGM_RSRC2:TGID_X_EN: 1
; COMPUTE_PGM_RSRC2:TGID_Y_EN: 0
; COMPUTE_PGM_RSRC2:TGID_Z_EN: 0
; COMPUTE_PGM_RSRC2:TIDIG_COMP_CNT: 0
	.section	.text._ZN9rocsparseL44csr2gebsr_nnz_block_per_row_multipass_kernelILj256ELj32EEEviiiiii21rocsparse_index_base_PKiS3_S1_Pi,"axG",@progbits,_ZN9rocsparseL44csr2gebsr_nnz_block_per_row_multipass_kernelILj256ELj32EEEviiiiii21rocsparse_index_base_PKiS3_S1_Pi,comdat
	.globl	_ZN9rocsparseL44csr2gebsr_nnz_block_per_row_multipass_kernelILj256ELj32EEEviiiiii21rocsparse_index_base_PKiS3_S1_Pi ; -- Begin function _ZN9rocsparseL44csr2gebsr_nnz_block_per_row_multipass_kernelILj256ELj32EEEviiiiii21rocsparse_index_base_PKiS3_S1_Pi
	.p2align	8
	.type	_ZN9rocsparseL44csr2gebsr_nnz_block_per_row_multipass_kernelILj256ELj32EEEviiiiii21rocsparse_index_base_PKiS3_S1_Pi,@function
_ZN9rocsparseL44csr2gebsr_nnz_block_per_row_multipass_kernelILj256ELj32EEEviiiiii21rocsparse_index_base_PKiS3_S1_Pi: ; @_ZN9rocsparseL44csr2gebsr_nnz_block_per_row_multipass_kernelILj256ELj32EEEviiiiii21rocsparse_index_base_PKiS3_S1_Pi
; %bb.0:
	s_clause 0x1
	s_load_b128 s[12:15], s[0:1], 0xc
	s_load_b32 s2, s[0:1], 0x0
	s_bfe_u32 s3, ttmp6, 0x4000c
	s_and_b32 s4, ttmp6, 15
	s_add_co_i32 s3, s3, 1
	s_getreg_b32 s5, hwreg(HW_REG_IB_STS2, 6, 4)
	s_mul_i32 s3, ttmp9, s3
	v_dual_mov_b32 v1, 0 :: v_dual_lshrrev_b32 v2, 3, v0
	s_add_co_i32 s4, s4, s3
	s_cmp_eq_u32 s5, 0
	s_cselect_b32 s11, ttmp9, s4
	s_load_b64 s[4:5], s[0:1], 0x20
	ds_store_b32 v1, v1 offset:1024
	s_wait_dscnt 0x0
	s_barrier_signal -1
	s_barrier_wait -1
	s_wait_kmcnt 0x0
	v_mad_u32 v3, s13, s11, v2
	s_delay_alu instid0(VALU_DEP_1) | instskip(SKIP_3) | instid1(SALU_CYCLE_1)
	v_cmp_gt_i32_e32 vcc_lo, s2, v3
	v_cmp_gt_i32_e64 s2, s13, v2
	v_mov_b32_e32 v2, 0
	s_and_b32 s2, s2, vcc_lo
	s_and_saveexec_b32 s3, s2
	s_cbranch_execnz .LBB15_3
; %bb.1:
	s_or_b32 exec_lo, exec_lo, s3
	s_and_saveexec_b32 s3, s2
	s_cbranch_execnz .LBB15_4
.LBB15_2:
	s_or_b32 exec_lo, exec_lo, s3
	v_cmp_eq_u32_e64 s2, 0, v0
	s_cmp_lt_i32 s12, 1
	s_cbranch_scc0 .LBB15_5
	s_branch .LBB15_33
.LBB15_3:
	global_load_b32 v2, v3, s[4:5] scale_offset
	s_wait_loadcnt 0x0
	v_subrev_nc_u32_e32 v2, s15, v2
	s_or_b32 exec_lo, exec_lo, s3
	s_and_saveexec_b32 s3, s2
	s_cbranch_execz .LBB15_2
.LBB15_4:
	global_load_b32 v1, v3, s[4:5] offset:4 scale_offset
	s_wait_loadcnt 0x0
	v_subrev_nc_u32_e32 v1, s15, v1
	s_or_b32 exec_lo, exec_lo, s3
	v_cmp_eq_u32_e64 s2, 0, v0
	s_cmp_lt_i32 s12, 1
	s_cbranch_scc1 .LBB15_33
.LBB15_5:
	v_mbcnt_lo_u32_b32 v3, -1, 0
	s_abs_i32 s13, s14
	s_load_b64 s[16:17], s[0:1], 0x28
	s_cvt_f32_u32 s3, s13
	s_sub_co_i32 s18, 0, s13
	v_xor_b32_e32 v5, 2, v3
	v_xor_b32_e32 v4, 4, v3
	v_rcp_iflag_f32_e32 v9, s3
	v_xor_b32_e32 v6, 1, v3
	v_cmp_gt_u32_e64 s3, 0x80, v0
	v_cmp_gt_u32_e64 s4, 64, v0
	v_cmp_gt_i32_e32 vcc_lo, 32, v4
	v_cmp_gt_u32_e64 s6, 16, v0
	v_cmp_gt_u32_e64 s7, 8, v0
	v_readfirstlane_b32 s5, v9
	v_lshlrev_b32_e32 v9, 2, v0
	v_cndmask_b32_e32 v7, v3, v4, vcc_lo
	v_cmp_gt_i32_e32 vcc_lo, 32, v5
	v_cmp_gt_u32_e64 s9, 2, v0
	s_mul_f32 s8, s5, 0x4f7ffffe
	v_cmp_gt_u32_e64 s5, 32, v0
	s_mov_b32 s19, 0
	v_cndmask_b32_e32 v8, v3, v5, vcc_lo
	v_cmp_gt_i32_e32 vcc_lo, 32, v6
	s_cvt_u32_f32 s10, s8
	v_dual_lshlrev_b32 v5, 2, v7 :: v_dual_bitop2_b32 v4, 7, v0 bitop3:0x40
	v_cmp_gt_u32_e64 s8, 4, v0
	v_cndmask_b32_e32 v10, v3, v6, vcc_lo
	s_mul_i32 s18, s18, s10
	v_lshlrev_b32_e32 v6, 2, v8
	v_lshl_or_b32 v8, v3, 2, 28
	s_delay_alu instid0(VALU_DEP_3)
	v_dual_mov_b32 v3, 0 :: v_dual_lshlrev_b32 v7, 2, v10
	v_dual_mov_b32 v10, 1 :: v_dual_mov_b32 v12, 0
	s_mul_hi_u32 s18, s10, s18
	s_ashr_i32 s14, s14, 31
	s_add_co_i32 s18, s10, s18
	s_branch .LBB15_7
.LBB15_6:                               ;   in Loop: Header=BB15_7 Depth=1
	s_or_b32 exec_lo, exec_lo, s10
	s_wait_dscnt 0x0
	s_barrier_signal -1
	s_barrier_wait -1
	ds_load_b32 v12, v3
	s_wait_dscnt 0x0
	s_barrier_signal -1
	s_barrier_wait -1
	v_cmp_gt_i32_e32 vcc_lo, s12, v12
	s_cbranch_vccz .LBB15_33
.LBB15_7:                               ; =>This Loop Header: Depth=1
                                        ;     Child Loop BB15_10 Depth 2
	v_dual_add_nc_u32 v13, v2, v4 :: v_dual_mov_b32 v11, s12
	v_mov_b32_e32 v14, v1
	s_mov_b32 s20, exec_lo
	ds_store_b8 v3, v3 offset:1028
	s_wait_dscnt 0x0
	s_barrier_signal -1
	s_barrier_wait -1
	v_cmpx_lt_i32_e64 v13, v1
	s_cbranch_execz .LBB15_15
; %bb.8:                                ;   in Loop: Header=BB15_7 Depth=1
	v_dual_mov_b32 v11, s12 :: v_dual_mov_b32 v14, v1
	s_mov_b32 s21, 0
	s_branch .LBB15_10
.LBB15_9:                               ;   in Loop: Header=BB15_10 Depth=2
	s_or_b32 exec_lo, exec_lo, s10
	v_add_nc_u32_e32 v13, 8, v13
	s_xor_b32 s22, vcc_lo, -1
	s_delay_alu instid0(VALU_DEP_1) | instskip(SKIP_1) | instid1(SALU_CYCLE_1)
	v_cmp_ge_i32_e64 s10, v13, v1
	s_or_b32 s10, s22, s10
	s_and_b32 s10, exec_lo, s10
	s_delay_alu instid0(SALU_CYCLE_1) | instskip(NEXT) | instid1(SALU_CYCLE_1)
	s_or_b32 s21, s10, s21
	s_and_not1_b32 exec_lo, exec_lo, s21
	s_cbranch_execz .LBB15_14
.LBB15_10:                              ;   Parent Loop BB15_7 Depth=1
                                        ; =>  This Inner Loop Header: Depth=2
	s_wait_kmcnt 0x0
	global_load_b32 v2, v13, s[16:17] scale_offset
	s_wait_loadcnt 0x0
	v_subrev_nc_u32_e32 v15, s15, v2
	s_delay_alu instid0(VALU_DEP_1) | instskip(NEXT) | instid1(VALU_DEP_1)
	v_sub_nc_u32_e32 v2, 0, v15
	v_dual_ashrrev_i32 v15, 31, v15 :: v_dual_max_i32 v2, v15, v2
	s_delay_alu instid0(VALU_DEP_1) | instskip(NEXT) | instid1(VALU_DEP_1)
	v_mul_u64_e32 v[16:17], s[18:19], v[2:3]
	v_mul_lo_u32 v16, v17, s13
	s_delay_alu instid0(VALU_DEP_1) | instskip(NEXT) | instid1(VALU_DEP_1)
	v_dual_sub_nc_u32 v2, v2, v16 :: v_dual_add_nc_u32 v16, 1, v17
	v_subrev_nc_u32_e32 v18, s13, v2
	v_cmp_le_u32_e32 vcc_lo, s13, v2
	s_delay_alu instid0(VALU_DEP_2) | instskip(NEXT) | instid1(VALU_DEP_1)
	v_dual_cndmask_b32 v16, v17, v16, vcc_lo :: v_dual_cndmask_b32 v2, v2, v18, vcc_lo
	v_add_nc_u32_e32 v17, 1, v16
	s_delay_alu instid0(VALU_DEP_2) | instskip(NEXT) | instid1(VALU_DEP_2)
	v_cmp_le_u32_e32 vcc_lo, s13, v2
	v_dual_cndmask_b32 v2, v16, v17, vcc_lo :: v_dual_bitop2_b32 v15, s14, v15 bitop3:0x14
	s_delay_alu instid0(VALU_DEP_1) | instskip(NEXT) | instid1(VALU_DEP_1)
	v_xor_b32_e32 v2, v2, v15
	v_sub_nc_u32_e32 v15, v2, v15
	v_mov_b32_e32 v2, v14
	s_delay_alu instid0(VALU_DEP_2) | instskip(SKIP_3) | instid1(SALU_CYCLE_1)
	v_cmp_ne_u32_e64 s10, v15, v12
	v_cmp_eq_u32_e32 vcc_lo, v15, v12
	s_wait_xcnt 0x0
	s_and_saveexec_b32 s22, s10
	s_xor_b32 s10, exec_lo, s22
; %bb.11:                               ;   in Loop: Header=BB15_10 Depth=2
	v_min_i32_e32 v11, v15, v11
                                        ; implicit-def: $vgpr2
; %bb.12:                               ;   in Loop: Header=BB15_10 Depth=2
	s_or_saveexec_b32 s10, s10
	v_mov_b32_e32 v14, v13
	s_xor_b32 exec_lo, exec_lo, s10
	s_cbranch_execz .LBB15_9
; %bb.13:                               ;   in Loop: Header=BB15_10 Depth=2
	v_mov_b32_e32 v14, v2
	ds_store_b8 v3, v10 offset:1028
	s_branch .LBB15_9
.LBB15_14:                              ;   in Loop: Header=BB15_7 Depth=1
	s_or_b32 exec_lo, exec_lo, s21
.LBB15_15:                              ;   in Loop: Header=BB15_7 Depth=1
	s_delay_alu instid0(SALU_CYCLE_1)
	s_or_b32 exec_lo, exec_lo, s20
	ds_bpermute_b32 v2, v5, v14
	s_wait_dscnt 0x0
	s_barrier_signal -1
	s_barrier_wait -1
	ds_load_u8 v13, v3 offset:1028
	v_min_i32_e32 v2, v2, v14
	s_wait_dscnt 0x0
	v_readfirstlane_b32 s10, v13
	ds_bpermute_b32 v12, v6, v2
	s_bitcmp1_b32 s10, 0
	s_cselect_b32 s10, -1, 0
	s_delay_alu instid0(SALU_CYCLE_1)
	s_and_b32 s20, s2, s10
	s_wait_dscnt 0x0
	v_min_i32_e32 v2, v12, v2
	ds_bpermute_b32 v12, v7, v2
	s_wait_dscnt 0x0
	v_min_i32_e32 v2, v12, v2
	ds_bpermute_b32 v2, v8, v2
	s_and_saveexec_b32 s10, s20
	s_cbranch_execz .LBB15_17
; %bb.16:                               ;   in Loop: Header=BB15_7 Depth=1
	ds_load_b32 v12, v3 offset:1024
	s_wait_dscnt 0x0
	v_add_nc_u32_e32 v12, 1, v12
	ds_store_b32 v3, v12 offset:1024
.LBB15_17:                              ;   in Loop: Header=BB15_7 Depth=1
	s_or_b32 exec_lo, exec_lo, s10
	ds_store_b32 v9, v11
	s_wait_dscnt 0x0
	s_barrier_signal -1
	s_barrier_wait -1
	s_and_saveexec_b32 s10, s3
	s_cbranch_execz .LBB15_19
; %bb.18:                               ;   in Loop: Header=BB15_7 Depth=1
	ds_load_2addr_stride64_b32 v[12:13], v9 offset1:2
	s_wait_dscnt 0x0
	v_min_i32_e32 v11, v13, v12
	ds_store_b32 v9, v11
.LBB15_19:                              ;   in Loop: Header=BB15_7 Depth=1
	s_or_b32 exec_lo, exec_lo, s10
	s_wait_dscnt 0x0
	s_barrier_signal -1
	s_barrier_wait -1
	s_and_saveexec_b32 s10, s4
	s_cbranch_execz .LBB15_21
; %bb.20:                               ;   in Loop: Header=BB15_7 Depth=1
	ds_load_2addr_stride64_b32 v[12:13], v9 offset1:1
	s_wait_dscnt 0x0
	v_min_i32_e32 v11, v13, v12
	ds_store_b32 v9, v11
.LBB15_21:                              ;   in Loop: Header=BB15_7 Depth=1
	s_or_b32 exec_lo, exec_lo, s10
	s_wait_dscnt 0x0
	s_barrier_signal -1
	s_barrier_wait -1
	s_and_saveexec_b32 s10, s5
	s_cbranch_execz .LBB15_23
; %bb.22:                               ;   in Loop: Header=BB15_7 Depth=1
	ds_load_2addr_b32 v[12:13], v9 offset1:32
	s_wait_dscnt 0x0
	v_min_i32_e32 v11, v13, v12
	ds_store_b32 v9, v11
.LBB15_23:                              ;   in Loop: Header=BB15_7 Depth=1
	s_or_b32 exec_lo, exec_lo, s10
	s_wait_dscnt 0x0
	s_barrier_signal -1
	s_barrier_wait -1
	s_and_saveexec_b32 s10, s6
	s_cbranch_execz .LBB15_25
; %bb.24:                               ;   in Loop: Header=BB15_7 Depth=1
	ds_load_2addr_b32 v[12:13], v9 offset1:16
	s_wait_dscnt 0x0
	v_min_i32_e32 v11, v13, v12
	ds_store_b32 v9, v11
.LBB15_25:                              ;   in Loop: Header=BB15_7 Depth=1
	;; [unrolled: 12-line block ×5, first 2 shown]
	s_or_b32 exec_lo, exec_lo, s10
	s_wait_dscnt 0x0
	s_barrier_signal -1
	s_barrier_wait -1
	s_and_saveexec_b32 s10, s2
	s_cbranch_execz .LBB15_6
; %bb.32:                               ;   in Loop: Header=BB15_7 Depth=1
	ds_load_b64 v[12:13], v3
	s_wait_dscnt 0x0
	v_min_i32_e32 v11, v13, v12
	ds_store_b32 v3, v11
	s_branch .LBB15_6
.LBB15_33:
	s_mov_b32 s2, exec_lo
	v_cmpx_eq_u32_e32 0, v0
	s_cbranch_execz .LBB15_35
; %bb.34:
	s_load_b32 s2, s[0:1], 0x30
	v_mov_b32_e32 v0, 0
	s_wait_xcnt 0x0
	s_load_b64 s[0:1], s[0:1], 0x38
	s_wait_kmcnt 0x0
	v_dual_mov_b32 v3, s11 :: v_dual_mov_b32 v2, s2
	ds_load_b32 v1, v0 offset:1024
	global_store_b32 v0, v2, s[0:1]
	s_wait_dscnt 0x0
	global_store_b32 v3, v1, s[0:1] offset:4 scale_offset
.LBB15_35:
	s_endpgm
	.section	.rodata,"a",@progbits
	.p2align	6, 0x0
	.amdhsa_kernel _ZN9rocsparseL44csr2gebsr_nnz_block_per_row_multipass_kernelILj256ELj32EEEviiiiii21rocsparse_index_base_PKiS3_S1_Pi
		.amdhsa_group_segment_fixed_size 1032
		.amdhsa_private_segment_fixed_size 0
		.amdhsa_kernarg_size 64
		.amdhsa_user_sgpr_count 2
		.amdhsa_user_sgpr_dispatch_ptr 0
		.amdhsa_user_sgpr_queue_ptr 0
		.amdhsa_user_sgpr_kernarg_segment_ptr 1
		.amdhsa_user_sgpr_dispatch_id 0
		.amdhsa_user_sgpr_kernarg_preload_length 0
		.amdhsa_user_sgpr_kernarg_preload_offset 0
		.amdhsa_user_sgpr_private_segment_size 0
		.amdhsa_wavefront_size32 1
		.amdhsa_uses_dynamic_stack 0
		.amdhsa_enable_private_segment 0
		.amdhsa_system_sgpr_workgroup_id_x 1
		.amdhsa_system_sgpr_workgroup_id_y 0
		.amdhsa_system_sgpr_workgroup_id_z 0
		.amdhsa_system_sgpr_workgroup_info 0
		.amdhsa_system_vgpr_workitem_id 0
		.amdhsa_next_free_vgpr 19
		.amdhsa_next_free_sgpr 23
		.amdhsa_named_barrier_count 0
		.amdhsa_reserve_vcc 1
		.amdhsa_float_round_mode_32 0
		.amdhsa_float_round_mode_16_64 0
		.amdhsa_float_denorm_mode_32 3
		.amdhsa_float_denorm_mode_16_64 3
		.amdhsa_fp16_overflow 0
		.amdhsa_memory_ordered 1
		.amdhsa_forward_progress 1
		.amdhsa_inst_pref_size 12
		.amdhsa_round_robin_scheduling 0
		.amdhsa_exception_fp_ieee_invalid_op 0
		.amdhsa_exception_fp_denorm_src 0
		.amdhsa_exception_fp_ieee_div_zero 0
		.amdhsa_exception_fp_ieee_overflow 0
		.amdhsa_exception_fp_ieee_underflow 0
		.amdhsa_exception_fp_ieee_inexact 0
		.amdhsa_exception_int_div_zero 0
	.end_amdhsa_kernel
	.section	.text._ZN9rocsparseL44csr2gebsr_nnz_block_per_row_multipass_kernelILj256ELj32EEEviiiiii21rocsparse_index_base_PKiS3_S1_Pi,"axG",@progbits,_ZN9rocsparseL44csr2gebsr_nnz_block_per_row_multipass_kernelILj256ELj32EEEviiiiii21rocsparse_index_base_PKiS3_S1_Pi,comdat
.Lfunc_end15:
	.size	_ZN9rocsparseL44csr2gebsr_nnz_block_per_row_multipass_kernelILj256ELj32EEEviiiiii21rocsparse_index_base_PKiS3_S1_Pi, .Lfunc_end15-_ZN9rocsparseL44csr2gebsr_nnz_block_per_row_multipass_kernelILj256ELj32EEEviiiiii21rocsparse_index_base_PKiS3_S1_Pi
                                        ; -- End function
	.set _ZN9rocsparseL44csr2gebsr_nnz_block_per_row_multipass_kernelILj256ELj32EEEviiiiii21rocsparse_index_base_PKiS3_S1_Pi.num_vgpr, 19
	.set _ZN9rocsparseL44csr2gebsr_nnz_block_per_row_multipass_kernelILj256ELj32EEEviiiiii21rocsparse_index_base_PKiS3_S1_Pi.num_agpr, 0
	.set _ZN9rocsparseL44csr2gebsr_nnz_block_per_row_multipass_kernelILj256ELj32EEEviiiiii21rocsparse_index_base_PKiS3_S1_Pi.numbered_sgpr, 23
	.set _ZN9rocsparseL44csr2gebsr_nnz_block_per_row_multipass_kernelILj256ELj32EEEviiiiii21rocsparse_index_base_PKiS3_S1_Pi.num_named_barrier, 0
	.set _ZN9rocsparseL44csr2gebsr_nnz_block_per_row_multipass_kernelILj256ELj32EEEviiiiii21rocsparse_index_base_PKiS3_S1_Pi.private_seg_size, 0
	.set _ZN9rocsparseL44csr2gebsr_nnz_block_per_row_multipass_kernelILj256ELj32EEEviiiiii21rocsparse_index_base_PKiS3_S1_Pi.uses_vcc, 1
	.set _ZN9rocsparseL44csr2gebsr_nnz_block_per_row_multipass_kernelILj256ELj32EEEviiiiii21rocsparse_index_base_PKiS3_S1_Pi.uses_flat_scratch, 0
	.set _ZN9rocsparseL44csr2gebsr_nnz_block_per_row_multipass_kernelILj256ELj32EEEviiiiii21rocsparse_index_base_PKiS3_S1_Pi.has_dyn_sized_stack, 0
	.set _ZN9rocsparseL44csr2gebsr_nnz_block_per_row_multipass_kernelILj256ELj32EEEviiiiii21rocsparse_index_base_PKiS3_S1_Pi.has_recursion, 0
	.set _ZN9rocsparseL44csr2gebsr_nnz_block_per_row_multipass_kernelILj256ELj32EEEviiiiii21rocsparse_index_base_PKiS3_S1_Pi.has_indirect_call, 0
	.section	.AMDGPU.csdata,"",@progbits
; Kernel info:
; codeLenInByte = 1456
; TotalNumSgprs: 25
; NumVgprs: 19
; ScratchSize: 0
; MemoryBound: 0
; FloatMode: 240
; IeeeMode: 1
; LDSByteSize: 1032 bytes/workgroup (compile time only)
; SGPRBlocks: 0
; VGPRBlocks: 1
; NumSGPRsForWavesPerEU: 25
; NumVGPRsForWavesPerEU: 19
; NamedBarCnt: 0
; Occupancy: 16
; WaveLimiterHint : 0
; COMPUTE_PGM_RSRC2:SCRATCH_EN: 0
; COMPUTE_PGM_RSRC2:USER_SGPR: 2
; COMPUTE_PGM_RSRC2:TRAP_HANDLER: 0
; COMPUTE_PGM_RSRC2:TGID_X_EN: 1
; COMPUTE_PGM_RSRC2:TGID_Y_EN: 0
; COMPUTE_PGM_RSRC2:TGID_Z_EN: 0
; COMPUTE_PGM_RSRC2:TIDIG_COMP_CNT: 0
	.section	.text._ZN9rocsparseL44csr2gebsr_nnz_block_per_row_multipass_kernelILj256ELj64EEEviiiiii21rocsparse_index_base_PKiS3_S1_Pi,"axG",@progbits,_ZN9rocsparseL44csr2gebsr_nnz_block_per_row_multipass_kernelILj256ELj64EEEviiiiii21rocsparse_index_base_PKiS3_S1_Pi,comdat
	.globl	_ZN9rocsparseL44csr2gebsr_nnz_block_per_row_multipass_kernelILj256ELj64EEEviiiiii21rocsparse_index_base_PKiS3_S1_Pi ; -- Begin function _ZN9rocsparseL44csr2gebsr_nnz_block_per_row_multipass_kernelILj256ELj64EEEviiiiii21rocsparse_index_base_PKiS3_S1_Pi
	.p2align	8
	.type	_ZN9rocsparseL44csr2gebsr_nnz_block_per_row_multipass_kernelILj256ELj64EEEviiiiii21rocsparse_index_base_PKiS3_S1_Pi,@function
_ZN9rocsparseL44csr2gebsr_nnz_block_per_row_multipass_kernelILj256ELj64EEEviiiiii21rocsparse_index_base_PKiS3_S1_Pi: ; @_ZN9rocsparseL44csr2gebsr_nnz_block_per_row_multipass_kernelILj256ELj64EEEviiiiii21rocsparse_index_base_PKiS3_S1_Pi
; %bb.0:
	s_clause 0x1
	s_load_b128 s[12:15], s[0:1], 0xc
	s_load_b32 s2, s[0:1], 0x0
	s_bfe_u32 s3, ttmp6, 0x4000c
	s_and_b32 s4, ttmp6, 15
	s_add_co_i32 s3, s3, 1
	s_getreg_b32 s5, hwreg(HW_REG_IB_STS2, 6, 4)
	s_mul_i32 s3, ttmp9, s3
	v_dual_mov_b32 v1, 0 :: v_dual_lshrrev_b32 v2, 2, v0
	s_add_co_i32 s4, s4, s3
	s_cmp_eq_u32 s5, 0
	s_cselect_b32 s11, ttmp9, s4
	s_load_b64 s[4:5], s[0:1], 0x20
	ds_store_b32 v1, v1 offset:1024
	s_wait_dscnt 0x0
	s_barrier_signal -1
	s_barrier_wait -1
	s_wait_kmcnt 0x0
	v_mad_u32 v3, s13, s11, v2
	s_delay_alu instid0(VALU_DEP_1) | instskip(SKIP_3) | instid1(SALU_CYCLE_1)
	v_cmp_gt_i32_e32 vcc_lo, s2, v3
	v_cmp_gt_i32_e64 s2, s13, v2
	v_mov_b32_e32 v2, 0
	s_and_b32 s2, s2, vcc_lo
	s_and_saveexec_b32 s3, s2
	s_cbranch_execnz .LBB16_3
; %bb.1:
	s_or_b32 exec_lo, exec_lo, s3
	s_and_saveexec_b32 s3, s2
	s_cbranch_execnz .LBB16_4
.LBB16_2:
	s_or_b32 exec_lo, exec_lo, s3
	v_cmp_eq_u32_e64 s2, 0, v0
	s_cmp_lt_i32 s12, 1
	s_cbranch_scc0 .LBB16_5
	s_branch .LBB16_33
.LBB16_3:
	global_load_b32 v2, v3, s[4:5] scale_offset
	s_wait_loadcnt 0x0
	v_subrev_nc_u32_e32 v2, s15, v2
	s_or_b32 exec_lo, exec_lo, s3
	s_and_saveexec_b32 s3, s2
	s_cbranch_execz .LBB16_2
.LBB16_4:
	global_load_b32 v1, v3, s[4:5] offset:4 scale_offset
	s_wait_loadcnt 0x0
	v_subrev_nc_u32_e32 v1, s15, v1
	s_or_b32 exec_lo, exec_lo, s3
	v_cmp_eq_u32_e64 s2, 0, v0
	s_cmp_lt_i32 s12, 1
	s_cbranch_scc1 .LBB16_33
.LBB16_5:
	s_abs_i32 s13, s14
	v_mbcnt_lo_u32_b32 v3, -1, 0
	s_cvt_f32_u32 s3, s13
	s_load_b64 s[16:17], s[0:1], 0x28
	s_sub_co_i32 s18, 0, s13
	v_cmp_gt_u32_e64 s4, 64, v0
	v_rcp_iflag_f32_e32 v6, s3
	v_xor_b32_e32 v5, 1, v3
	v_xor_b32_e32 v4, 2, v3
	v_cmp_gt_u32_e64 s3, 0x80, v0
	v_cmp_gt_u32_e64 s6, 16, v0
	;; [unrolled: 1-line block ×4, first 2 shown]
	v_cmp_gt_i32_e32 vcc_lo, 32, v4
	v_readfirstlane_b32 s5, v6
	v_mov_b32_e32 v11, 0
	s_mov_b32 s19, 0
	s_ashr_i32 s14, s14, 31
	v_cndmask_b32_e32 v7, v3, v4, vcc_lo
	v_cmp_gt_i32_e32 vcc_lo, 32, v5
	s_mul_f32 s8, s5, 0x4f7ffffe
	v_and_b32_e32 v4, 3, v0
	v_cmp_gt_u32_e64 s5, 32, v0
	v_dual_mov_b32 v9, 1 :: v_dual_cndmask_b32 v8, v3, v5
	s_cvt_u32_f32 s10, s8
	v_lshlrev_b32_e32 v5, 2, v7
	v_lshl_or_b32 v7, v3, 2, 12
	v_cmp_gt_u32_e64 s8, 4, v0
	s_mul_i32 s18, s18, s10
	v_dual_mov_b32 v3, 0 :: v_dual_lshlrev_b32 v6, 2, v8
	v_lshlrev_b32_e32 v8, 2, v0
	s_mul_hi_u32 s18, s10, s18
	s_delay_alu instid0(SALU_CYCLE_1)
	s_add_co_i32 s18, s10, s18
	s_branch .LBB16_7
.LBB16_6:                               ;   in Loop: Header=BB16_7 Depth=1
	s_or_b32 exec_lo, exec_lo, s10
	s_wait_dscnt 0x0
	s_barrier_signal -1
	s_barrier_wait -1
	ds_load_b32 v11, v3
	s_wait_dscnt 0x0
	s_barrier_signal -1
	s_barrier_wait -1
	v_cmp_gt_i32_e32 vcc_lo, s12, v11
	s_cbranch_vccz .LBB16_33
.LBB16_7:                               ; =>This Loop Header: Depth=1
                                        ;     Child Loop BB16_10 Depth 2
	v_dual_add_nc_u32 v12, v2, v4 :: v_dual_mov_b32 v10, s12
	v_mov_b32_e32 v13, v1
	s_mov_b32 s20, exec_lo
	ds_store_b8 v3, v3 offset:1028
	s_wait_dscnt 0x0
	s_barrier_signal -1
	s_barrier_wait -1
	v_cmpx_lt_i32_e64 v12, v1
	s_cbranch_execz .LBB16_15
; %bb.8:                                ;   in Loop: Header=BB16_7 Depth=1
	v_dual_mov_b32 v10, s12 :: v_dual_mov_b32 v13, v1
	s_mov_b32 s21, 0
	s_branch .LBB16_10
.LBB16_9:                               ;   in Loop: Header=BB16_10 Depth=2
	s_or_b32 exec_lo, exec_lo, s10
	v_add_nc_u32_e32 v12, 4, v12
	s_xor_b32 s22, vcc_lo, -1
	s_delay_alu instid0(VALU_DEP_1) | instskip(SKIP_1) | instid1(SALU_CYCLE_1)
	v_cmp_ge_i32_e64 s10, v12, v1
	s_or_b32 s10, s22, s10
	s_and_b32 s10, exec_lo, s10
	s_delay_alu instid0(SALU_CYCLE_1) | instskip(NEXT) | instid1(SALU_CYCLE_1)
	s_or_b32 s21, s10, s21
	s_and_not1_b32 exec_lo, exec_lo, s21
	s_cbranch_execz .LBB16_14
.LBB16_10:                              ;   Parent Loop BB16_7 Depth=1
                                        ; =>  This Inner Loop Header: Depth=2
	s_wait_kmcnt 0x0
	global_load_b32 v2, v12, s[16:17] scale_offset
	s_wait_loadcnt 0x0
	v_subrev_nc_u32_e32 v16, s15, v2
	s_delay_alu instid0(VALU_DEP_1) | instskip(NEXT) | instid1(VALU_DEP_1)
	v_sub_nc_u32_e32 v2, 0, v16
	v_max_i32_e32 v2, v16, v2
	s_delay_alu instid0(VALU_DEP_1) | instskip(NEXT) | instid1(VALU_DEP_1)
	v_mul_u64_e32 v[14:15], s[18:19], v[2:3]
	v_mul_lo_u32 v14, v15, s13
	s_delay_alu instid0(VALU_DEP_1) | instskip(NEXT) | instid1(VALU_DEP_1)
	v_dual_sub_nc_u32 v2, v2, v14 :: v_dual_add_nc_u32 v14, 1, v15
	v_cmp_le_u32_e32 vcc_lo, s13, v2
	s_delay_alu instid0(VALU_DEP_2) | instskip(SKIP_1) | instid1(VALU_DEP_2)
	v_cndmask_b32_e32 v14, v15, v14, vcc_lo
	v_subrev_nc_u32_e32 v17, s13, v2
	v_dual_ashrrev_i32 v15, 31, v16 :: v_dual_add_nc_u32 v16, 1, v14
	s_delay_alu instid0(VALU_DEP_2) | instskip(NEXT) | instid1(VALU_DEP_1)
	v_cndmask_b32_e32 v2, v2, v17, vcc_lo
	v_cmp_le_u32_e32 vcc_lo, s13, v2
	s_delay_alu instid0(VALU_DEP_3) | instskip(NEXT) | instid1(VALU_DEP_1)
	v_dual_cndmask_b32 v2, v14, v16, vcc_lo :: v_dual_bitop2_b32 v15, s14, v15 bitop3:0x14
	v_xor_b32_e32 v2, v2, v15
	s_delay_alu instid0(VALU_DEP_1) | instskip(NEXT) | instid1(VALU_DEP_1)
	v_dual_sub_nc_u32 v14, v2, v15 :: v_dual_mov_b32 v2, v13
	v_cmp_ne_u32_e64 s10, v14, v11
	v_cmp_eq_u32_e32 vcc_lo, v14, v11
	s_wait_xcnt 0x0
	s_and_saveexec_b32 s22, s10
	s_delay_alu instid0(SALU_CYCLE_1)
	s_xor_b32 s10, exec_lo, s22
; %bb.11:                               ;   in Loop: Header=BB16_10 Depth=2
	v_min_i32_e32 v10, v14, v10
                                        ; implicit-def: $vgpr2
; %bb.12:                               ;   in Loop: Header=BB16_10 Depth=2
	s_or_saveexec_b32 s10, s10
	v_mov_b32_e32 v13, v12
	s_xor_b32 exec_lo, exec_lo, s10
	s_cbranch_execz .LBB16_9
; %bb.13:                               ;   in Loop: Header=BB16_10 Depth=2
	v_mov_b32_e32 v13, v2
	ds_store_b8 v3, v9 offset:1028
	s_branch .LBB16_9
.LBB16_14:                              ;   in Loop: Header=BB16_7 Depth=1
	s_or_b32 exec_lo, exec_lo, s21
.LBB16_15:                              ;   in Loop: Header=BB16_7 Depth=1
	s_delay_alu instid0(SALU_CYCLE_1)
	s_or_b32 exec_lo, exec_lo, s20
	ds_bpermute_b32 v2, v5, v13
	s_wait_dscnt 0x0
	s_barrier_signal -1
	s_barrier_wait -1
	ds_load_u8 v12, v3 offset:1028
	v_min_i32_e32 v2, v2, v13
	s_wait_dscnt 0x0
	v_readfirstlane_b32 s10, v12
	ds_bpermute_b32 v11, v6, v2
	s_bitcmp1_b32 s10, 0
	s_cselect_b32 s10, -1, 0
	s_delay_alu instid0(SALU_CYCLE_1)
	s_and_b32 s20, s2, s10
	s_wait_dscnt 0x0
	v_min_i32_e32 v2, v11, v2
	ds_bpermute_b32 v2, v7, v2
	s_and_saveexec_b32 s10, s20
	s_cbranch_execz .LBB16_17
; %bb.16:                               ;   in Loop: Header=BB16_7 Depth=1
	ds_load_b32 v11, v3 offset:1024
	s_wait_dscnt 0x0
	v_add_nc_u32_e32 v11, 1, v11
	ds_store_b32 v3, v11 offset:1024
.LBB16_17:                              ;   in Loop: Header=BB16_7 Depth=1
	s_or_b32 exec_lo, exec_lo, s10
	ds_store_b32 v8, v10
	s_wait_dscnt 0x0
	s_barrier_signal -1
	s_barrier_wait -1
	s_and_saveexec_b32 s10, s3
	s_cbranch_execz .LBB16_19
; %bb.18:                               ;   in Loop: Header=BB16_7 Depth=1
	ds_load_2addr_stride64_b32 v[10:11], v8 offset1:2
	s_wait_dscnt 0x0
	v_min_i32_e32 v10, v11, v10
	ds_store_b32 v8, v10
.LBB16_19:                              ;   in Loop: Header=BB16_7 Depth=1
	s_or_b32 exec_lo, exec_lo, s10
	s_wait_dscnt 0x0
	s_barrier_signal -1
	s_barrier_wait -1
	s_and_saveexec_b32 s10, s4
	s_cbranch_execz .LBB16_21
; %bb.20:                               ;   in Loop: Header=BB16_7 Depth=1
	ds_load_2addr_stride64_b32 v[10:11], v8 offset1:1
	s_wait_dscnt 0x0
	v_min_i32_e32 v10, v11, v10
	ds_store_b32 v8, v10
.LBB16_21:                              ;   in Loop: Header=BB16_7 Depth=1
	s_or_b32 exec_lo, exec_lo, s10
	s_wait_dscnt 0x0
	s_barrier_signal -1
	s_barrier_wait -1
	s_and_saveexec_b32 s10, s5
	s_cbranch_execz .LBB16_23
; %bb.22:                               ;   in Loop: Header=BB16_7 Depth=1
	ds_load_2addr_b32 v[10:11], v8 offset1:32
	s_wait_dscnt 0x0
	v_min_i32_e32 v10, v11, v10
	ds_store_b32 v8, v10
.LBB16_23:                              ;   in Loop: Header=BB16_7 Depth=1
	s_or_b32 exec_lo, exec_lo, s10
	s_wait_dscnt 0x0
	s_barrier_signal -1
	s_barrier_wait -1
	s_and_saveexec_b32 s10, s6
	s_cbranch_execz .LBB16_25
; %bb.24:                               ;   in Loop: Header=BB16_7 Depth=1
	ds_load_2addr_b32 v[10:11], v8 offset1:16
	s_wait_dscnt 0x0
	v_min_i32_e32 v10, v11, v10
	ds_store_b32 v8, v10
.LBB16_25:                              ;   in Loop: Header=BB16_7 Depth=1
	;; [unrolled: 12-line block ×5, first 2 shown]
	s_or_b32 exec_lo, exec_lo, s10
	s_wait_dscnt 0x0
	s_barrier_signal -1
	s_barrier_wait -1
	s_and_saveexec_b32 s10, s2
	s_cbranch_execz .LBB16_6
; %bb.32:                               ;   in Loop: Header=BB16_7 Depth=1
	ds_load_b64 v[10:11], v3
	s_wait_dscnt 0x0
	v_min_i32_e32 v10, v11, v10
	ds_store_b32 v3, v10
	s_branch .LBB16_6
.LBB16_33:
	s_mov_b32 s2, exec_lo
	v_cmpx_eq_u32_e32 0, v0
	s_cbranch_execz .LBB16_35
; %bb.34:
	s_load_b32 s2, s[0:1], 0x30
	v_mov_b32_e32 v0, 0
	s_wait_xcnt 0x0
	s_load_b64 s[0:1], s[0:1], 0x38
	s_wait_kmcnt 0x0
	v_dual_mov_b32 v3, s11 :: v_dual_mov_b32 v2, s2
	ds_load_b32 v1, v0 offset:1024
	global_store_b32 v0, v2, s[0:1]
	s_wait_dscnt 0x0
	global_store_b32 v3, v1, s[0:1] offset:4 scale_offset
.LBB16_35:
	s_endpgm
	.section	.rodata,"a",@progbits
	.p2align	6, 0x0
	.amdhsa_kernel _ZN9rocsparseL44csr2gebsr_nnz_block_per_row_multipass_kernelILj256ELj64EEEviiiiii21rocsparse_index_base_PKiS3_S1_Pi
		.amdhsa_group_segment_fixed_size 1032
		.amdhsa_private_segment_fixed_size 0
		.amdhsa_kernarg_size 64
		.amdhsa_user_sgpr_count 2
		.amdhsa_user_sgpr_dispatch_ptr 0
		.amdhsa_user_sgpr_queue_ptr 0
		.amdhsa_user_sgpr_kernarg_segment_ptr 1
		.amdhsa_user_sgpr_dispatch_id 0
		.amdhsa_user_sgpr_kernarg_preload_length 0
		.amdhsa_user_sgpr_kernarg_preload_offset 0
		.amdhsa_user_sgpr_private_segment_size 0
		.amdhsa_wavefront_size32 1
		.amdhsa_uses_dynamic_stack 0
		.amdhsa_enable_private_segment 0
		.amdhsa_system_sgpr_workgroup_id_x 1
		.amdhsa_system_sgpr_workgroup_id_y 0
		.amdhsa_system_sgpr_workgroup_id_z 0
		.amdhsa_system_sgpr_workgroup_info 0
		.amdhsa_system_vgpr_workitem_id 0
		.amdhsa_next_free_vgpr 18
		.amdhsa_next_free_sgpr 23
		.amdhsa_named_barrier_count 0
		.amdhsa_reserve_vcc 1
		.amdhsa_float_round_mode_32 0
		.amdhsa_float_round_mode_16_64 0
		.amdhsa_float_denorm_mode_32 3
		.amdhsa_float_denorm_mode_16_64 3
		.amdhsa_fp16_overflow 0
		.amdhsa_memory_ordered 1
		.amdhsa_forward_progress 1
		.amdhsa_inst_pref_size 12
		.amdhsa_round_robin_scheduling 0
		.amdhsa_exception_fp_ieee_invalid_op 0
		.amdhsa_exception_fp_denorm_src 0
		.amdhsa_exception_fp_ieee_div_zero 0
		.amdhsa_exception_fp_ieee_overflow 0
		.amdhsa_exception_fp_ieee_underflow 0
		.amdhsa_exception_fp_ieee_inexact 0
		.amdhsa_exception_int_div_zero 0
	.end_amdhsa_kernel
	.section	.text._ZN9rocsparseL44csr2gebsr_nnz_block_per_row_multipass_kernelILj256ELj64EEEviiiiii21rocsparse_index_base_PKiS3_S1_Pi,"axG",@progbits,_ZN9rocsparseL44csr2gebsr_nnz_block_per_row_multipass_kernelILj256ELj64EEEviiiiii21rocsparse_index_base_PKiS3_S1_Pi,comdat
.Lfunc_end16:
	.size	_ZN9rocsparseL44csr2gebsr_nnz_block_per_row_multipass_kernelILj256ELj64EEEviiiiii21rocsparse_index_base_PKiS3_S1_Pi, .Lfunc_end16-_ZN9rocsparseL44csr2gebsr_nnz_block_per_row_multipass_kernelILj256ELj64EEEviiiiii21rocsparse_index_base_PKiS3_S1_Pi
                                        ; -- End function
	.set _ZN9rocsparseL44csr2gebsr_nnz_block_per_row_multipass_kernelILj256ELj64EEEviiiiii21rocsparse_index_base_PKiS3_S1_Pi.num_vgpr, 18
	.set _ZN9rocsparseL44csr2gebsr_nnz_block_per_row_multipass_kernelILj256ELj64EEEviiiiii21rocsparse_index_base_PKiS3_S1_Pi.num_agpr, 0
	.set _ZN9rocsparseL44csr2gebsr_nnz_block_per_row_multipass_kernelILj256ELj64EEEviiiiii21rocsparse_index_base_PKiS3_S1_Pi.numbered_sgpr, 23
	.set _ZN9rocsparseL44csr2gebsr_nnz_block_per_row_multipass_kernelILj256ELj64EEEviiiiii21rocsparse_index_base_PKiS3_S1_Pi.num_named_barrier, 0
	.set _ZN9rocsparseL44csr2gebsr_nnz_block_per_row_multipass_kernelILj256ELj64EEEviiiiii21rocsparse_index_base_PKiS3_S1_Pi.private_seg_size, 0
	.set _ZN9rocsparseL44csr2gebsr_nnz_block_per_row_multipass_kernelILj256ELj64EEEviiiiii21rocsparse_index_base_PKiS3_S1_Pi.uses_vcc, 1
	.set _ZN9rocsparseL44csr2gebsr_nnz_block_per_row_multipass_kernelILj256ELj64EEEviiiiii21rocsparse_index_base_PKiS3_S1_Pi.uses_flat_scratch, 0
	.set _ZN9rocsparseL44csr2gebsr_nnz_block_per_row_multipass_kernelILj256ELj64EEEviiiiii21rocsparse_index_base_PKiS3_S1_Pi.has_dyn_sized_stack, 0
	.set _ZN9rocsparseL44csr2gebsr_nnz_block_per_row_multipass_kernelILj256ELj64EEEviiiiii21rocsparse_index_base_PKiS3_S1_Pi.has_recursion, 0
	.set _ZN9rocsparseL44csr2gebsr_nnz_block_per_row_multipass_kernelILj256ELj64EEEviiiiii21rocsparse_index_base_PKiS3_S1_Pi.has_indirect_call, 0
	.section	.AMDGPU.csdata,"",@progbits
; Kernel info:
; codeLenInByte = 1416
; TotalNumSgprs: 25
; NumVgprs: 18
; ScratchSize: 0
; MemoryBound: 0
; FloatMode: 240
; IeeeMode: 1
; LDSByteSize: 1032 bytes/workgroup (compile time only)
; SGPRBlocks: 0
; VGPRBlocks: 1
; NumSGPRsForWavesPerEU: 25
; NumVGPRsForWavesPerEU: 18
; NamedBarCnt: 0
; Occupancy: 16
; WaveLimiterHint : 0
; COMPUTE_PGM_RSRC2:SCRATCH_EN: 0
; COMPUTE_PGM_RSRC2:USER_SGPR: 2
; COMPUTE_PGM_RSRC2:TRAP_HANDLER: 0
; COMPUTE_PGM_RSRC2:TGID_X_EN: 1
; COMPUTE_PGM_RSRC2:TGID_Y_EN: 0
; COMPUTE_PGM_RSRC2:TGID_Z_EN: 0
; COMPUTE_PGM_RSRC2:TIDIG_COMP_CNT: 0
	.section	.text._ZN9rocsparseL27csr2gebsr_nnz_65_inf_kernelILi32EEEviiiiiii21rocsparse_index_base_PKiS3_S1_PiS4_,"axG",@progbits,_ZN9rocsparseL27csr2gebsr_nnz_65_inf_kernelILi32EEEviiiiiii21rocsparse_index_base_PKiS3_S1_PiS4_,comdat
	.globl	_ZN9rocsparseL27csr2gebsr_nnz_65_inf_kernelILi32EEEviiiiiii21rocsparse_index_base_PKiS3_S1_PiS4_ ; -- Begin function _ZN9rocsparseL27csr2gebsr_nnz_65_inf_kernelILi32EEEviiiiiii21rocsparse_index_base_PKiS3_S1_PiS4_
	.p2align	8
	.type	_ZN9rocsparseL27csr2gebsr_nnz_65_inf_kernelILi32EEEviiiiiii21rocsparse_index_base_PKiS3_S1_PiS4_,@function
_ZN9rocsparseL27csr2gebsr_nnz_65_inf_kernelILi32EEEviiiiiii21rocsparse_index_base_PKiS3_S1_PiS4_: ; @_ZN9rocsparseL27csr2gebsr_nnz_65_inf_kernelILi32EEEviiiiiii21rocsparse_index_base_PKiS3_S1_PiS4_
; %bb.0:
	s_load_b64 s[8:9], s[0:1], 0x18
	s_bfe_u32 s2, ttmp6, 0x4000c
	s_load_b64 s[10:11], s[0:1], 0x40
	s_add_co_i32 s2, s2, 1
	s_and_b32 s3, ttmp6, 15
	s_mul_i32 s2, ttmp9, s2
	s_getreg_b32 s4, hwreg(HW_REG_IB_STS2, 6, 4)
	s_add_co_i32 s3, s3, s2
	s_cmp_eq_u32 s4, 0
	s_load_b128 s[4:7], s[0:1], 0x8
	s_cselect_b32 s3, ttmp9, s3
	s_wait_kmcnt 0x0
	v_mul_lo_u32 v4, s8, v0
	s_mul_i32 s2, s3, s8
	s_lshl_b32 s14, s8, 5
	s_lshl_b32 s12, s2, 6
	s_ashr_i32 s15, s14, 31
	s_ashr_i32 s13, s12, 31
	s_delay_alu instid0(SALU_CYCLE_1) | instskip(SKIP_3) | instid1(VALU_DEP_1)
	s_lshl_b64 s[12:13], s[12:13], 2
	s_cmp_gt_i32 s8, 0
	s_add_nc_u64 s[16:17], s[10:11], s[12:13]
	s_cselect_b32 s18, -1, 0
	v_ashrrev_i32_e32 v5, 31, v4
	s_cmp_lt_i32 s8, 1
	s_delay_alu instid0(VALU_DEP_1)
	v_lshl_add_u64 v[2:3], v[4:5], 2, s[16:17]
	s_cbranch_scc1 .LBB17_5
; %bb.1:
	s_clause 0x1
	s_load_b64 s[10:11], s[0:1], 0x20
	s_load_b32 s19, s[0:1], 0x0
	v_mov_b64_e32 v[6:7], v[2:3]
	v_dual_mov_b32 v1, 0 :: v_dual_mov_b32 v12, v0
	s_mul_i32 s20, s6, s3
	s_lshl_b64 s[12:13], s[14:15], 2
	s_mov_b32 s21, s8
	s_branch .LBB17_3
.LBB17_2:                               ;   in Loop: Header=BB17_3 Depth=1
	s_wait_xcnt 0x0
	s_or_b32 exec_lo, exec_lo, s2
	v_add_nc_u64_e32 v[6:7], 4, v[6:7]
	v_add_nc_u32_e32 v12, 32, v12
	s_add_co_i32 s21, s21, -1
	s_delay_alu instid0(SALU_CYCLE_1)
	s_cmp_eq_u32 s21, 0
	s_cbranch_scc1 .LBB17_5
.LBB17_3:                               ; =>This Inner Loop Header: Depth=1
	s_delay_alu instid0(VALU_DEP_1) | instskip(NEXT) | instid1(VALU_DEP_3)
	v_add_nc_u32_e32 v10, s20, v12
	v_add_nc_u64_e32 v[8:9], s[12:13], v[6:7]
	v_cmp_gt_i32_e64 s2, s6, v12
	global_store_b32 v[6:7], v1, off
	s_wait_kmcnt 0x0
	v_cmp_gt_i32_e32 vcc_lo, s19, v10
	global_store_b32 v[8:9], v1, off
	s_and_b32 s22, vcc_lo, s2
	s_wait_xcnt 0x0
	s_and_saveexec_b32 s2, s22
	s_cbranch_execz .LBB17_2
; %bb.4:                                ;   in Loop: Header=BB17_3 Depth=1
	v_ashrrev_i32_e32 v11, 31, v10
	s_delay_alu instid0(VALU_DEP_1)
	v_lshl_add_u64 v[10:11], v[10:11], 2, s[10:11]
	global_load_b64 v[10:11], v[10:11], off
	s_wait_loadcnt 0x0
	v_subrev_nc_u32_e32 v10, s9, v10
	v_subrev_nc_u32_e32 v11, s9, v11
	s_clause 0x1
	global_store_b32 v[6:7], v10, off
	global_store_b32 v[8:9], v11, off
	s_branch .LBB17_2
.LBB17_5:
	s_load_b64 s[10:11], s[0:1], 0x38
	v_cmp_eq_u32_e64 s2, 31, v0
	s_cmp_lt_i32 s5, 1
	s_cbranch_scc1 .LBB17_20
; %bb.6:
	v_mbcnt_lo_u32_b32 v1, -1, 0
	s_abs_i32 s19, s7
	s_load_b64 s[12:13], s[0:1], 0x28
	s_cvt_f32_u32 s6, s19
	s_lshl_b64 s[20:21], s[14:15], 2
	v_xor_b32_e32 v8, 4, v1
	v_xor_b32_e32 v6, 16, v1
	v_rcp_iflag_f32_e32 v9, s6
	s_sub_co_i32 s14, 0, s19
	s_add_nc_u64 s[16:17], s[16:17], s[20:21]
	v_mov_b32_e32 v20, 0
	v_cmp_gt_i32_e32 vcc_lo, 32, v6
	v_lshl_add_u64 v[4:5], v[4:5], 2, s[16:17]
	s_mov_b32 s15, 0
	v_readfirstlane_b32 s6, v9
	v_dual_cndmask_b32 v6, v1, v6, vcc_lo :: v_dual_bitop2_b32 v7, 8, v1 bitop3:0x14
	s_ashr_i32 s16, s7, 31
	s_mov_b32 s17, 0
	s_mul_f32 s6, s6, 0x4f7ffffe
	s_delay_alu instid0(VALU_DEP_1) | instskip(SKIP_1) | instid1(SALU_CYCLE_1)
	v_cmp_gt_i32_e32 vcc_lo, 32, v7
	v_dual_mov_b32 v19, 0x7c :: v_dual_lshlrev_b32 v14, 2, v6
	s_cvt_u32_f32 s6, s6
	v_dual_cndmask_b32 v6, v1, v7, vcc_lo :: v_dual_bitop2_b32 v7, 2, v1 bitop3:0x14
	v_cmp_gt_i32_e32 vcc_lo, 32, v8
	s_delay_alu instid0(SALU_CYCLE_1) | instskip(NEXT) | instid1(SALU_CYCLE_1)
	s_mul_i32 s14, s14, s6
	s_mul_hi_u32 s7, s6, s14
	v_cndmask_b32_e32 v8, v1, v8, vcc_lo
	v_cmp_gt_i32_e32 vcc_lo, 32, v7
	v_xor_b32_e32 v10, 1, v1
	s_add_co_i32 s6, s6, s7
	s_mov_b32 s7, s15
	v_dual_cndmask_b32 v7, v1, v7 :: v_dual_lshlrev_b32 v16, 2, v8
	s_delay_alu instid0(VALU_DEP_2) | instskip(NEXT) | instid1(VALU_DEP_2)
	v_cmp_gt_i32_e32 vcc_lo, 32, v10
	v_dual_lshlrev_b32 v15, 2, v6 :: v_dual_lshlrev_b32 v17, 2, v7
	v_dual_cndmask_b32 v1, v1, v10, vcc_lo :: v_dual_mov_b32 v7, 0
	s_delay_alu instid0(VALU_DEP_1)
	v_dual_mov_b32 v1, 0 :: v_dual_lshlrev_b32 v18, 2, v1
	s_branch .LBB17_8
.LBB17_7:                               ;   in Loop: Header=BB17_8 Depth=1
	ds_bpermute_b32 v6, v14, v21
	s_wait_dscnt 0x0
	v_min_i32_e32 v6, v6, v21
	ds_bpermute_b32 v8, v15, v6
	s_wait_dscnt 0x0
	v_min_i32_e32 v6, v8, v6
	;; [unrolled: 3-line block ×5, first 2 shown]
	ds_bpermute_b32 v6, v19, v6
	s_wait_dscnt 0x0
	v_cmp_gt_i32_e32 vcc_lo, s5, v6
	v_add_nc_u32_e32 v20, 1, v6
	s_and_b32 s14, s2, vcc_lo
	s_delay_alu instid0(SALU_CYCLE_1) | instskip(NEXT) | instid1(VALU_DEP_1)
	v_cndmask_b32_e64 v6, 0, 1, s14
	v_add_nc_u32_e32 v1, v1, v6
	s_delay_alu instid0(VALU_DEP_3) | instskip(SKIP_1) | instid1(SALU_CYCLE_1)
	v_cmp_le_i32_e32 vcc_lo, s5, v20
	s_or_b32 s17, vcc_lo, s17
	s_and_not1_b32 exec_lo, exec_lo, s17
	s_cbranch_execz .LBB17_19
.LBB17_8:                               ; =>This Loop Header: Depth=1
                                        ;     Child Loop BB17_12 Depth 2
                                        ;       Child Loop BB17_15 Depth 3
	v_mov_b32_e32 v21, s5
	s_and_not1_b32 vcc_lo, exec_lo, s18
	s_cbranch_vccnz .LBB17_7
; %bb.9:                                ;   in Loop: Header=BB17_8 Depth=1
	v_mov_b32_e32 v21, s5
	s_mov_b32 s14, 0
	s_branch .LBB17_12
.LBB17_10:                              ;   in Loop: Header=BB17_12 Depth=2
	s_wait_xcnt 0x0
	s_or_b32 exec_lo, exec_lo, s21
.LBB17_11:                              ;   in Loop: Header=BB17_12 Depth=2
	s_delay_alu instid0(SALU_CYCLE_1) | instskip(SKIP_1) | instid1(SALU_CYCLE_1)
	s_or_b32 exec_lo, exec_lo, s20
	s_add_co_i32 s14, s14, 1
	s_cmp_eq_u32 s14, s8
	s_cbranch_scc1 .LBB17_7
.LBB17_12:                              ;   Parent Loop BB17_8 Depth=1
                                        ; =>  This Loop Header: Depth=2
                                        ;       Child Loop BB17_15 Depth 3
	s_lshl_b64 s[20:21], s[14:15], 2
	s_delay_alu instid0(SALU_CYCLE_1)
	v_add_nc_u64_e32 v[8:9], s[20:21], v[2:3]
	v_add_nc_u64_e32 v[12:13], s[20:21], v[4:5]
	s_mov_b32 s20, exec_lo
	s_clause 0x1
	global_load_b32 v10, v[8:9], off
	global_load_b32 v22, v[12:13], off
	s_wait_loadcnt 0x0
	v_cmpx_lt_i32_e64 v10, v22
	s_cbranch_execz .LBB17_11
; %bb.13:                               ;   in Loop: Header=BB17_12 Depth=2
	v_ashrrev_i32_e32 v11, 31, v10
	s_mov_b32 s21, 0
                                        ; implicit-def: $sgpr22
                                        ; implicit-def: $sgpr24
                                        ; implicit-def: $sgpr23
	s_wait_kmcnt 0x0
	s_delay_alu instid0(VALU_DEP_1)
	v_lshl_add_u64 v[12:13], v[10:11], 2, s[12:13]
	s_branch .LBB17_15
.LBB17_14:                              ;   in Loop: Header=BB17_15 Depth=3
	s_or_b32 exec_lo, exec_lo, s25
	s_delay_alu instid0(SALU_CYCLE_1) | instskip(NEXT) | instid1(SALU_CYCLE_1)
	s_and_b32 s25, exec_lo, s24
	s_or_b32 s21, s25, s21
	s_and_not1_b32 s22, s22, exec_lo
	s_and_b32 s25, s23, exec_lo
	s_delay_alu instid0(SALU_CYCLE_1)
	s_or_b32 s22, s22, s25
	s_and_not1_b32 exec_lo, exec_lo, s21
	s_cbranch_execz .LBB17_17
.LBB17_15:                              ;   Parent Loop BB17_8 Depth=1
                                        ;     Parent Loop BB17_12 Depth=2
                                        ; =>    This Inner Loop Header: Depth=3
	global_load_b32 v6, v[12:13], off
	s_or_b32 s23, s23, exec_lo
	s_or_b32 s24, s24, exec_lo
	s_mov_b32 s25, exec_lo
	s_wait_loadcnt 0x0
	v_subrev_nc_u32_e32 v11, s9, v6
	s_delay_alu instid0(VALU_DEP_1) | instskip(NEXT) | instid1(VALU_DEP_1)
	v_sub_nc_u32_e32 v6, 0, v11
	v_max_i32_e32 v6, v11, v6
	s_delay_alu instid0(VALU_DEP_1) | instskip(NEXT) | instid1(VALU_DEP_1)
	v_mul_u64_e32 v[24:25], s[6:7], v[6:7]
	v_mul_lo_u32 v23, v25, s19
	s_delay_alu instid0(VALU_DEP_1) | instskip(NEXT) | instid1(VALU_DEP_1)
	v_dual_sub_nc_u32 v6, v6, v23 :: v_dual_add_nc_u32 v23, 1, v25
	v_subrev_nc_u32_e32 v24, s19, v6
	v_cmp_le_u32_e32 vcc_lo, s19, v6
	s_delay_alu instid0(VALU_DEP_2) | instskip(NEXT) | instid1(VALU_DEP_4)
	v_dual_cndmask_b32 v6, v6, v24 :: v_dual_ashrrev_i32 v11, 31, v11
	v_cndmask_b32_e32 v23, v25, v23, vcc_lo
	s_delay_alu instid0(VALU_DEP_2) | instskip(NEXT) | instid1(VALU_DEP_2)
	v_cmp_le_u32_e32 vcc_lo, s19, v6
	v_add_nc_u32_e32 v24, 1, v23
	s_delay_alu instid0(VALU_DEP_1) | instskip(NEXT) | instid1(VALU_DEP_1)
	v_dual_cndmask_b32 v6, v23, v24, vcc_lo :: v_dual_bitop2_b32 v11, s16, v11 bitop3:0x14
	v_xor_b32_e32 v6, v6, v11
	s_delay_alu instid0(VALU_DEP_1) | instskip(SKIP_2) | instid1(VALU_DEP_2)
	v_sub_nc_u32_e32 v11, v6, v11
	v_mov_b32_e32 v6, v10
                                        ; implicit-def: $vgpr10
	s_wait_xcnt 0x0
	v_cmpx_lt_i32_e64 v11, v20
	s_cbranch_execz .LBB17_14
; %bb.16:                               ;   in Loop: Header=BB17_15 Depth=3
	s_delay_alu instid0(VALU_DEP_2) | instskip(SKIP_3) | instid1(VALU_DEP_2)
	v_add_nc_u32_e32 v10, 1, v6
	v_add_nc_u64_e32 v[12:13], 4, v[12:13]
	s_and_not1_b32 s24, s24, exec_lo
	s_and_not1_b32 s23, s23, exec_lo
	v_cmp_ge_i32_e32 vcc_lo, v10, v22
	s_and_b32 s26, vcc_lo, exec_lo
	s_delay_alu instid0(SALU_CYCLE_1)
	s_or_b32 s24, s24, s26
	s_branch .LBB17_14
.LBB17_17:                              ;   in Loop: Header=BB17_12 Depth=2
	s_or_b32 exec_lo, exec_lo, s21
	s_and_saveexec_b32 s21, s22
	s_delay_alu instid0(SALU_CYCLE_1)
	s_xor_b32 s21, exec_lo, s21
	s_cbranch_execz .LBB17_10
; %bb.18:                               ;   in Loop: Header=BB17_12 Depth=2
	v_min_i32_e32 v21, v11, v21
	global_store_b32 v[8:9], v6, off
	s_branch .LBB17_10
.LBB17_19:
	s_or_b32 exec_lo, exec_lo, s17
	s_branch .LBB17_21
.LBB17_20:
	v_mov_b32_e32 v1, 0
.LBB17_21:
	v_cmp_eq_u32_e32 vcc_lo, 31, v0
	s_cmp_lt_i32 s3, s4
	s_cselect_b32 s2, -1, 0
	s_delay_alu instid0(SALU_CYCLE_1) | instskip(NEXT) | instid1(SALU_CYCLE_1)
	s_and_b32 s2, vcc_lo, s2
	s_and_saveexec_b32 s4, s2
	s_cbranch_execz .LBB17_23
; %bb.22:
	s_wait_xcnt 0x0
	s_load_b32 s0, s[0:1], 0x30
	v_dual_mov_b32 v0, 0 :: v_dual_mov_b32 v3, s3
	s_wait_kmcnt 0x0
	v_mov_b32_e32 v2, s0
	s_clause 0x1
	global_store_b32 v0, v2, s[10:11]
	global_store_b32 v3, v1, s[10:11] offset:4 scale_offset
.LBB17_23:
	s_endpgm
	.section	.rodata,"a",@progbits
	.p2align	6, 0x0
	.amdhsa_kernel _ZN9rocsparseL27csr2gebsr_nnz_65_inf_kernelILi32EEEviiiiiii21rocsparse_index_base_PKiS3_S1_PiS4_
		.amdhsa_group_segment_fixed_size 0
		.amdhsa_private_segment_fixed_size 0
		.amdhsa_kernarg_size 72
		.amdhsa_user_sgpr_count 2
		.amdhsa_user_sgpr_dispatch_ptr 0
		.amdhsa_user_sgpr_queue_ptr 0
		.amdhsa_user_sgpr_kernarg_segment_ptr 1
		.amdhsa_user_sgpr_dispatch_id 0
		.amdhsa_user_sgpr_kernarg_preload_length 0
		.amdhsa_user_sgpr_kernarg_preload_offset 0
		.amdhsa_user_sgpr_private_segment_size 0
		.amdhsa_wavefront_size32 1
		.amdhsa_uses_dynamic_stack 0
		.amdhsa_enable_private_segment 0
		.amdhsa_system_sgpr_workgroup_id_x 1
		.amdhsa_system_sgpr_workgroup_id_y 0
		.amdhsa_system_sgpr_workgroup_id_z 0
		.amdhsa_system_sgpr_workgroup_info 0
		.amdhsa_system_vgpr_workitem_id 0
		.amdhsa_next_free_vgpr 26
		.amdhsa_next_free_sgpr 27
		.amdhsa_named_barrier_count 0
		.amdhsa_reserve_vcc 1
		.amdhsa_float_round_mode_32 0
		.amdhsa_float_round_mode_16_64 0
		.amdhsa_float_denorm_mode_32 3
		.amdhsa_float_denorm_mode_16_64 3
		.amdhsa_fp16_overflow 0
		.amdhsa_memory_ordered 1
		.amdhsa_forward_progress 1
		.amdhsa_inst_pref_size 10
		.amdhsa_round_robin_scheduling 0
		.amdhsa_exception_fp_ieee_invalid_op 0
		.amdhsa_exception_fp_denorm_src 0
		.amdhsa_exception_fp_ieee_div_zero 0
		.amdhsa_exception_fp_ieee_overflow 0
		.amdhsa_exception_fp_ieee_underflow 0
		.amdhsa_exception_fp_ieee_inexact 0
		.amdhsa_exception_int_div_zero 0
	.end_amdhsa_kernel
	.section	.text._ZN9rocsparseL27csr2gebsr_nnz_65_inf_kernelILi32EEEviiiiiii21rocsparse_index_base_PKiS3_S1_PiS4_,"axG",@progbits,_ZN9rocsparseL27csr2gebsr_nnz_65_inf_kernelILi32EEEviiiiiii21rocsparse_index_base_PKiS3_S1_PiS4_,comdat
.Lfunc_end17:
	.size	_ZN9rocsparseL27csr2gebsr_nnz_65_inf_kernelILi32EEEviiiiiii21rocsparse_index_base_PKiS3_S1_PiS4_, .Lfunc_end17-_ZN9rocsparseL27csr2gebsr_nnz_65_inf_kernelILi32EEEviiiiiii21rocsparse_index_base_PKiS3_S1_PiS4_
                                        ; -- End function
	.set _ZN9rocsparseL27csr2gebsr_nnz_65_inf_kernelILi32EEEviiiiiii21rocsparse_index_base_PKiS3_S1_PiS4_.num_vgpr, 26
	.set _ZN9rocsparseL27csr2gebsr_nnz_65_inf_kernelILi32EEEviiiiiii21rocsparse_index_base_PKiS3_S1_PiS4_.num_agpr, 0
	.set _ZN9rocsparseL27csr2gebsr_nnz_65_inf_kernelILi32EEEviiiiiii21rocsparse_index_base_PKiS3_S1_PiS4_.numbered_sgpr, 27
	.set _ZN9rocsparseL27csr2gebsr_nnz_65_inf_kernelILi32EEEviiiiiii21rocsparse_index_base_PKiS3_S1_PiS4_.num_named_barrier, 0
	.set _ZN9rocsparseL27csr2gebsr_nnz_65_inf_kernelILi32EEEviiiiiii21rocsparse_index_base_PKiS3_S1_PiS4_.private_seg_size, 0
	.set _ZN9rocsparseL27csr2gebsr_nnz_65_inf_kernelILi32EEEviiiiiii21rocsparse_index_base_PKiS3_S1_PiS4_.uses_vcc, 1
	.set _ZN9rocsparseL27csr2gebsr_nnz_65_inf_kernelILi32EEEviiiiiii21rocsparse_index_base_PKiS3_S1_PiS4_.uses_flat_scratch, 0
	.set _ZN9rocsparseL27csr2gebsr_nnz_65_inf_kernelILi32EEEviiiiiii21rocsparse_index_base_PKiS3_S1_PiS4_.has_dyn_sized_stack, 0
	.set _ZN9rocsparseL27csr2gebsr_nnz_65_inf_kernelILi32EEEviiiiiii21rocsparse_index_base_PKiS3_S1_PiS4_.has_recursion, 0
	.set _ZN9rocsparseL27csr2gebsr_nnz_65_inf_kernelILi32EEEviiiiiii21rocsparse_index_base_PKiS3_S1_PiS4_.has_indirect_call, 0
	.section	.AMDGPU.csdata,"",@progbits
; Kernel info:
; codeLenInByte = 1272
; TotalNumSgprs: 29
; NumVgprs: 26
; ScratchSize: 0
; MemoryBound: 0
; FloatMode: 240
; IeeeMode: 1
; LDSByteSize: 0 bytes/workgroup (compile time only)
; SGPRBlocks: 0
; VGPRBlocks: 1
; NumSGPRsForWavesPerEU: 29
; NumVGPRsForWavesPerEU: 26
; NamedBarCnt: 0
; Occupancy: 16
; WaveLimiterHint : 0
; COMPUTE_PGM_RSRC2:SCRATCH_EN: 0
; COMPUTE_PGM_RSRC2:USER_SGPR: 2
; COMPUTE_PGM_RSRC2:TRAP_HANDLER: 0
; COMPUTE_PGM_RSRC2:TGID_X_EN: 1
; COMPUTE_PGM_RSRC2:TGID_Y_EN: 0
; COMPUTE_PGM_RSRC2:TGID_Z_EN: 0
; COMPUTE_PGM_RSRC2:TIDIG_COMP_CNT: 0
	.section	.text._ZN9rocsparseL20csr2gebsr_kernel_bm1ILi256EfEEviiii21rocsparse_index_base_PKT0_PKiS6_20rocsparse_direction_S1_PS2_S6_Piii,"axG",@progbits,_ZN9rocsparseL20csr2gebsr_kernel_bm1ILi256EfEEviiii21rocsparse_index_base_PKT0_PKiS6_20rocsparse_direction_S1_PS2_S6_Piii,comdat
	.globl	_ZN9rocsparseL20csr2gebsr_kernel_bm1ILi256EfEEviiii21rocsparse_index_base_PKT0_PKiS6_20rocsparse_direction_S1_PS2_S6_Piii ; -- Begin function _ZN9rocsparseL20csr2gebsr_kernel_bm1ILi256EfEEviiii21rocsparse_index_base_PKT0_PKiS6_20rocsparse_direction_S1_PS2_S6_Piii
	.p2align	8
	.type	_ZN9rocsparseL20csr2gebsr_kernel_bm1ILi256EfEEviiii21rocsparse_index_base_PKT0_PKiS6_20rocsparse_direction_S1_PS2_S6_Piii,@function
_ZN9rocsparseL20csr2gebsr_kernel_bm1ILi256EfEEviiii21rocsparse_index_base_PKT0_PKiS6_20rocsparse_direction_S1_PS2_S6_Piii: ; @_ZN9rocsparseL20csr2gebsr_kernel_bm1ILi256EfEEviiii21rocsparse_index_base_PKT0_PKiS6_20rocsparse_direction_S1_PS2_S6_Piii
; %bb.0:
	s_load_b32 s2, s[0:1], 0x0
	s_bfe_u32 s3, ttmp6, 0x4000c
	s_and_b32 s4, ttmp6, 15
	s_add_co_i32 s3, s3, 1
	s_getreg_b32 s5, hwreg(HW_REG_IB_STS2, 6, 4)
	s_mul_i32 s3, ttmp9, s3
	s_delay_alu instid0(SALU_CYCLE_1) | instskip(SKIP_2) | instid1(SALU_CYCLE_1)
	s_add_co_i32 s4, s4, s3
	s_cmp_eq_u32 s5, 0
	s_cselect_b32 s3, ttmp9, s4
	v_lshl_or_b32 v4, s3, 8, v0
	s_wait_kmcnt 0x0
	s_delay_alu instid0(VALU_DEP_1)
	v_cmp_gt_i32_e32 vcc_lo, s2, v4
	s_and_saveexec_b32 s2, vcc_lo
	s_cbranch_execz .LBB18_6
; %bb.1:
	s_load_b128 s[16:19], s[0:1], 0x18
	v_ashrrev_i32_e32 v5, 31, v4
	s_wait_kmcnt 0x0
	s_delay_alu instid0(VALU_DEP_1)
	v_lshl_add_u64 v[0:1], v[4:5], 2, s[18:19]
	global_load_b64 v[2:3], v[0:1], off
	s_wait_loadcnt 0x0
	v_cmp_lt_i32_e32 vcc_lo, v2, v3
	s_and_b32 exec_lo, exec_lo, vcc_lo
	s_cbranch_execz .LBB18_6
; %bb.2:
	s_load_b256 s[4:11], s[0:1], 0x28
	s_mov_b32 s3, 0
	s_wait_kmcnt 0x0
	v_lshl_add_u64 v[4:5], v[4:5], 2, s[10:11]
	global_load_b32 v6, v[4:5], off
	s_clause 0x1
	s_load_b128 s[12:15], s[0:1], 0x48
	s_load_b32 s10, s[0:1], 0x10
	s_wait_kmcnt 0x0
	s_ashr_i32 s19, s14, 31
	s_ashr_i32 s1, s15, 31
	s_cmp_eq_u32 s6, 0
	v_subrev_nc_u32_e32 v4, s10, v2
	s_cselect_b32 s6, s14, 1
	s_abs_i32 s11, s15
	s_mov_b32 s18, s14
	s_cvt_f32_u32 s0, s11
	v_mov_b32_e32 v2, -1
	s_delay_alu instid0(SALU_CYCLE_2) | instskip(SKIP_1) | instid1(TRANS32_DEP_1)
	v_rcp_iflag_f32_e32 v5, s0
	v_nop
	v_readfirstlane_b32 s0, v5
	v_ashrrev_i32_e32 v5, 31, v4
	s_mul_f32 s0, s0, 0x4f7ffffe
	s_delay_alu instid0(VALU_DEP_1) | instskip(NEXT) | instid1(SALU_CYCLE_2)
	v_lshlrev_b64_e32 v[8:9], 2, v[4:5]
	s_cvt_u32_f32 s2, s0
	s_sub_co_i32 s0, 0, s11
	s_delay_alu instid0(SALU_CYCLE_2) | instskip(SKIP_2) | instid1(SALU_CYCLE_1)
	s_mul_i32 s14, s0, s2
	s_mov_b32 s0, s15
	s_mul_hi_u32 s14, s2, s14
	s_add_co_i32 s2, s2, s14
	s_wait_loadcnt 0x0
	v_xad_u32 v5, s7, -1, v6
	v_add_nc_u64_e32 v[6:7], s[4:5], v[8:9]
	v_add_nc_u64_e32 v[8:9], s[16:17], v[8:9]
	v_mov_b32_e32 v11, 0
	s_mul_u64 s[4:5], s[0:1], s[18:19]
	v_mov_b32_e32 v12, v5
	s_mov_b32 s0, s3
	s_branch .LBB18_4
.LBB18_3:                               ;   in Loop: Header=BB18_4 Depth=1
	s_wait_xcnt 0x0
	s_or_b32 exec_lo, exec_lo, s14
	global_load_b32 v18, v[8:9], off
	v_mul_lo_u32 v10, v10, s15
	v_ashrrev_i32_e32 v13, 31, v12
	v_add_nc_u64_e32 v[6:7], 4, v[6:7]
	s_wait_xcnt 0x0
	v_add_nc_u64_e32 v[8:9], 4, v[8:9]
	s_delay_alu instid0(VALU_DEP_4) | instskip(SKIP_1) | instid1(VALU_DEP_2)
	v_sub_nc_u32_e32 v10, v14, v10
	v_mul_u64_e32 v[16:17], s[4:5], v[12:13]
	v_mul_lo_u32 v14, v10, s6
	v_add_nc_u32_e32 v4, 1, v4
	s_wait_loadcnt 0x1
	v_subrev_nc_u32_e32 v10, s10, v3
	s_delay_alu instid0(VALU_DEP_3) | instskip(NEXT) | instid1(VALU_DEP_2)
	v_ashrrev_i32_e32 v15, 31, v14
	v_cmp_ge_i32_e32 vcc_lo, v4, v10
	s_or_b32 s0, vcc_lo, s0
	v_lshl_add_u64 v[16:17], v[16:17], 2, s[8:9]
	s_delay_alu instid0(VALU_DEP_1)
	v_lshl_add_u64 v[14:15], v[14:15], 2, v[16:17]
	s_wait_loadcnt 0x0
	global_store_b32 v[14:15], v18, off
	s_wait_xcnt 0x0
	s_and_not1_b32 exec_lo, exec_lo, s0
	s_cbranch_execz .LBB18_6
.LBB18_4:                               ; =>This Inner Loop Header: Depth=1
	global_load_b32 v10, v[6:7], off
	s_mov_b32 s14, exec_lo
	s_wait_loadcnt 0x0
	v_subrev_nc_u32_e32 v14, s10, v10
	s_delay_alu instid0(VALU_DEP_1) | instskip(NEXT) | instid1(VALU_DEP_1)
	v_sub_nc_u32_e32 v10, 0, v14
	v_max_i32_e32 v10, v14, v10
	s_delay_alu instid0(VALU_DEP_1) | instskip(SKIP_1) | instid1(VALU_DEP_2)
	v_mul_u64_e32 v[16:17], s[2:3], v[10:11]
	v_ashrrev_i32_e32 v16, 31, v14
	v_mul_lo_u32 v13, v17, s11
	s_delay_alu instid0(VALU_DEP_1) | instskip(SKIP_1) | instid1(VALU_DEP_2)
	v_sub_nc_u32_e32 v10, v10, v13
	v_add_nc_u32_e32 v13, 1, v17
	v_subrev_nc_u32_e32 v15, s11, v10
	v_cmp_le_u32_e32 vcc_lo, s11, v10
	s_delay_alu instid0(VALU_DEP_2) | instskip(NEXT) | instid1(VALU_DEP_1)
	v_dual_cndmask_b32 v13, v17, v13 :: v_dual_cndmask_b32 v10, v10, v15
	v_add_nc_u32_e32 v15, 1, v13
	s_delay_alu instid0(VALU_DEP_2) | instskip(NEXT) | instid1(VALU_DEP_2)
	v_cmp_le_u32_e32 vcc_lo, s11, v10
	v_dual_cndmask_b32 v10, v13, v15, vcc_lo :: v_dual_bitop2_b32 v16, s1, v16 bitop3:0x14
	s_delay_alu instid0(VALU_DEP_1) | instskip(NEXT) | instid1(VALU_DEP_1)
	v_xor_b32_e32 v10, v10, v16
	v_sub_nc_u32_e32 v10, v10, v16
	s_wait_xcnt 0x0
	s_delay_alu instid0(VALU_DEP_1)
	v_cmpx_ne_u32_e64 v10, v2
	s_cbranch_execz .LBB18_3
; %bb.5:                                ;   in Loop: Header=BB18_4 Depth=1
	v_dual_add_nc_u32 v2, s7, v10 :: v_dual_add_nc_u32 v12, 1, v12
	global_store_b32 v5, v2, s[12:13] offset:4 scale_offset
	global_load_b32 v3, v[0:1], off offset:4
	s_wait_xcnt 0x1
	v_dual_mov_b32 v2, v10 :: v_dual_add_nc_u32 v5, 1, v5
	s_branch .LBB18_3
.LBB18_6:
	s_endpgm
	.section	.rodata,"a",@progbits
	.p2align	6, 0x0
	.amdhsa_kernel _ZN9rocsparseL20csr2gebsr_kernel_bm1ILi256EfEEviiii21rocsparse_index_base_PKT0_PKiS6_20rocsparse_direction_S1_PS2_S6_Piii
		.amdhsa_group_segment_fixed_size 0
		.amdhsa_private_segment_fixed_size 0
		.amdhsa_kernarg_size 88
		.amdhsa_user_sgpr_count 2
		.amdhsa_user_sgpr_dispatch_ptr 0
		.amdhsa_user_sgpr_queue_ptr 0
		.amdhsa_user_sgpr_kernarg_segment_ptr 1
		.amdhsa_user_sgpr_dispatch_id 0
		.amdhsa_user_sgpr_kernarg_preload_length 0
		.amdhsa_user_sgpr_kernarg_preload_offset 0
		.amdhsa_user_sgpr_private_segment_size 0
		.amdhsa_wavefront_size32 1
		.amdhsa_uses_dynamic_stack 0
		.amdhsa_enable_private_segment 0
		.amdhsa_system_sgpr_workgroup_id_x 1
		.amdhsa_system_sgpr_workgroup_id_y 0
		.amdhsa_system_sgpr_workgroup_id_z 0
		.amdhsa_system_sgpr_workgroup_info 0
		.amdhsa_system_vgpr_workitem_id 0
		.amdhsa_next_free_vgpr 19
		.amdhsa_next_free_sgpr 20
		.amdhsa_named_barrier_count 0
		.amdhsa_reserve_vcc 1
		.amdhsa_float_round_mode_32 0
		.amdhsa_float_round_mode_16_64 0
		.amdhsa_float_denorm_mode_32 3
		.amdhsa_float_denorm_mode_16_64 3
		.amdhsa_fp16_overflow 0
		.amdhsa_memory_ordered 1
		.amdhsa_forward_progress 1
		.amdhsa_inst_pref_size 6
		.amdhsa_round_robin_scheduling 0
		.amdhsa_exception_fp_ieee_invalid_op 0
		.amdhsa_exception_fp_denorm_src 0
		.amdhsa_exception_fp_ieee_div_zero 0
		.amdhsa_exception_fp_ieee_overflow 0
		.amdhsa_exception_fp_ieee_underflow 0
		.amdhsa_exception_fp_ieee_inexact 0
		.amdhsa_exception_int_div_zero 0
	.end_amdhsa_kernel
	.section	.text._ZN9rocsparseL20csr2gebsr_kernel_bm1ILi256EfEEviiii21rocsparse_index_base_PKT0_PKiS6_20rocsparse_direction_S1_PS2_S6_Piii,"axG",@progbits,_ZN9rocsparseL20csr2gebsr_kernel_bm1ILi256EfEEviiii21rocsparse_index_base_PKT0_PKiS6_20rocsparse_direction_S1_PS2_S6_Piii,comdat
.Lfunc_end18:
	.size	_ZN9rocsparseL20csr2gebsr_kernel_bm1ILi256EfEEviiii21rocsparse_index_base_PKT0_PKiS6_20rocsparse_direction_S1_PS2_S6_Piii, .Lfunc_end18-_ZN9rocsparseL20csr2gebsr_kernel_bm1ILi256EfEEviiii21rocsparse_index_base_PKT0_PKiS6_20rocsparse_direction_S1_PS2_S6_Piii
                                        ; -- End function
	.set _ZN9rocsparseL20csr2gebsr_kernel_bm1ILi256EfEEviiii21rocsparse_index_base_PKT0_PKiS6_20rocsparse_direction_S1_PS2_S6_Piii.num_vgpr, 19
	.set _ZN9rocsparseL20csr2gebsr_kernel_bm1ILi256EfEEviiii21rocsparse_index_base_PKT0_PKiS6_20rocsparse_direction_S1_PS2_S6_Piii.num_agpr, 0
	.set _ZN9rocsparseL20csr2gebsr_kernel_bm1ILi256EfEEviiii21rocsparse_index_base_PKT0_PKiS6_20rocsparse_direction_S1_PS2_S6_Piii.numbered_sgpr, 20
	.set _ZN9rocsparseL20csr2gebsr_kernel_bm1ILi256EfEEviiii21rocsparse_index_base_PKT0_PKiS6_20rocsparse_direction_S1_PS2_S6_Piii.num_named_barrier, 0
	.set _ZN9rocsparseL20csr2gebsr_kernel_bm1ILi256EfEEviiii21rocsparse_index_base_PKT0_PKiS6_20rocsparse_direction_S1_PS2_S6_Piii.private_seg_size, 0
	.set _ZN9rocsparseL20csr2gebsr_kernel_bm1ILi256EfEEviiii21rocsparse_index_base_PKT0_PKiS6_20rocsparse_direction_S1_PS2_S6_Piii.uses_vcc, 1
	.set _ZN9rocsparseL20csr2gebsr_kernel_bm1ILi256EfEEviiii21rocsparse_index_base_PKT0_PKiS6_20rocsparse_direction_S1_PS2_S6_Piii.uses_flat_scratch, 0
	.set _ZN9rocsparseL20csr2gebsr_kernel_bm1ILi256EfEEviiii21rocsparse_index_base_PKT0_PKiS6_20rocsparse_direction_S1_PS2_S6_Piii.has_dyn_sized_stack, 0
	.set _ZN9rocsparseL20csr2gebsr_kernel_bm1ILi256EfEEviiii21rocsparse_index_base_PKT0_PKiS6_20rocsparse_direction_S1_PS2_S6_Piii.has_recursion, 0
	.set _ZN9rocsparseL20csr2gebsr_kernel_bm1ILi256EfEEviiii21rocsparse_index_base_PKT0_PKiS6_20rocsparse_direction_S1_PS2_S6_Piii.has_indirect_call, 0
	.section	.AMDGPU.csdata,"",@progbits
; Kernel info:
; codeLenInByte = 672
; TotalNumSgprs: 22
; NumVgprs: 19
; ScratchSize: 0
; MemoryBound: 0
; FloatMode: 240
; IeeeMode: 1
; LDSByteSize: 0 bytes/workgroup (compile time only)
; SGPRBlocks: 0
; VGPRBlocks: 1
; NumSGPRsForWavesPerEU: 22
; NumVGPRsForWavesPerEU: 19
; NamedBarCnt: 0
; Occupancy: 16
; WaveLimiterHint : 1
; COMPUTE_PGM_RSRC2:SCRATCH_EN: 0
; COMPUTE_PGM_RSRC2:USER_SGPR: 2
; COMPUTE_PGM_RSRC2:TRAP_HANDLER: 0
; COMPUTE_PGM_RSRC2:TGID_X_EN: 1
; COMPUTE_PGM_RSRC2:TGID_Y_EN: 0
; COMPUTE_PGM_RSRC2:TGID_Z_EN: 0
; COMPUTE_PGM_RSRC2:TIDIG_COMP_CNT: 0
	.section	.text._ZN9rocsparseL44csr2gebsr_wavefront_per_row_multipass_kernelILi256ELi2ELi2ELi4EfEEv20rocsparse_direction_iiiiii21rocsparse_index_base_PKT3_PKiS7_S2_PS3_PiS9_,"axG",@progbits,_ZN9rocsparseL44csr2gebsr_wavefront_per_row_multipass_kernelILi256ELi2ELi2ELi4EfEEv20rocsparse_direction_iiiiii21rocsparse_index_base_PKT3_PKiS7_S2_PS3_PiS9_,comdat
	.globl	_ZN9rocsparseL44csr2gebsr_wavefront_per_row_multipass_kernelILi256ELi2ELi2ELi4EfEEv20rocsparse_direction_iiiiii21rocsparse_index_base_PKT3_PKiS7_S2_PS3_PiS9_ ; -- Begin function _ZN9rocsparseL44csr2gebsr_wavefront_per_row_multipass_kernelILi256ELi2ELi2ELi4EfEEv20rocsparse_direction_iiiiii21rocsparse_index_base_PKT3_PKiS7_S2_PS3_PiS9_
	.p2align	8
	.type	_ZN9rocsparseL44csr2gebsr_wavefront_per_row_multipass_kernelILi256ELi2ELi2ELi4EfEEv20rocsparse_direction_iiiiii21rocsparse_index_base_PKT3_PKiS7_S2_PS3_PiS9_,@function
_ZN9rocsparseL44csr2gebsr_wavefront_per_row_multipass_kernelILi256ELi2ELi2ELi4EfEEv20rocsparse_direction_iiiiii21rocsparse_index_base_PKT3_PKiS7_S2_PS3_PiS9_: ; @_ZN9rocsparseL44csr2gebsr_wavefront_per_row_multipass_kernelILi256ELi2ELi2ELi4EfEEv20rocsparse_direction_iiiiii21rocsparse_index_base_PKT3_PKiS7_S2_PS3_PiS9_
; %bb.0:
	s_clause 0x1
	s_load_b128 s[4:7], s[0:1], 0xc
	s_load_b64 s[12:13], s[0:1], 0x0
	s_bfe_u32 s2, ttmp6, 0x4000c
	s_and_b32 s3, ttmp6, 15
	s_add_co_i32 s2, s2, 1
	s_getreg_b32 s8, hwreg(HW_REG_IB_STS2, 6, 4)
	s_mul_i32 s2, ttmp9, s2
	v_dual_lshrrev_b32 v14, 2, v0 :: v_dual_mov_b32 v2, 0
	s_add_co_i32 s3, s3, s2
	s_cmp_eq_u32 s8, 0
	v_bfe_u32 v3, v0, 1, 1
	s_cselect_b32 s2, ttmp9, s3
	s_clause 0x1
	s_load_b32 s16, s[0:1], 0x1c
	s_load_b64 s[8:9], s[0:1], 0x28
	v_lshl_or_b32 v1, s2, 6, v14
	v_mov_b32_e32 v8, 0
	s_wait_kmcnt 0x0
	s_delay_alu instid0(VALU_DEP_2) | instskip(SKIP_1) | instid1(VALU_DEP_2)
	v_mad_u32 v4, v1, s6, v3
	v_cmp_gt_i32_e32 vcc_lo, s6, v3
	v_cmp_gt_i32_e64 s2, s13, v4
	s_and_b32 s2, vcc_lo, s2
	s_delay_alu instid0(SALU_CYCLE_1)
	s_and_saveexec_b32 s3, s2
	s_cbranch_execz .LBB19_2
; %bb.1:
	global_load_b32 v5, v4, s[8:9] scale_offset
	s_wait_loadcnt 0x0
	v_subrev_nc_u32_e32 v8, s16, v5
.LBB19_2:
	s_or_b32 exec_lo, exec_lo, s3
	v_mov_b32_e32 v15, 0
	s_and_saveexec_b32 s3, s2
	s_cbranch_execz .LBB19_4
; %bb.3:
	global_load_b32 v4, v4, s[8:9] offset:4 scale_offset
	s_wait_loadcnt 0x0
	v_subrev_nc_u32_e32 v15, s16, v4
.LBB19_4:
	s_or_b32 exec_lo, exec_lo, s3
	s_load_b32 s17, s[0:1], 0x38
	s_mov_b32 s3, exec_lo
	v_cmpx_gt_i32_e64 s4, v1
	s_cbranch_execz .LBB19_6
; %bb.5:
	s_load_b64 s[8:9], s[0:1], 0x48
	s_wait_kmcnt 0x0
	global_load_b32 v1, v1, s[8:9] scale_offset
	s_wait_loadcnt 0x0
	v_subrev_nc_u32_e32 v2, s17, v1
.LBB19_6:
	s_or_b32 exec_lo, exec_lo, s3
	s_cmp_lt_i32 s5, 1
	s_cbranch_scc1 .LBB19_24
; %bb.7:
	v_mbcnt_lo_u32_b32 v5, -1, 0
	v_dual_lshlrev_b32 v1, 3, v3 :: v_dual_bitop2_b32 v4, 1, v0 bitop3:0x40
	s_clause 0x3
	s_load_b64 s[2:3], s[0:1], 0x50
	s_load_b64 s[14:15], s[0:1], 0x40
	;; [unrolled: 1-line block ×4, first 2 shown]
	v_and_b32_e32 v0, 0xfc, v0
	v_dual_lshlrev_b32 v9, 2, v5 :: v_dual_bitop2_b32 v6, 1, v5 bitop3:0x14
	s_wait_xcnt 0x0
	v_cmp_gt_u32_e64 s0, s7, v4
	v_mul_lo_u32 v12, s7, v3
	v_lshl_or_b32 v16, v0, 2, v1
	v_cmp_gt_i32_e64 s1, 32, v6
	v_mul_lo_u32 v0, s6, v4
	s_and_b32 s4, vcc_lo, s0
	s_cmp_lg_u32 s12, 0
	v_or_b32_e32 v18, 4, v9
	s_cselect_b32 s18, -1, 0
	s_abs_i32 s19, s7
	v_dual_cndmask_b32 v1, v5, v6, s1 :: v_dual_lshlrev_b32 v10, 2, v4
	s_cvt_f32_u32 s0, s19
	s_mov_b32 s12, s6
	s_delay_alu instid0(VALU_DEP_1)
	v_dual_ashrrev_i32 v13, 31, v12 :: v_dual_lshlrev_b32 v17, 2, v1
	v_mov_b32_e32 v1, 0
	v_rcp_iflag_f32_e32 v11, s0
	v_or_b32_e32 v19, v16, v10
	s_wait_kmcnt 0x0
	v_lshl_add_u64 v[12:13], v[12:13], 2, s[14:15]
	v_mov_b32_e32 v22, 1
	v_lshl_add_u64 v[6:7], v[0:1], 2, s[14:15]
	v_dual_lshlrev_b32 v0, 2, v3 :: v_dual_bitop2_b32 v3, 2, v5 bitop3:0x14
	v_readfirstlane_b32 s6, v11
	v_mov_b32_e32 v11, v1
	s_sub_co_i32 s14, 0, s19
	v_add_nc_u64_e32 v[6:7], v[6:7], v[0:1]
	v_cmp_gt_i32_e32 vcc_lo, 32, v3
	s_mul_f32 s6, s6, 0x4f7ffffe
	v_add_nc_u64_e32 v[10:11], v[12:13], v[10:11]
	v_or_b32_e32 v21, 12, v9
	s_mov_b32 s13, 0
	v_cndmask_b32_e32 v0, v5, v3, vcc_lo
	s_cvt_u32_f32 s6, s6
	v_dual_mov_b32 v5, v1 :: v_dual_mov_b32 v3, 0
	s_ashr_i32 s1, s7, 31
	s_delay_alu instid0(SALU_CYCLE_1)
	s_mul_i32 s14, s14, s6
	v_lshlrev_b32_e32 v20, 2, v0
	s_mov_b32 s0, s7
	s_mul_hi_u32 s20, s6, s14
	s_mul_u64 s[14:15], s[0:1], s[12:13]
	s_add_co_i32 s12, s6, s20
	s_mov_b32 s6, s13
	s_branch .LBB19_10
.LBB19_8:                               ;   in Loop: Header=BB19_10 Depth=1
	s_wait_xcnt 0x0
	s_or_b32 exec_lo, exec_lo, s20
	s_wait_dscnt 0x0
	v_mov_b32_e32 v0, 1
.LBB19_9:                               ;   in Loop: Header=BB19_10 Depth=1
	s_or_b32 exec_lo, exec_lo, s0
	ds_bpermute_b32 v3, v20, v23
	s_wait_storecnt_dscnt 0x0
	v_dual_add_nc_u32 v2, v0, v2 :: v_dual_min_i32 v3, v3, v23
	ds_bpermute_b32 v9, v17, v3
	s_wait_dscnt 0x0
	v_min_i32_e32 v3, v9, v3
	ds_bpermute_b32 v3, v21, v3
	s_wait_dscnt 0x0
	v_cmp_le_i32_e32 vcc_lo, s5, v3
	s_or_b32 s6, vcc_lo, s6
	s_delay_alu instid0(SALU_CYCLE_1)
	s_and_not1_b32 exec_lo, exec_lo, s6
	s_cbranch_execz .LBB19_24
.LBB19_10:                              ; =>This Loop Header: Depth=1
                                        ;     Child Loop BB19_13 Depth 2
	v_dual_mov_b32 v23, s5 :: v_dual_add_nc_u32 v24, v8, v4
	v_mov_b32_e32 v26, v15
	s_mov_b32 s20, exec_lo
	ds_store_b8 v14, v1 offset:1024
	ds_store_b32 v19, v1
	s_wait_dscnt 0x0
	v_cmpx_lt_i32_e64 v24, v15
	s_cbranch_execz .LBB19_18
; %bb.11:                               ;   in Loop: Header=BB19_10 Depth=1
	v_dual_ashrrev_i32 v9, 31, v8 :: v_dual_mov_b32 v23, s5
	v_mul_lo_u32 v25, v3, s7
	v_mov_b32_e32 v26, v15
	s_mov_b32 s21, 0
	s_delay_alu instid0(VALU_DEP_3) | instskip(NEXT) | instid1(VALU_DEP_1)
	v_add_nc_u64_e32 v[8:9], v[4:5], v[8:9]
	v_lshlrev_b64_e32 v[12:13], 2, v[8:9]
	s_delay_alu instid0(VALU_DEP_1)
	v_add_nc_u64_e32 v[8:9], s[10:11], v[12:13]
	v_add_nc_u64_e32 v[12:13], s[8:9], v[12:13]
	s_branch .LBB19_13
.LBB19_12:                              ;   in Loop: Header=BB19_13 Depth=2
	s_wait_xcnt 0x0
	s_or_b32 exec_lo, exec_lo, s0
	v_add_nc_u32_e32 v24, 2, v24
	s_xor_b32 s22, vcc_lo, -1
	v_add_nc_u64_e32 v[8:9], 8, v[8:9]
	v_add_nc_u64_e32 v[12:13], 8, v[12:13]
	s_delay_alu instid0(VALU_DEP_3) | instskip(SKIP_1) | instid1(SALU_CYCLE_1)
	v_cmp_ge_i32_e64 s0, v24, v15
	s_or_b32 s0, s22, s0
	s_and_b32 s0, exec_lo, s0
	s_delay_alu instid0(SALU_CYCLE_1) | instskip(NEXT) | instid1(SALU_CYCLE_1)
	s_or_b32 s21, s0, s21
	s_and_not1_b32 exec_lo, exec_lo, s21
	s_cbranch_execz .LBB19_17
.LBB19_13:                              ;   Parent Loop BB19_10 Depth=1
                                        ; =>  This Inner Loop Header: Depth=2
	global_load_b32 v0, v[8:9], off
	s_wait_loadcnt 0x0
	v_subrev_nc_u32_e32 v27, s16, v0
	s_delay_alu instid0(VALU_DEP_1) | instskip(NEXT) | instid1(VALU_DEP_1)
	v_sub_nc_u32_e32 v0, 0, v27
	v_max_i32_e32 v0, v27, v0
	s_delay_alu instid0(VALU_DEP_1) | instskip(NEXT) | instid1(VALU_DEP_1)
	v_mul_u64_e32 v[28:29], s[12:13], v[0:1]
	v_mul_lo_u32 v28, v29, s19
	s_delay_alu instid0(VALU_DEP_1) | instskip(NEXT) | instid1(VALU_DEP_1)
	v_dual_sub_nc_u32 v0, v0, v28 :: v_dual_add_nc_u32 v28, 1, v29
	v_cmp_le_u32_e32 vcc_lo, s19, v0
	s_delay_alu instid0(VALU_DEP_2) | instskip(SKIP_1) | instid1(VALU_DEP_1)
	v_cndmask_b32_e32 v28, v29, v28, vcc_lo
	v_subrev_nc_u32_e32 v30, s19, v0
	v_dual_cndmask_b32 v0, v0, v30 :: v_dual_ashrrev_i32 v29, 31, v27
	s_delay_alu instid0(VALU_DEP_3) | instskip(NEXT) | instid1(VALU_DEP_2)
	v_add_nc_u32_e32 v30, 1, v28
	v_cmp_le_u32_e32 vcc_lo, s19, v0
	s_delay_alu instid0(VALU_DEP_2) | instskip(NEXT) | instid1(VALU_DEP_1)
	v_dual_cndmask_b32 v0, v28, v30, vcc_lo :: v_dual_bitop2_b32 v29, s1, v29 bitop3:0x14
	v_xor_b32_e32 v0, v0, v29
	s_delay_alu instid0(VALU_DEP_1) | instskip(NEXT) | instid1(VALU_DEP_1)
	v_dual_sub_nc_u32 v28, v0, v29 :: v_dual_mov_b32 v0, v26
	v_cmp_ne_u32_e64 s0, v28, v3
	v_cmp_eq_u32_e32 vcc_lo, v28, v3
	s_wait_xcnt 0x0
	s_and_saveexec_b32 s22, s0
	s_delay_alu instid0(SALU_CYCLE_1)
	s_xor_b32 s0, exec_lo, s22
; %bb.14:                               ;   in Loop: Header=BB19_13 Depth=2
	v_min_i32_e32 v23, v28, v23
                                        ; implicit-def: $vgpr27
                                        ; implicit-def: $vgpr0
; %bb.15:                               ;   in Loop: Header=BB19_13 Depth=2
	s_or_saveexec_b32 s0, s0
	v_mov_b32_e32 v26, v24
	s_xor_b32 exec_lo, exec_lo, s0
	s_cbranch_execz .LBB19_12
; %bb.16:                               ;   in Loop: Header=BB19_13 Depth=2
	global_load_b32 v28, v[12:13], off
	v_sub_nc_u32_e32 v26, v27, v25
	s_delay_alu instid0(VALU_DEP_1)
	v_lshl_add_u32 v27, v26, 2, v16
	v_mov_b32_e32 v26, v0
	ds_store_b8 v14, v22 offset:1024
	s_wait_loadcnt 0x0
	ds_store_b32 v27, v28
	s_branch .LBB19_12
.LBB19_17:                              ;   in Loop: Header=BB19_10 Depth=1
	s_or_b32 exec_lo, exec_lo, s21
.LBB19_18:                              ;   in Loop: Header=BB19_10 Depth=1
	s_delay_alu instid0(SALU_CYCLE_1)
	s_or_b32 exec_lo, exec_lo, s20
	ds_bpermute_b32 v0, v17, v26
	s_wait_dscnt 0x0
	ds_load_u8 v9, v14 offset:1024
	v_min_i32_e32 v0, v0, v26
	ds_bpermute_b32 v8, v18, v0
	s_wait_dscnt 0x1
	v_and_b32_e32 v0, 1, v9
	s_delay_alu instid0(VALU_DEP_1)
	v_cmp_eq_u32_e32 vcc_lo, 1, v0
	v_mov_b32_e32 v0, 0
	s_and_saveexec_b32 s0, vcc_lo
	s_cbranch_execz .LBB19_9
; %bb.19:                               ;   in Loop: Header=BB19_10 Depth=1
	v_add_nc_u32_e32 v0, s17, v3
	global_store_b32 v2, v0, s[2:3] scale_offset
	s_wait_xcnt 0x0
	s_and_saveexec_b32 s20, s4
	s_cbranch_execz .LBB19_8
; %bb.20:                               ;   in Loop: Header=BB19_10 Depth=1
	v_ashrrev_i32_e32 v3, 31, v2
	ds_load_b32 v0, v19
	s_and_b32 vcc_lo, exec_lo, s18
	v_mul_u64_e32 v[12:13], s[14:15], v[2:3]
	s_cbranch_vccz .LBB19_22
; %bb.21:                               ;   in Loop: Header=BB19_10 Depth=1
	s_delay_alu instid0(VALU_DEP_1)
	v_lshl_add_u64 v[24:25], v[12:13], 2, v[6:7]
	s_wait_dscnt 0x0
	global_store_b32 v[24:25], v0, off
	s_cbranch_execnz .LBB19_8
	s_branch .LBB19_23
.LBB19_22:                              ;   in Loop: Header=BB19_10 Depth=1
.LBB19_23:                              ;   in Loop: Header=BB19_10 Depth=1
	s_delay_alu instid0(VALU_DEP_1)
	v_lshl_add_u64 v[12:13], v[12:13], 2, v[10:11]
	s_wait_dscnt 0x0
	global_store_b32 v[12:13], v0, off
	s_branch .LBB19_8
.LBB19_24:
	s_endpgm
	.section	.rodata,"a",@progbits
	.p2align	6, 0x0
	.amdhsa_kernel _ZN9rocsparseL44csr2gebsr_wavefront_per_row_multipass_kernelILi256ELi2ELi2ELi4EfEEv20rocsparse_direction_iiiiii21rocsparse_index_base_PKT3_PKiS7_S2_PS3_PiS9_
		.amdhsa_group_segment_fixed_size 1088
		.amdhsa_private_segment_fixed_size 0
		.amdhsa_kernarg_size 88
		.amdhsa_user_sgpr_count 2
		.amdhsa_user_sgpr_dispatch_ptr 0
		.amdhsa_user_sgpr_queue_ptr 0
		.amdhsa_user_sgpr_kernarg_segment_ptr 1
		.amdhsa_user_sgpr_dispatch_id 0
		.amdhsa_user_sgpr_kernarg_preload_length 0
		.amdhsa_user_sgpr_kernarg_preload_offset 0
		.amdhsa_user_sgpr_private_segment_size 0
		.amdhsa_wavefront_size32 1
		.amdhsa_uses_dynamic_stack 0
		.amdhsa_enable_private_segment 0
		.amdhsa_system_sgpr_workgroup_id_x 1
		.amdhsa_system_sgpr_workgroup_id_y 0
		.amdhsa_system_sgpr_workgroup_id_z 0
		.amdhsa_system_sgpr_workgroup_info 0
		.amdhsa_system_vgpr_workitem_id 0
		.amdhsa_next_free_vgpr 31
		.amdhsa_next_free_sgpr 23
		.amdhsa_named_barrier_count 0
		.amdhsa_reserve_vcc 1
		.amdhsa_float_round_mode_32 0
		.amdhsa_float_round_mode_16_64 0
		.amdhsa_float_denorm_mode_32 3
		.amdhsa_float_denorm_mode_16_64 3
		.amdhsa_fp16_overflow 0
		.amdhsa_memory_ordered 1
		.amdhsa_forward_progress 1
		.amdhsa_inst_pref_size 11
		.amdhsa_round_robin_scheduling 0
		.amdhsa_exception_fp_ieee_invalid_op 0
		.amdhsa_exception_fp_denorm_src 0
		.amdhsa_exception_fp_ieee_div_zero 0
		.amdhsa_exception_fp_ieee_overflow 0
		.amdhsa_exception_fp_ieee_underflow 0
		.amdhsa_exception_fp_ieee_inexact 0
		.amdhsa_exception_int_div_zero 0
	.end_amdhsa_kernel
	.section	.text._ZN9rocsparseL44csr2gebsr_wavefront_per_row_multipass_kernelILi256ELi2ELi2ELi4EfEEv20rocsparse_direction_iiiiii21rocsparse_index_base_PKT3_PKiS7_S2_PS3_PiS9_,"axG",@progbits,_ZN9rocsparseL44csr2gebsr_wavefront_per_row_multipass_kernelILi256ELi2ELi2ELi4EfEEv20rocsparse_direction_iiiiii21rocsparse_index_base_PKT3_PKiS7_S2_PS3_PiS9_,comdat
.Lfunc_end19:
	.size	_ZN9rocsparseL44csr2gebsr_wavefront_per_row_multipass_kernelILi256ELi2ELi2ELi4EfEEv20rocsparse_direction_iiiiii21rocsparse_index_base_PKT3_PKiS7_S2_PS3_PiS9_, .Lfunc_end19-_ZN9rocsparseL44csr2gebsr_wavefront_per_row_multipass_kernelILi256ELi2ELi2ELi4EfEEv20rocsparse_direction_iiiiii21rocsparse_index_base_PKT3_PKiS7_S2_PS3_PiS9_
                                        ; -- End function
	.set _ZN9rocsparseL44csr2gebsr_wavefront_per_row_multipass_kernelILi256ELi2ELi2ELi4EfEEv20rocsparse_direction_iiiiii21rocsparse_index_base_PKT3_PKiS7_S2_PS3_PiS9_.num_vgpr, 31
	.set _ZN9rocsparseL44csr2gebsr_wavefront_per_row_multipass_kernelILi256ELi2ELi2ELi4EfEEv20rocsparse_direction_iiiiii21rocsparse_index_base_PKT3_PKiS7_S2_PS3_PiS9_.num_agpr, 0
	.set _ZN9rocsparseL44csr2gebsr_wavefront_per_row_multipass_kernelILi256ELi2ELi2ELi4EfEEv20rocsparse_direction_iiiiii21rocsparse_index_base_PKT3_PKiS7_S2_PS3_PiS9_.numbered_sgpr, 23
	.set _ZN9rocsparseL44csr2gebsr_wavefront_per_row_multipass_kernelILi256ELi2ELi2ELi4EfEEv20rocsparse_direction_iiiiii21rocsparse_index_base_PKT3_PKiS7_S2_PS3_PiS9_.num_named_barrier, 0
	.set _ZN9rocsparseL44csr2gebsr_wavefront_per_row_multipass_kernelILi256ELi2ELi2ELi4EfEEv20rocsparse_direction_iiiiii21rocsparse_index_base_PKT3_PKiS7_S2_PS3_PiS9_.private_seg_size, 0
	.set _ZN9rocsparseL44csr2gebsr_wavefront_per_row_multipass_kernelILi256ELi2ELi2ELi4EfEEv20rocsparse_direction_iiiiii21rocsparse_index_base_PKT3_PKiS7_S2_PS3_PiS9_.uses_vcc, 1
	.set _ZN9rocsparseL44csr2gebsr_wavefront_per_row_multipass_kernelILi256ELi2ELi2ELi4EfEEv20rocsparse_direction_iiiiii21rocsparse_index_base_PKT3_PKiS7_S2_PS3_PiS9_.uses_flat_scratch, 0
	.set _ZN9rocsparseL44csr2gebsr_wavefront_per_row_multipass_kernelILi256ELi2ELi2ELi4EfEEv20rocsparse_direction_iiiiii21rocsparse_index_base_PKT3_PKiS7_S2_PS3_PiS9_.has_dyn_sized_stack, 0
	.set _ZN9rocsparseL44csr2gebsr_wavefront_per_row_multipass_kernelILi256ELi2ELi2ELi4EfEEv20rocsparse_direction_iiiiii21rocsparse_index_base_PKT3_PKiS7_S2_PS3_PiS9_.has_recursion, 0
	.set _ZN9rocsparseL44csr2gebsr_wavefront_per_row_multipass_kernelILi256ELi2ELi2ELi4EfEEv20rocsparse_direction_iiiiii21rocsparse_index_base_PKT3_PKiS7_S2_PS3_PiS9_.has_indirect_call, 0
	.section	.AMDGPU.csdata,"",@progbits
; Kernel info:
; codeLenInByte = 1296
; TotalNumSgprs: 25
; NumVgprs: 31
; ScratchSize: 0
; MemoryBound: 0
; FloatMode: 240
; IeeeMode: 1
; LDSByteSize: 1088 bytes/workgroup (compile time only)
; SGPRBlocks: 0
; VGPRBlocks: 1
; NumSGPRsForWavesPerEU: 25
; NumVGPRsForWavesPerEU: 31
; NamedBarCnt: 0
; Occupancy: 16
; WaveLimiterHint : 0
; COMPUTE_PGM_RSRC2:SCRATCH_EN: 0
; COMPUTE_PGM_RSRC2:USER_SGPR: 2
; COMPUTE_PGM_RSRC2:TRAP_HANDLER: 0
; COMPUTE_PGM_RSRC2:TGID_X_EN: 1
; COMPUTE_PGM_RSRC2:TGID_Y_EN: 0
; COMPUTE_PGM_RSRC2:TGID_Z_EN: 0
; COMPUTE_PGM_RSRC2:TIDIG_COMP_CNT: 0
	.section	.text._ZN9rocsparseL44csr2gebsr_wavefront_per_row_multipass_kernelILi256ELi2ELi4ELi8EfEEv20rocsparse_direction_iiiiii21rocsparse_index_base_PKT3_PKiS7_S2_PS3_PiS9_,"axG",@progbits,_ZN9rocsparseL44csr2gebsr_wavefront_per_row_multipass_kernelILi256ELi2ELi4ELi8EfEEv20rocsparse_direction_iiiiii21rocsparse_index_base_PKT3_PKiS7_S2_PS3_PiS9_,comdat
	.globl	_ZN9rocsparseL44csr2gebsr_wavefront_per_row_multipass_kernelILi256ELi2ELi4ELi8EfEEv20rocsparse_direction_iiiiii21rocsparse_index_base_PKT3_PKiS7_S2_PS3_PiS9_ ; -- Begin function _ZN9rocsparseL44csr2gebsr_wavefront_per_row_multipass_kernelILi256ELi2ELi4ELi8EfEEv20rocsparse_direction_iiiiii21rocsparse_index_base_PKT3_PKiS7_S2_PS3_PiS9_
	.p2align	8
	.type	_ZN9rocsparseL44csr2gebsr_wavefront_per_row_multipass_kernelILi256ELi2ELi4ELi8EfEEv20rocsparse_direction_iiiiii21rocsparse_index_base_PKT3_PKiS7_S2_PS3_PiS9_,@function
_ZN9rocsparseL44csr2gebsr_wavefront_per_row_multipass_kernelILi256ELi2ELi4ELi8EfEEv20rocsparse_direction_iiiiii21rocsparse_index_base_PKT3_PKiS7_S2_PS3_PiS9_: ; @_ZN9rocsparseL44csr2gebsr_wavefront_per_row_multipass_kernelILi256ELi2ELi4ELi8EfEEv20rocsparse_direction_iiiiii21rocsparse_index_base_PKT3_PKiS7_S2_PS3_PiS9_
; %bb.0:
	s_clause 0x1
	s_load_b128 s[4:7], s[0:1], 0xc
	s_load_b64 s[12:13], s[0:1], 0x0
	s_bfe_u32 s2, ttmp6, 0x4000c
	s_and_b32 s3, ttmp6, 15
	s_add_co_i32 s2, s2, 1
	s_getreg_b32 s8, hwreg(HW_REG_IB_STS2, 6, 4)
	s_mul_i32 s2, ttmp9, s2
	v_dual_lshrrev_b32 v14, 3, v0 :: v_dual_mov_b32 v2, 0
	s_add_co_i32 s3, s3, s2
	s_cmp_eq_u32 s8, 0
	v_bfe_u32 v3, v0, 2, 1
	s_cselect_b32 s2, ttmp9, s3
	s_clause 0x1
	s_load_b32 s16, s[0:1], 0x1c
	s_load_b64 s[8:9], s[0:1], 0x28
	v_lshl_or_b32 v1, s2, 5, v14
	v_mov_b32_e32 v8, 0
	s_wait_kmcnt 0x0
	s_delay_alu instid0(VALU_DEP_2) | instskip(SKIP_1) | instid1(VALU_DEP_2)
	v_mad_u32 v4, v1, s6, v3
	v_cmp_gt_i32_e32 vcc_lo, s6, v3
	v_cmp_gt_i32_e64 s2, s13, v4
	s_and_b32 s2, vcc_lo, s2
	s_delay_alu instid0(SALU_CYCLE_1)
	s_and_saveexec_b32 s3, s2
	s_cbranch_execz .LBB20_2
; %bb.1:
	global_load_b32 v5, v4, s[8:9] scale_offset
	s_wait_loadcnt 0x0
	v_subrev_nc_u32_e32 v8, s16, v5
.LBB20_2:
	s_or_b32 exec_lo, exec_lo, s3
	v_mov_b32_e32 v15, 0
	s_and_saveexec_b32 s3, s2
	s_cbranch_execz .LBB20_4
; %bb.3:
	global_load_b32 v4, v4, s[8:9] offset:4 scale_offset
	s_wait_loadcnt 0x0
	v_subrev_nc_u32_e32 v15, s16, v4
.LBB20_4:
	s_or_b32 exec_lo, exec_lo, s3
	s_load_b32 s17, s[0:1], 0x38
	s_mov_b32 s3, exec_lo
	v_cmpx_gt_i32_e64 s4, v1
	s_cbranch_execz .LBB20_6
; %bb.5:
	s_load_b64 s[8:9], s[0:1], 0x48
	s_wait_kmcnt 0x0
	global_load_b32 v1, v1, s[8:9] scale_offset
	s_wait_loadcnt 0x0
	v_subrev_nc_u32_e32 v2, s17, v1
.LBB20_6:
	s_or_b32 exec_lo, exec_lo, s3
	s_cmp_lt_i32 s5, 1
	s_cbranch_scc1 .LBB20_24
; %bb.7:
	v_mbcnt_lo_u32_b32 v5, -1, 0
	s_clause 0x3
	s_load_b64 s[2:3], s[0:1], 0x50
	s_load_b64 s[14:15], s[0:1], 0x40
	;; [unrolled: 1-line block ×4, first 2 shown]
	v_mul_lo_u32 v12, s7, v3
	s_mov_b32 s13, 0
	v_dual_lshlrev_b32 v6, 4, v3 :: v_dual_bitop2_b32 v1, 2, v5 bitop3:0x14
	v_dual_lshlrev_b32 v9, 2, v5 :: v_dual_bitop2_b32 v7, 1, v5 bitop3:0x14
	v_mov_b32_e32 v23, 1
	s_wait_xcnt 0x0
	s_delay_alu instid0(VALU_DEP_3)
	v_cmp_gt_i32_e64 s0, 32, v1
	v_and_b32_e32 v4, 3, v0
	v_and_b32_e32 v0, 0xf8, v0
	v_cmp_gt_i32_e64 s1, 32, v7
	v_or_b32_e32 v19, 12, v9
	v_cndmask_b32_e64 v1, v5, v1, s0
	v_cmp_gt_u32_e64 s0, s7, v4
	v_lshl_or_b32 v16, v0, 2, v6
	v_mul_lo_u32 v0, s6, v4
	s_delay_alu instid0(VALU_DEP_4)
	v_dual_ashrrev_i32 v13, 31, v12 :: v_dual_lshlrev_b32 v17, 2, v1
	v_cndmask_b32_e64 v1, v5, v7, s1
	s_and_b32 s4, vcc_lo, s0
	s_cmp_lg_u32 s12, 0
	v_lshlrev_b32_e32 v10, 2, v4
	s_cselect_b32 s18, -1, 0
	s_abs_i32 s19, s7
	v_lshlrev_b32_e32 v18, 2, v1
	s_cvt_f32_u32 s0, s19
	v_dual_mov_b32 v1, 0 :: v_dual_bitop2_b32 v20, v16, v10 bitop3:0x54
	s_mov_b32 s12, s6
	s_delay_alu instid0(SALU_CYCLE_1)
	v_rcp_iflag_f32_e32 v11, s0
	v_or_b32_e32 v22, 28, v9
	s_wait_kmcnt 0x0
	v_lshl_add_u64 v[6:7], v[0:1], 2, s[14:15]
	v_dual_lshlrev_b32 v0, 2, v3 :: v_dual_bitop2_b32 v3, 4, v5 bitop3:0x14
	v_lshl_add_u64 v[12:13], v[12:13], 2, s[14:15]
	s_sub_co_i32 s14, 0, s19
	v_readfirstlane_b32 s6, v11
	v_mov_b32_e32 v11, v1
	v_cmp_gt_i32_e32 vcc_lo, 32, v3
	v_add_nc_u64_e32 v[6:7], v[6:7], v[0:1]
	s_ashr_i32 s1, s7, 31
	s_mul_f32 s6, s6, 0x4f7ffffe
	s_mov_b32 s0, s7
	v_cndmask_b32_e32 v0, v5, v3, vcc_lo
	v_mov_b32_e32 v5, v1
	s_cvt_u32_f32 s6, s6
	v_add_nc_u64_e32 v[10:11], v[12:13], v[10:11]
	s_delay_alu instid0(VALU_DEP_3) | instskip(NEXT) | instid1(SALU_CYCLE_1)
	v_dual_mov_b32 v3, 0 :: v_dual_lshlrev_b32 v21, 2, v0
	s_mul_i32 s14, s14, s6
	s_delay_alu instid0(SALU_CYCLE_1)
	s_mul_hi_u32 s20, s6, s14
	s_mul_u64 s[14:15], s[0:1], s[12:13]
	s_add_co_i32 s12, s6, s20
	s_mov_b32 s6, s13
	s_branch .LBB20_10
.LBB20_8:                               ;   in Loop: Header=BB20_10 Depth=1
	s_wait_xcnt 0x0
	s_or_b32 exec_lo, exec_lo, s20
	s_wait_dscnt 0x0
	v_mov_b32_e32 v0, 1
.LBB20_9:                               ;   in Loop: Header=BB20_10 Depth=1
	s_or_b32 exec_lo, exec_lo, s0
	ds_bpermute_b32 v3, v21, v24
	s_wait_storecnt_dscnt 0x0
	v_dual_add_nc_u32 v2, v0, v2 :: v_dual_min_i32 v3, v3, v24
	ds_bpermute_b32 v9, v17, v3
	s_wait_dscnt 0x0
	v_min_i32_e32 v3, v9, v3
	ds_bpermute_b32 v9, v18, v3
	s_wait_dscnt 0x0
	v_min_i32_e32 v3, v9, v3
	ds_bpermute_b32 v3, v22, v3
	s_wait_dscnt 0x0
	v_cmp_le_i32_e32 vcc_lo, s5, v3
	s_or_b32 s6, vcc_lo, s6
	s_delay_alu instid0(SALU_CYCLE_1)
	s_and_not1_b32 exec_lo, exec_lo, s6
	s_cbranch_execz .LBB20_24
.LBB20_10:                              ; =>This Loop Header: Depth=1
                                        ;     Child Loop BB20_13 Depth 2
	v_dual_mov_b32 v24, s5 :: v_dual_add_nc_u32 v25, v8, v4
	v_mov_b32_e32 v27, v15
	s_mov_b32 s20, exec_lo
	ds_store_b8 v14, v1 offset:1024
	ds_store_b32 v20, v1
	s_wait_dscnt 0x0
	v_cmpx_lt_i32_e64 v25, v15
	s_cbranch_execz .LBB20_18
; %bb.11:                               ;   in Loop: Header=BB20_10 Depth=1
	v_dual_mov_b32 v24, s5 :: v_dual_ashrrev_i32 v9, 31, v8
	v_mul_lo_u32 v26, v3, s7
	v_mov_b32_e32 v27, v15
	s_mov_b32 s21, 0
	s_delay_alu instid0(VALU_DEP_3) | instskip(NEXT) | instid1(VALU_DEP_1)
	v_add_nc_u64_e32 v[8:9], v[4:5], v[8:9]
	v_lshlrev_b64_e32 v[12:13], 2, v[8:9]
	s_delay_alu instid0(VALU_DEP_1)
	v_add_nc_u64_e32 v[8:9], s[10:11], v[12:13]
	v_add_nc_u64_e32 v[12:13], s[8:9], v[12:13]
	s_branch .LBB20_13
.LBB20_12:                              ;   in Loop: Header=BB20_13 Depth=2
	s_wait_xcnt 0x0
	s_or_b32 exec_lo, exec_lo, s0
	v_add_nc_u32_e32 v25, 4, v25
	s_xor_b32 s22, vcc_lo, -1
	v_add_nc_u64_e32 v[8:9], 16, v[8:9]
	v_add_nc_u64_e32 v[12:13], 16, v[12:13]
	s_delay_alu instid0(VALU_DEP_3) | instskip(SKIP_1) | instid1(SALU_CYCLE_1)
	v_cmp_ge_i32_e64 s0, v25, v15
	s_or_b32 s0, s22, s0
	s_and_b32 s0, exec_lo, s0
	s_delay_alu instid0(SALU_CYCLE_1) | instskip(NEXT) | instid1(SALU_CYCLE_1)
	s_or_b32 s21, s0, s21
	s_and_not1_b32 exec_lo, exec_lo, s21
	s_cbranch_execz .LBB20_17
.LBB20_13:                              ;   Parent Loop BB20_10 Depth=1
                                        ; =>  This Inner Loop Header: Depth=2
	global_load_b32 v0, v[8:9], off
	s_wait_loadcnt 0x0
	v_subrev_nc_u32_e32 v28, s16, v0
	s_delay_alu instid0(VALU_DEP_1) | instskip(NEXT) | instid1(VALU_DEP_1)
	v_sub_nc_u32_e32 v0, 0, v28
	v_max_i32_e32 v0, v28, v0
	s_delay_alu instid0(VALU_DEP_1) | instskip(NEXT) | instid1(VALU_DEP_1)
	v_mul_u64_e32 v[30:31], s[12:13], v[0:1]
	v_mul_lo_u32 v29, v31, s19
	s_delay_alu instid0(VALU_DEP_1) | instskip(NEXT) | instid1(VALU_DEP_1)
	v_dual_sub_nc_u32 v0, v0, v29 :: v_dual_add_nc_u32 v29, 1, v31
	v_cmp_le_u32_e32 vcc_lo, s19, v0
	s_delay_alu instid0(VALU_DEP_2) | instskip(SKIP_1) | instid1(VALU_DEP_1)
	v_dual_cndmask_b32 v29, v31, v29, vcc_lo :: v_dual_ashrrev_i32 v31, 31, v28
	v_subrev_nc_u32_e32 v30, s19, v0
	v_dual_cndmask_b32 v0, v0, v30, vcc_lo :: v_dual_add_nc_u32 v30, 1, v29
	s_delay_alu instid0(VALU_DEP_1) | instskip(NEXT) | instid1(VALU_DEP_2)
	v_cmp_le_u32_e32 vcc_lo, s19, v0
	v_dual_cndmask_b32 v0, v29, v30, vcc_lo :: v_dual_bitop2_b32 v31, s1, v31 bitop3:0x14
	s_delay_alu instid0(VALU_DEP_1) | instskip(NEXT) | instid1(VALU_DEP_1)
	v_xor_b32_e32 v0, v0, v31
	v_dual_mov_b32 v0, v27 :: v_dual_sub_nc_u32 v29, v0, v31
	s_delay_alu instid0(VALU_DEP_1) | instskip(SKIP_3) | instid1(SALU_CYCLE_1)
	v_cmp_ne_u32_e64 s0, v29, v3
	v_cmp_eq_u32_e32 vcc_lo, v29, v3
	s_wait_xcnt 0x0
	s_and_saveexec_b32 s22, s0
	s_xor_b32 s0, exec_lo, s22
; %bb.14:                               ;   in Loop: Header=BB20_13 Depth=2
	v_min_i32_e32 v24, v29, v24
                                        ; implicit-def: $vgpr28
                                        ; implicit-def: $vgpr0
; %bb.15:                               ;   in Loop: Header=BB20_13 Depth=2
	s_or_saveexec_b32 s0, s0
	v_mov_b32_e32 v27, v25
	s_xor_b32 exec_lo, exec_lo, s0
	s_cbranch_execz .LBB20_12
; %bb.16:                               ;   in Loop: Header=BB20_13 Depth=2
	global_load_b32 v29, v[12:13], off
	v_sub_nc_u32_e32 v27, v28, v26
	s_delay_alu instid0(VALU_DEP_1)
	v_lshl_add_u32 v28, v27, 2, v16
	v_mov_b32_e32 v27, v0
	ds_store_b8 v14, v23 offset:1024
	s_wait_loadcnt 0x0
	ds_store_b32 v28, v29
	s_branch .LBB20_12
.LBB20_17:                              ;   in Loop: Header=BB20_10 Depth=1
	s_or_b32 exec_lo, exec_lo, s21
.LBB20_18:                              ;   in Loop: Header=BB20_10 Depth=1
	s_delay_alu instid0(SALU_CYCLE_1)
	s_or_b32 exec_lo, exec_lo, s20
	ds_bpermute_b32 v0, v17, v27
	s_wait_dscnt 0x0
	ds_load_u8 v9, v14 offset:1024
	v_min_i32_e32 v0, v0, v27
	ds_bpermute_b32 v8, v18, v0
	s_wait_dscnt 0x0
	v_min_i32_e32 v0, v8, v0
	ds_bpermute_b32 v8, v19, v0
	v_and_b32_e32 v0, 1, v9
	s_delay_alu instid0(VALU_DEP_1)
	v_cmp_eq_u32_e32 vcc_lo, 1, v0
	v_mov_b32_e32 v0, 0
	s_and_saveexec_b32 s0, vcc_lo
	s_cbranch_execz .LBB20_9
; %bb.19:                               ;   in Loop: Header=BB20_10 Depth=1
	v_add_nc_u32_e32 v0, s17, v3
	global_store_b32 v2, v0, s[2:3] scale_offset
	s_wait_xcnt 0x0
	s_and_saveexec_b32 s20, s4
	s_cbranch_execz .LBB20_8
; %bb.20:                               ;   in Loop: Header=BB20_10 Depth=1
	v_ashrrev_i32_e32 v3, 31, v2
	ds_load_b32 v0, v20
	s_and_b32 vcc_lo, exec_lo, s18
	v_mul_u64_e32 v[12:13], s[14:15], v[2:3]
	s_cbranch_vccz .LBB20_22
; %bb.21:                               ;   in Loop: Header=BB20_10 Depth=1
	s_delay_alu instid0(VALU_DEP_1)
	v_lshl_add_u64 v[26:27], v[12:13], 2, v[6:7]
	s_wait_dscnt 0x0
	global_store_b32 v[26:27], v0, off
	s_cbranch_execnz .LBB20_8
	s_branch .LBB20_23
.LBB20_22:                              ;   in Loop: Header=BB20_10 Depth=1
.LBB20_23:                              ;   in Loop: Header=BB20_10 Depth=1
	s_delay_alu instid0(VALU_DEP_1)
	v_lshl_add_u64 v[12:13], v[12:13], 2, v[10:11]
	s_wait_dscnt 0x0
	global_store_b32 v[12:13], v0, off
	s_branch .LBB20_8
.LBB20_24:
	s_endpgm
	.section	.rodata,"a",@progbits
	.p2align	6, 0x0
	.amdhsa_kernel _ZN9rocsparseL44csr2gebsr_wavefront_per_row_multipass_kernelILi256ELi2ELi4ELi8EfEEv20rocsparse_direction_iiiiii21rocsparse_index_base_PKT3_PKiS7_S2_PS3_PiS9_
		.amdhsa_group_segment_fixed_size 1056
		.amdhsa_private_segment_fixed_size 0
		.amdhsa_kernarg_size 88
		.amdhsa_user_sgpr_count 2
		.amdhsa_user_sgpr_dispatch_ptr 0
		.amdhsa_user_sgpr_queue_ptr 0
		.amdhsa_user_sgpr_kernarg_segment_ptr 1
		.amdhsa_user_sgpr_dispatch_id 0
		.amdhsa_user_sgpr_kernarg_preload_length 0
		.amdhsa_user_sgpr_kernarg_preload_offset 0
		.amdhsa_user_sgpr_private_segment_size 0
		.amdhsa_wavefront_size32 1
		.amdhsa_uses_dynamic_stack 0
		.amdhsa_enable_private_segment 0
		.amdhsa_system_sgpr_workgroup_id_x 1
		.amdhsa_system_sgpr_workgroup_id_y 0
		.amdhsa_system_sgpr_workgroup_id_z 0
		.amdhsa_system_sgpr_workgroup_info 0
		.amdhsa_system_vgpr_workitem_id 0
		.amdhsa_next_free_vgpr 32
		.amdhsa_next_free_sgpr 23
		.amdhsa_named_barrier_count 0
		.amdhsa_reserve_vcc 1
		.amdhsa_float_round_mode_32 0
		.amdhsa_float_round_mode_16_64 0
		.amdhsa_float_denorm_mode_32 3
		.amdhsa_float_denorm_mode_16_64 3
		.amdhsa_fp16_overflow 0
		.amdhsa_memory_ordered 1
		.amdhsa_forward_progress 1
		.amdhsa_inst_pref_size 11
		.amdhsa_round_robin_scheduling 0
		.amdhsa_exception_fp_ieee_invalid_op 0
		.amdhsa_exception_fp_denorm_src 0
		.amdhsa_exception_fp_ieee_div_zero 0
		.amdhsa_exception_fp_ieee_overflow 0
		.amdhsa_exception_fp_ieee_underflow 0
		.amdhsa_exception_fp_ieee_inexact 0
		.amdhsa_exception_int_div_zero 0
	.end_amdhsa_kernel
	.section	.text._ZN9rocsparseL44csr2gebsr_wavefront_per_row_multipass_kernelILi256ELi2ELi4ELi8EfEEv20rocsparse_direction_iiiiii21rocsparse_index_base_PKT3_PKiS7_S2_PS3_PiS9_,"axG",@progbits,_ZN9rocsparseL44csr2gebsr_wavefront_per_row_multipass_kernelILi256ELi2ELi4ELi8EfEEv20rocsparse_direction_iiiiii21rocsparse_index_base_PKT3_PKiS7_S2_PS3_PiS9_,comdat
.Lfunc_end20:
	.size	_ZN9rocsparseL44csr2gebsr_wavefront_per_row_multipass_kernelILi256ELi2ELi4ELi8EfEEv20rocsparse_direction_iiiiii21rocsparse_index_base_PKT3_PKiS7_S2_PS3_PiS9_, .Lfunc_end20-_ZN9rocsparseL44csr2gebsr_wavefront_per_row_multipass_kernelILi256ELi2ELi4ELi8EfEEv20rocsparse_direction_iiiiii21rocsparse_index_base_PKT3_PKiS7_S2_PS3_PiS9_
                                        ; -- End function
	.set _ZN9rocsparseL44csr2gebsr_wavefront_per_row_multipass_kernelILi256ELi2ELi4ELi8EfEEv20rocsparse_direction_iiiiii21rocsparse_index_base_PKT3_PKiS7_S2_PS3_PiS9_.num_vgpr, 32
	.set _ZN9rocsparseL44csr2gebsr_wavefront_per_row_multipass_kernelILi256ELi2ELi4ELi8EfEEv20rocsparse_direction_iiiiii21rocsparse_index_base_PKT3_PKiS7_S2_PS3_PiS9_.num_agpr, 0
	.set _ZN9rocsparseL44csr2gebsr_wavefront_per_row_multipass_kernelILi256ELi2ELi4ELi8EfEEv20rocsparse_direction_iiiiii21rocsparse_index_base_PKT3_PKiS7_S2_PS3_PiS9_.numbered_sgpr, 23
	.set _ZN9rocsparseL44csr2gebsr_wavefront_per_row_multipass_kernelILi256ELi2ELi4ELi8EfEEv20rocsparse_direction_iiiiii21rocsparse_index_base_PKT3_PKiS7_S2_PS3_PiS9_.num_named_barrier, 0
	.set _ZN9rocsparseL44csr2gebsr_wavefront_per_row_multipass_kernelILi256ELi2ELi4ELi8EfEEv20rocsparse_direction_iiiiii21rocsparse_index_base_PKT3_PKiS7_S2_PS3_PiS9_.private_seg_size, 0
	.set _ZN9rocsparseL44csr2gebsr_wavefront_per_row_multipass_kernelILi256ELi2ELi4ELi8EfEEv20rocsparse_direction_iiiiii21rocsparse_index_base_PKT3_PKiS7_S2_PS3_PiS9_.uses_vcc, 1
	.set _ZN9rocsparseL44csr2gebsr_wavefront_per_row_multipass_kernelILi256ELi2ELi4ELi8EfEEv20rocsparse_direction_iiiiii21rocsparse_index_base_PKT3_PKiS7_S2_PS3_PiS9_.uses_flat_scratch, 0
	.set _ZN9rocsparseL44csr2gebsr_wavefront_per_row_multipass_kernelILi256ELi2ELi4ELi8EfEEv20rocsparse_direction_iiiiii21rocsparse_index_base_PKT3_PKiS7_S2_PS3_PiS9_.has_dyn_sized_stack, 0
	.set _ZN9rocsparseL44csr2gebsr_wavefront_per_row_multipass_kernelILi256ELi2ELi4ELi8EfEEv20rocsparse_direction_iiiiii21rocsparse_index_base_PKT3_PKiS7_S2_PS3_PiS9_.has_recursion, 0
	.set _ZN9rocsparseL44csr2gebsr_wavefront_per_row_multipass_kernelILi256ELi2ELi4ELi8EfEEv20rocsparse_direction_iiiiii21rocsparse_index_base_PKT3_PKiS7_S2_PS3_PiS9_.has_indirect_call, 0
	.section	.AMDGPU.csdata,"",@progbits
; Kernel info:
; codeLenInByte = 1360
; TotalNumSgprs: 25
; NumVgprs: 32
; ScratchSize: 0
; MemoryBound: 0
; FloatMode: 240
; IeeeMode: 1
; LDSByteSize: 1056 bytes/workgroup (compile time only)
; SGPRBlocks: 0
; VGPRBlocks: 1
; NumSGPRsForWavesPerEU: 25
; NumVGPRsForWavesPerEU: 32
; NamedBarCnt: 0
; Occupancy: 16
; WaveLimiterHint : 0
; COMPUTE_PGM_RSRC2:SCRATCH_EN: 0
; COMPUTE_PGM_RSRC2:USER_SGPR: 2
; COMPUTE_PGM_RSRC2:TRAP_HANDLER: 0
; COMPUTE_PGM_RSRC2:TGID_X_EN: 1
; COMPUTE_PGM_RSRC2:TGID_Y_EN: 0
; COMPUTE_PGM_RSRC2:TGID_Z_EN: 0
; COMPUTE_PGM_RSRC2:TIDIG_COMP_CNT: 0
	.section	.text._ZN9rocsparseL44csr2gebsr_wavefront_per_row_multipass_kernelILi256ELi2ELi8ELi16EfEEv20rocsparse_direction_iiiiii21rocsparse_index_base_PKT3_PKiS7_S2_PS3_PiS9_,"axG",@progbits,_ZN9rocsparseL44csr2gebsr_wavefront_per_row_multipass_kernelILi256ELi2ELi8ELi16EfEEv20rocsparse_direction_iiiiii21rocsparse_index_base_PKT3_PKiS7_S2_PS3_PiS9_,comdat
	.globl	_ZN9rocsparseL44csr2gebsr_wavefront_per_row_multipass_kernelILi256ELi2ELi8ELi16EfEEv20rocsparse_direction_iiiiii21rocsparse_index_base_PKT3_PKiS7_S2_PS3_PiS9_ ; -- Begin function _ZN9rocsparseL44csr2gebsr_wavefront_per_row_multipass_kernelILi256ELi2ELi8ELi16EfEEv20rocsparse_direction_iiiiii21rocsparse_index_base_PKT3_PKiS7_S2_PS3_PiS9_
	.p2align	8
	.type	_ZN9rocsparseL44csr2gebsr_wavefront_per_row_multipass_kernelILi256ELi2ELi8ELi16EfEEv20rocsparse_direction_iiiiii21rocsparse_index_base_PKT3_PKiS7_S2_PS3_PiS9_,@function
_ZN9rocsparseL44csr2gebsr_wavefront_per_row_multipass_kernelILi256ELi2ELi8ELi16EfEEv20rocsparse_direction_iiiiii21rocsparse_index_base_PKT3_PKiS7_S2_PS3_PiS9_: ; @_ZN9rocsparseL44csr2gebsr_wavefront_per_row_multipass_kernelILi256ELi2ELi8ELi16EfEEv20rocsparse_direction_iiiiii21rocsparse_index_base_PKT3_PKiS7_S2_PS3_PiS9_
; %bb.0:
	s_clause 0x1
	s_load_b128 s[4:7], s[0:1], 0xc
	s_load_b64 s[12:13], s[0:1], 0x0
	s_bfe_u32 s2, ttmp6, 0x4000c
	s_and_b32 s3, ttmp6, 15
	s_add_co_i32 s2, s2, 1
	s_getreg_b32 s8, hwreg(HW_REG_IB_STS2, 6, 4)
	s_mul_i32 s2, ttmp9, s2
	v_dual_lshrrev_b32 v14, 4, v0 :: v_dual_mov_b32 v2, 0
	s_add_co_i32 s3, s3, s2
	s_cmp_eq_u32 s8, 0
	v_bfe_u32 v1, v0, 3, 1
	s_cselect_b32 s2, ttmp9, s3
	s_clause 0x1
	s_load_b32 s16, s[0:1], 0x1c
	s_load_b64 s[8:9], s[0:1], 0x28
	v_lshl_or_b32 v3, s2, 4, v14
	v_mov_b32_e32 v6, 0
	s_wait_kmcnt 0x0
	s_delay_alu instid0(VALU_DEP_2) | instskip(SKIP_1) | instid1(VALU_DEP_2)
	v_mad_u32 v4, v3, s6, v1
	v_cmp_gt_i32_e32 vcc_lo, s6, v1
	v_cmp_gt_i32_e64 s2, s13, v4
	s_and_b32 s2, vcc_lo, s2
	s_delay_alu instid0(SALU_CYCLE_1)
	s_and_saveexec_b32 s3, s2
	s_cbranch_execz .LBB21_2
; %bb.1:
	global_load_b32 v5, v4, s[8:9] scale_offset
	s_wait_loadcnt 0x0
	v_subrev_nc_u32_e32 v6, s16, v5
.LBB21_2:
	s_or_b32 exec_lo, exec_lo, s3
	v_mov_b32_e32 v15, 0
	s_and_saveexec_b32 s3, s2
	s_cbranch_execz .LBB21_4
; %bb.3:
	global_load_b32 v4, v4, s[8:9] offset:4 scale_offset
	s_wait_loadcnt 0x0
	v_subrev_nc_u32_e32 v15, s16, v4
.LBB21_4:
	s_or_b32 exec_lo, exec_lo, s3
	s_load_b32 s17, s[0:1], 0x38
	s_mov_b32 s3, exec_lo
	v_cmpx_gt_i32_e64 s4, v3
	s_cbranch_execz .LBB21_6
; %bb.5:
	s_load_b64 s[8:9], s[0:1], 0x48
	s_wait_kmcnt 0x0
	global_load_b32 v2, v3, s[8:9] scale_offset
	s_wait_loadcnt 0x0
	v_subrev_nc_u32_e32 v2, s17, v2
.LBB21_6:
	s_or_b32 exec_lo, exec_lo, s3
	s_cmp_lt_i32 s5, 1
	s_cbranch_scc1 .LBB21_24
; %bb.7:
	v_mbcnt_lo_u32_b32 v3, -1, 0
	v_lshlrev_b32_e32 v5, 5, v1
	v_and_b32_e32 v4, 0xf0, v0
	s_clause 0x3
	s_load_b64 s[2:3], s[0:1], 0x50
	s_load_b64 s[14:15], s[0:1], 0x40
	;; [unrolled: 1-line block ×4, first 2 shown]
	v_mul_lo_u32 v12, s7, v1
	v_xor_b32_e32 v7, 4, v3
	s_mov_b32 s13, 0
	v_lshl_or_b32 v16, v4, 2, v5
	v_mov_b32_e32 v24, 1
	s_wait_xcnt 0x0
	v_cmp_gt_i32_e64 s0, 32, v7
	s_delay_alu instid0(VALU_DEP_1) | instskip(SKIP_1) | instid1(VALU_DEP_2)
	v_dual_cndmask_b32 v4, v3, v7, s0 :: v_dual_bitop2_b32 v0, 7, v0 bitop3:0x40
	v_xor_b32_e32 v8, 2, v3
	v_dual_lshlrev_b32 v10, 2, v0 :: v_dual_bitop2_b32 v7, 1, v3 bitop3:0x14
	v_ashrrev_i32_e32 v13, 31, v12
	s_delay_alu instid0(VALU_DEP_4) | instskip(NEXT) | instid1(VALU_DEP_4)
	v_lshlrev_b32_e32 v17, 2, v4
	v_cmp_gt_i32_e64 s0, 32, v8
	s_delay_alu instid0(VALU_DEP_4)
	v_cmp_gt_i32_e64 s1, 32, v7
	v_mul_lo_u32 v4, s6, v0
	v_or_b32_e32 v21, v16, v10
	s_wait_kmcnt 0x0
	v_lshl_add_u64 v[12:13], v[12:13], 2, s[14:15]
	v_cndmask_b32_e64 v5, v3, v8, s0
	v_cmp_gt_u32_e64 s0, s7, v0
	s_delay_alu instid0(VALU_DEP_2)
	v_dual_lshlrev_b32 v18, 2, v5 :: v_dual_cndmask_b32 v5, v3, v7, s1
	s_and_b32 s4, vcc_lo, s0
	s_cmp_lg_u32 s12, 0
	v_lshlrev_b32_e32 v7, 2, v3
	s_cselect_b32 s18, -1, 0
	s_abs_i32 s19, s7
	v_lshlrev_b32_e32 v19, 2, v5
	s_cvt_f32_u32 s0, s19
	v_mov_b32_e32 v5, 0
	s_mov_b32 s12, s6
	v_or_b32_e32 v20, 28, v7
	v_rcp_iflag_f32_e32 v11, s0
	v_or_b32_e32 v23, 60, v7
	v_lshl_add_u64 v[8:9], v[4:5], 2, s[14:15]
	v_dual_lshlrev_b32 v4, 2, v1 :: v_dual_bitop2_b32 v1, 8, v3 bitop3:0x14
	s_sub_co_i32 s14, 0, s19
	s_ashr_i32 s1, s7, 31
	s_delay_alu instid0(TRANS32_DEP_1)
	v_readfirstlane_b32 s6, v11
	v_mov_b32_e32 v11, v5
	v_cmp_gt_i32_e32 vcc_lo, 32, v1
	v_add_nc_u64_e32 v[8:9], v[8:9], v[4:5]
	s_mov_b32 s0, s7
	s_mul_f32 s6, s6, 0x4f7ffffe
	v_add_nc_u64_e32 v[10:11], v[12:13], v[10:11]
	v_dual_cndmask_b32 v3, v3, v1, vcc_lo :: v_dual_mov_b32 v1, v5
	s_delay_alu instid0(SALU_CYCLE_1) | instskip(NEXT) | instid1(VALU_DEP_1)
	s_cvt_u32_f32 s6, s6
	v_lshlrev_b32_e32 v22, 2, v3
	s_delay_alu instid0(SALU_CYCLE_2)
	s_mul_i32 s14, s14, s6
	v_mov_b32_e32 v3, 0
	s_mul_hi_u32 s20, s6, s14
	s_mul_u64 s[14:15], s[0:1], s[12:13]
	s_add_co_i32 s12, s6, s20
	s_mov_b32 s6, s13
	s_branch .LBB21_10
.LBB21_8:                               ;   in Loop: Header=BB21_10 Depth=1
	s_wait_xcnt 0x0
	s_or_b32 exec_lo, exec_lo, s20
	v_mov_b32_e32 v4, 1
.LBB21_9:                               ;   in Loop: Header=BB21_10 Depth=1
	s_or_b32 exec_lo, exec_lo, s0
	s_wait_dscnt 0x0
	ds_bpermute_b32 v3, v22, v25
	s_wait_storecnt_dscnt 0x0
	v_dual_add_nc_u32 v2, v4, v2 :: v_dual_min_i32 v3, v3, v25
	ds_bpermute_b32 v7, v17, v3
	s_wait_dscnt 0x0
	v_min_i32_e32 v3, v7, v3
	ds_bpermute_b32 v7, v18, v3
	s_wait_dscnt 0x0
	v_min_i32_e32 v3, v7, v3
	;; [unrolled: 3-line block ×3, first 2 shown]
	ds_bpermute_b32 v3, v23, v3
	s_wait_dscnt 0x0
	v_cmp_le_i32_e32 vcc_lo, s5, v3
	s_or_b32 s6, vcc_lo, s6
	s_delay_alu instid0(SALU_CYCLE_1)
	s_and_not1_b32 exec_lo, exec_lo, s6
	s_cbranch_execz .LBB21_24
.LBB21_10:                              ; =>This Loop Header: Depth=1
                                        ;     Child Loop BB21_13 Depth 2
	v_dual_mov_b32 v25, s5 :: v_dual_add_nc_u32 v26, v6, v0
	v_mov_b32_e32 v28, v15
	s_mov_b32 s20, exec_lo
	ds_store_b8 v14, v5 offset:1024
	ds_store_b32 v21, v5
	s_wait_dscnt 0x0
	v_cmpx_lt_i32_e64 v26, v15
	s_cbranch_execz .LBB21_18
; %bb.11:                               ;   in Loop: Header=BB21_10 Depth=1
	v_dual_ashrrev_i32 v7, 31, v6 :: v_dual_mov_b32 v25, s5
	v_mul_lo_u32 v27, v3, s7
	v_mov_b32_e32 v28, v15
	s_mov_b32 s21, 0
	s_delay_alu instid0(VALU_DEP_3) | instskip(NEXT) | instid1(VALU_DEP_1)
	v_add_nc_u64_e32 v[6:7], v[0:1], v[6:7]
	v_lshlrev_b64_e32 v[12:13], 2, v[6:7]
	s_delay_alu instid0(VALU_DEP_1)
	v_add_nc_u64_e32 v[6:7], s[10:11], v[12:13]
	v_add_nc_u64_e32 v[12:13], s[8:9], v[12:13]
	s_branch .LBB21_13
.LBB21_12:                              ;   in Loop: Header=BB21_13 Depth=2
	s_wait_xcnt 0x0
	s_or_b32 exec_lo, exec_lo, s0
	v_add_nc_u32_e32 v26, 8, v26
	s_xor_b32 s22, vcc_lo, -1
	v_add_nc_u64_e32 v[6:7], 32, v[6:7]
	v_add_nc_u64_e32 v[12:13], 32, v[12:13]
	s_delay_alu instid0(VALU_DEP_3) | instskip(SKIP_1) | instid1(SALU_CYCLE_1)
	v_cmp_ge_i32_e64 s0, v26, v15
	s_or_b32 s0, s22, s0
	s_and_b32 s0, exec_lo, s0
	s_delay_alu instid0(SALU_CYCLE_1) | instskip(NEXT) | instid1(SALU_CYCLE_1)
	s_or_b32 s21, s0, s21
	s_and_not1_b32 exec_lo, exec_lo, s21
	s_cbranch_execz .LBB21_17
.LBB21_13:                              ;   Parent Loop BB21_10 Depth=1
                                        ; =>  This Inner Loop Header: Depth=2
	global_load_b32 v4, v[6:7], off
	s_wait_loadcnt 0x0
	v_subrev_nc_u32_e32 v29, s16, v4
	s_delay_alu instid0(VALU_DEP_1) | instskip(NEXT) | instid1(VALU_DEP_1)
	v_sub_nc_u32_e32 v4, 0, v29
	v_max_i32_e32 v4, v29, v4
	s_delay_alu instid0(VALU_DEP_1) | instskip(NEXT) | instid1(VALU_DEP_1)
	v_mul_u64_e32 v[30:31], s[12:13], v[4:5]
	v_mul_lo_u32 v30, v31, s19
	s_delay_alu instid0(VALU_DEP_1) | instskip(NEXT) | instid1(VALU_DEP_1)
	v_dual_sub_nc_u32 v4, v4, v30 :: v_dual_add_nc_u32 v30, 1, v31
	v_cmp_le_u32_e32 vcc_lo, s19, v4
	s_delay_alu instid0(VALU_DEP_2) | instskip(SKIP_1) | instid1(VALU_DEP_1)
	v_dual_cndmask_b32 v30, v31, v30 :: v_dual_ashrrev_i32 v31, 31, v29
	v_subrev_nc_u32_e32 v32, s19, v4
	v_dual_cndmask_b32 v4, v4, v32, vcc_lo :: v_dual_add_nc_u32 v32, 1, v30
	s_delay_alu instid0(VALU_DEP_1) | instskip(NEXT) | instid1(VALU_DEP_2)
	v_cmp_le_u32_e32 vcc_lo, s19, v4
	v_dual_cndmask_b32 v4, v30, v32, vcc_lo :: v_dual_bitop2_b32 v31, s1, v31 bitop3:0x14
	s_delay_alu instid0(VALU_DEP_1) | instskip(NEXT) | instid1(VALU_DEP_1)
	v_xor_b32_e32 v4, v4, v31
	v_sub_nc_u32_e32 v30, v4, v31
	v_mov_b32_e32 v4, v28
	s_delay_alu instid0(VALU_DEP_2) | instskip(SKIP_3) | instid1(SALU_CYCLE_1)
	v_cmp_ne_u32_e64 s0, v30, v3
	v_cmp_eq_u32_e32 vcc_lo, v30, v3
	s_wait_xcnt 0x0
	s_and_saveexec_b32 s22, s0
	s_xor_b32 s0, exec_lo, s22
; %bb.14:                               ;   in Loop: Header=BB21_13 Depth=2
	v_min_i32_e32 v25, v30, v25
                                        ; implicit-def: $vgpr29
                                        ; implicit-def: $vgpr4
; %bb.15:                               ;   in Loop: Header=BB21_13 Depth=2
	s_or_saveexec_b32 s0, s0
	v_mov_b32_e32 v28, v26
	s_xor_b32 exec_lo, exec_lo, s0
	s_cbranch_execz .LBB21_12
; %bb.16:                               ;   in Loop: Header=BB21_13 Depth=2
	global_load_b32 v30, v[12:13], off
	v_sub_nc_u32_e32 v28, v29, v27
	s_delay_alu instid0(VALU_DEP_1)
	v_lshl_add_u32 v29, v28, 2, v16
	v_mov_b32_e32 v28, v4
	ds_store_b8 v14, v24 offset:1024
	s_wait_loadcnt 0x0
	ds_store_b32 v29, v30
	s_branch .LBB21_12
.LBB21_17:                              ;   in Loop: Header=BB21_10 Depth=1
	s_or_b32 exec_lo, exec_lo, s21
.LBB21_18:                              ;   in Loop: Header=BB21_10 Depth=1
	s_delay_alu instid0(SALU_CYCLE_1)
	s_or_b32 exec_lo, exec_lo, s20
	ds_bpermute_b32 v4, v17, v28
	s_wait_dscnt 0x0
	ds_load_u8 v7, v14 offset:1024
	v_min_i32_e32 v4, v4, v28
	ds_bpermute_b32 v6, v18, v4
	s_wait_dscnt 0x0
	v_min_i32_e32 v4, v6, v4
	ds_bpermute_b32 v6, v19, v4
	s_wait_dscnt 0x0
	v_min_i32_e32 v4, v6, v4
	ds_bpermute_b32 v6, v20, v4
	v_and_b32_e32 v4, 1, v7
	s_delay_alu instid0(VALU_DEP_1)
	v_cmp_eq_u32_e32 vcc_lo, 1, v4
	v_mov_b32_e32 v4, 0
	s_and_saveexec_b32 s0, vcc_lo
	s_cbranch_execz .LBB21_9
; %bb.19:                               ;   in Loop: Header=BB21_10 Depth=1
	v_add_nc_u32_e32 v3, s17, v3
	global_store_b32 v2, v3, s[2:3] scale_offset
	s_wait_xcnt 0x0
	s_and_saveexec_b32 s20, s4
	s_cbranch_execz .LBB21_8
; %bb.20:                               ;   in Loop: Header=BB21_10 Depth=1
	v_ashrrev_i32_e32 v3, 31, v2
	s_and_b32 vcc_lo, exec_lo, s18
	s_delay_alu instid0(VALU_DEP_1)
	v_mul_u64_e32 v[12:13], s[14:15], v[2:3]
	ds_load_b32 v3, v21
	s_cbranch_vccz .LBB21_22
; %bb.21:                               ;   in Loop: Header=BB21_10 Depth=1
	v_lshl_add_u64 v[26:27], v[12:13], 2, v[8:9]
	s_wait_dscnt 0x0
	global_store_b32 v[26:27], v3, off
	s_cbranch_execnz .LBB21_8
	s_branch .LBB21_23
.LBB21_22:                              ;   in Loop: Header=BB21_10 Depth=1
.LBB21_23:                              ;   in Loop: Header=BB21_10 Depth=1
	v_lshl_add_u64 v[12:13], v[12:13], 2, v[10:11]
	s_wait_dscnt 0x0
	global_store_b32 v[12:13], v3, off
	s_branch .LBB21_8
.LBB21_24:
	s_endpgm
	.section	.rodata,"a",@progbits
	.p2align	6, 0x0
	.amdhsa_kernel _ZN9rocsparseL44csr2gebsr_wavefront_per_row_multipass_kernelILi256ELi2ELi8ELi16EfEEv20rocsparse_direction_iiiiii21rocsparse_index_base_PKT3_PKiS7_S2_PS3_PiS9_
		.amdhsa_group_segment_fixed_size 1040
		.amdhsa_private_segment_fixed_size 0
		.amdhsa_kernarg_size 88
		.amdhsa_user_sgpr_count 2
		.amdhsa_user_sgpr_dispatch_ptr 0
		.amdhsa_user_sgpr_queue_ptr 0
		.amdhsa_user_sgpr_kernarg_segment_ptr 1
		.amdhsa_user_sgpr_dispatch_id 0
		.amdhsa_user_sgpr_kernarg_preload_length 0
		.amdhsa_user_sgpr_kernarg_preload_offset 0
		.amdhsa_user_sgpr_private_segment_size 0
		.amdhsa_wavefront_size32 1
		.amdhsa_uses_dynamic_stack 0
		.amdhsa_enable_private_segment 0
		.amdhsa_system_sgpr_workgroup_id_x 1
		.amdhsa_system_sgpr_workgroup_id_y 0
		.amdhsa_system_sgpr_workgroup_id_z 0
		.amdhsa_system_sgpr_workgroup_info 0
		.amdhsa_system_vgpr_workitem_id 0
		.amdhsa_next_free_vgpr 33
		.amdhsa_next_free_sgpr 23
		.amdhsa_named_barrier_count 0
		.amdhsa_reserve_vcc 1
		.amdhsa_float_round_mode_32 0
		.amdhsa_float_round_mode_16_64 0
		.amdhsa_float_denorm_mode_32 3
		.amdhsa_float_denorm_mode_16_64 3
		.amdhsa_fp16_overflow 0
		.amdhsa_memory_ordered 1
		.amdhsa_forward_progress 1
		.amdhsa_inst_pref_size 11
		.amdhsa_round_robin_scheduling 0
		.amdhsa_exception_fp_ieee_invalid_op 0
		.amdhsa_exception_fp_denorm_src 0
		.amdhsa_exception_fp_ieee_div_zero 0
		.amdhsa_exception_fp_ieee_overflow 0
		.amdhsa_exception_fp_ieee_underflow 0
		.amdhsa_exception_fp_ieee_inexact 0
		.amdhsa_exception_int_div_zero 0
	.end_amdhsa_kernel
	.section	.text._ZN9rocsparseL44csr2gebsr_wavefront_per_row_multipass_kernelILi256ELi2ELi8ELi16EfEEv20rocsparse_direction_iiiiii21rocsparse_index_base_PKT3_PKiS7_S2_PS3_PiS9_,"axG",@progbits,_ZN9rocsparseL44csr2gebsr_wavefront_per_row_multipass_kernelILi256ELi2ELi8ELi16EfEEv20rocsparse_direction_iiiiii21rocsparse_index_base_PKT3_PKiS7_S2_PS3_PiS9_,comdat
.Lfunc_end21:
	.size	_ZN9rocsparseL44csr2gebsr_wavefront_per_row_multipass_kernelILi256ELi2ELi8ELi16EfEEv20rocsparse_direction_iiiiii21rocsparse_index_base_PKT3_PKiS7_S2_PS3_PiS9_, .Lfunc_end21-_ZN9rocsparseL44csr2gebsr_wavefront_per_row_multipass_kernelILi256ELi2ELi8ELi16EfEEv20rocsparse_direction_iiiiii21rocsparse_index_base_PKT3_PKiS7_S2_PS3_PiS9_
                                        ; -- End function
	.set _ZN9rocsparseL44csr2gebsr_wavefront_per_row_multipass_kernelILi256ELi2ELi8ELi16EfEEv20rocsparse_direction_iiiiii21rocsparse_index_base_PKT3_PKiS7_S2_PS3_PiS9_.num_vgpr, 33
	.set _ZN9rocsparseL44csr2gebsr_wavefront_per_row_multipass_kernelILi256ELi2ELi8ELi16EfEEv20rocsparse_direction_iiiiii21rocsparse_index_base_PKT3_PKiS7_S2_PS3_PiS9_.num_agpr, 0
	.set _ZN9rocsparseL44csr2gebsr_wavefront_per_row_multipass_kernelILi256ELi2ELi8ELi16EfEEv20rocsparse_direction_iiiiii21rocsparse_index_base_PKT3_PKiS7_S2_PS3_PiS9_.numbered_sgpr, 23
	.set _ZN9rocsparseL44csr2gebsr_wavefront_per_row_multipass_kernelILi256ELi2ELi8ELi16EfEEv20rocsparse_direction_iiiiii21rocsparse_index_base_PKT3_PKiS7_S2_PS3_PiS9_.num_named_barrier, 0
	.set _ZN9rocsparseL44csr2gebsr_wavefront_per_row_multipass_kernelILi256ELi2ELi8ELi16EfEEv20rocsparse_direction_iiiiii21rocsparse_index_base_PKT3_PKiS7_S2_PS3_PiS9_.private_seg_size, 0
	.set _ZN9rocsparseL44csr2gebsr_wavefront_per_row_multipass_kernelILi256ELi2ELi8ELi16EfEEv20rocsparse_direction_iiiiii21rocsparse_index_base_PKT3_PKiS7_S2_PS3_PiS9_.uses_vcc, 1
	.set _ZN9rocsparseL44csr2gebsr_wavefront_per_row_multipass_kernelILi256ELi2ELi8ELi16EfEEv20rocsparse_direction_iiiiii21rocsparse_index_base_PKT3_PKiS7_S2_PS3_PiS9_.uses_flat_scratch, 0
	.set _ZN9rocsparseL44csr2gebsr_wavefront_per_row_multipass_kernelILi256ELi2ELi8ELi16EfEEv20rocsparse_direction_iiiiii21rocsparse_index_base_PKT3_PKiS7_S2_PS3_PiS9_.has_dyn_sized_stack, 0
	.set _ZN9rocsparseL44csr2gebsr_wavefront_per_row_multipass_kernelILi256ELi2ELi8ELi16EfEEv20rocsparse_direction_iiiiii21rocsparse_index_base_PKT3_PKiS7_S2_PS3_PiS9_.has_recursion, 0
	.set _ZN9rocsparseL44csr2gebsr_wavefront_per_row_multipass_kernelILi256ELi2ELi8ELi16EfEEv20rocsparse_direction_iiiiii21rocsparse_index_base_PKT3_PKiS7_S2_PS3_PiS9_.has_indirect_call, 0
	.section	.AMDGPU.csdata,"",@progbits
; Kernel info:
; codeLenInByte = 1408
; TotalNumSgprs: 25
; NumVgprs: 33
; ScratchSize: 0
; MemoryBound: 0
; FloatMode: 240
; IeeeMode: 1
; LDSByteSize: 1040 bytes/workgroup (compile time only)
; SGPRBlocks: 0
; VGPRBlocks: 2
; NumSGPRsForWavesPerEU: 25
; NumVGPRsForWavesPerEU: 33
; NamedBarCnt: 0
; Occupancy: 16
; WaveLimiterHint : 0
; COMPUTE_PGM_RSRC2:SCRATCH_EN: 0
; COMPUTE_PGM_RSRC2:USER_SGPR: 2
; COMPUTE_PGM_RSRC2:TRAP_HANDLER: 0
; COMPUTE_PGM_RSRC2:TGID_X_EN: 1
; COMPUTE_PGM_RSRC2:TGID_Y_EN: 0
; COMPUTE_PGM_RSRC2:TGID_Z_EN: 0
; COMPUTE_PGM_RSRC2:TIDIG_COMP_CNT: 0
	.section	.text._ZN9rocsparseL44csr2gebsr_wavefront_per_row_multipass_kernelILi256ELi2ELi16ELi32EfEEv20rocsparse_direction_iiiiii21rocsparse_index_base_PKT3_PKiS7_S2_PS3_PiS9_,"axG",@progbits,_ZN9rocsparseL44csr2gebsr_wavefront_per_row_multipass_kernelILi256ELi2ELi16ELi32EfEEv20rocsparse_direction_iiiiii21rocsparse_index_base_PKT3_PKiS7_S2_PS3_PiS9_,comdat
	.globl	_ZN9rocsparseL44csr2gebsr_wavefront_per_row_multipass_kernelILi256ELi2ELi16ELi32EfEEv20rocsparse_direction_iiiiii21rocsparse_index_base_PKT3_PKiS7_S2_PS3_PiS9_ ; -- Begin function _ZN9rocsparseL44csr2gebsr_wavefront_per_row_multipass_kernelILi256ELi2ELi16ELi32EfEEv20rocsparse_direction_iiiiii21rocsparse_index_base_PKT3_PKiS7_S2_PS3_PiS9_
	.p2align	8
	.type	_ZN9rocsparseL44csr2gebsr_wavefront_per_row_multipass_kernelILi256ELi2ELi16ELi32EfEEv20rocsparse_direction_iiiiii21rocsparse_index_base_PKT3_PKiS7_S2_PS3_PiS9_,@function
_ZN9rocsparseL44csr2gebsr_wavefront_per_row_multipass_kernelILi256ELi2ELi16ELi32EfEEv20rocsparse_direction_iiiiii21rocsparse_index_base_PKT3_PKiS7_S2_PS3_PiS9_: ; @_ZN9rocsparseL44csr2gebsr_wavefront_per_row_multipass_kernelILi256ELi2ELi16ELi32EfEEv20rocsparse_direction_iiiiii21rocsparse_index_base_PKT3_PKiS7_S2_PS3_PiS9_
; %bb.0:
	s_clause 0x1
	s_load_b128 s[4:7], s[0:1], 0xc
	s_load_b64 s[12:13], s[0:1], 0x0
	s_bfe_u32 s2, ttmp6, 0x4000c
	s_and_b32 s3, ttmp6, 15
	s_add_co_i32 s2, s2, 1
	s_getreg_b32 s8, hwreg(HW_REG_IB_STS2, 6, 4)
	s_mul_i32 s2, ttmp9, s2
	v_dual_lshrrev_b32 v14, 5, v0 :: v_dual_mov_b32 v2, 0
	s_add_co_i32 s3, s3, s2
	s_cmp_eq_u32 s8, 0
	v_bfe_u32 v1, v0, 4, 1
	s_cselect_b32 s2, ttmp9, s3
	s_clause 0x1
	s_load_b32 s16, s[0:1], 0x1c
	s_load_b64 s[8:9], s[0:1], 0x28
	v_lshl_or_b32 v3, s2, 3, v14
	v_mov_b32_e32 v6, 0
	s_wait_kmcnt 0x0
	s_delay_alu instid0(VALU_DEP_2) | instskip(SKIP_1) | instid1(VALU_DEP_2)
	v_mad_u32 v4, v3, s6, v1
	v_cmp_gt_i32_e32 vcc_lo, s6, v1
	v_cmp_gt_i32_e64 s2, s13, v4
	s_and_b32 s2, vcc_lo, s2
	s_delay_alu instid0(SALU_CYCLE_1)
	s_and_saveexec_b32 s3, s2
	s_cbranch_execz .LBB22_2
; %bb.1:
	global_load_b32 v5, v4, s[8:9] scale_offset
	s_wait_loadcnt 0x0
	v_subrev_nc_u32_e32 v6, s16, v5
.LBB22_2:
	s_or_b32 exec_lo, exec_lo, s3
	v_mov_b32_e32 v15, 0
	s_and_saveexec_b32 s3, s2
	s_cbranch_execz .LBB22_4
; %bb.3:
	global_load_b32 v4, v4, s[8:9] offset:4 scale_offset
	s_wait_loadcnt 0x0
	v_subrev_nc_u32_e32 v15, s16, v4
.LBB22_4:
	s_or_b32 exec_lo, exec_lo, s3
	s_load_b32 s17, s[0:1], 0x38
	s_mov_b32 s3, exec_lo
	v_cmpx_gt_i32_e64 s4, v3
	s_cbranch_execz .LBB22_6
; %bb.5:
	s_load_b64 s[8:9], s[0:1], 0x48
	s_wait_kmcnt 0x0
	global_load_b32 v2, v3, s[8:9] scale_offset
	s_wait_loadcnt 0x0
	v_subrev_nc_u32_e32 v2, s17, v2
.LBB22_6:
	s_or_b32 exec_lo, exec_lo, s3
	s_cmp_lt_i32 s5, 1
	s_cbranch_scc1 .LBB22_24
; %bb.7:
	v_and_b32_e32 v3, 0xe0, v0
	v_dual_lshlrev_b32 v4, 6, v1 :: v_dual_bitop2_b32 v0, 15, v0 bitop3:0x40
	v_mbcnt_lo_u32_b32 v7, -1, 0
	s_clause 0x3
	s_load_b64 s[2:3], s[0:1], 0x50
	s_load_b64 s[14:15], s[0:1], 0x40
	;; [unrolled: 1-line block ×4, first 2 shown]
	v_mul_lo_u32 v12, s7, v1
	v_lshl_or_b32 v16, v3, 2, v4
	v_dual_mov_b32 v24, 0x7c :: v_dual_mov_b32 v25, 1
	v_xor_b32_e32 v4, 2, v7
	v_xor_b32_e32 v5, 8, v7
	v_lshl_or_b32 v21, v7, 2, 60
	s_mov_b32 s13, 0
	v_lshlrev_b32_e32 v10, 2, v0
	s_wait_xcnt 0x0
	v_cmp_gt_i32_e64 s0, 32, v5
	v_dual_ashrrev_i32 v13, 31, v12 :: v_dual_bitop2_b32 v3, 4, v7 bitop3:0x14
	s_delay_alu instid0(VALU_DEP_2) | instskip(NEXT) | instid1(VALU_DEP_2)
	v_dual_cndmask_b32 v5, v7, v5, s0 :: v_dual_bitop2_b32 v22, v16, v10 bitop3:0x54
	v_cmp_gt_i32_e64 s0, 32, v3
	s_delay_alu instid0(VALU_DEP_1) | instskip(SKIP_1) | instid1(VALU_DEP_1)
	v_dual_lshlrev_b32 v17, 2, v5 :: v_dual_cndmask_b32 v3, v7, v3, s0
	v_cmp_gt_i32_e64 s0, 32, v4
	v_dual_cndmask_b32 v4, v7, v4, s0 :: v_dual_bitop2_b32 v5, 1, v7 bitop3:0x14
	v_cmp_gt_u32_e64 s0, s7, v0
	s_delay_alu instid0(VALU_DEP_2)
	v_lshlrev_b32_e32 v19, 2, v4
	s_and_b32 s4, vcc_lo, s0
	v_cmp_gt_i32_e32 vcc_lo, 32, v5
	s_cmp_lg_u32 s12, 0
	v_lshlrev_b32_e32 v18, 2, v3
	s_cselect_b32 s18, -1, 0
	s_abs_i32 s19, s7
	v_cndmask_b32_e32 v3, v7, v5, vcc_lo
	v_mul_lo_u32 v4, s6, v0
	s_cvt_f32_u32 s0, s19
	v_mov_b32_e32 v5, 0
	s_mov_b32 s12, s6
	v_lshlrev_b32_e32 v20, 2, v3
	v_rcp_iflag_f32_e32 v3, s0
	s_ashr_i32 s1, s7, 31
	s_mov_b32 s0, s7
	s_wait_kmcnt 0x0
	s_delay_alu instid0(VALU_DEP_3) | instskip(SKIP_1) | instid1(TRANS32_DEP_1)
	v_lshl_add_u64 v[8:9], v[4:5], 2, s[14:15]
	v_dual_lshlrev_b32 v4, 2, v1 :: v_dual_bitop2_b32 v1, 16, v7 bitop3:0x14
	v_readfirstlane_b32 s6, v3
	v_lshl_add_u64 v[12:13], v[12:13], 2, s[14:15]
	s_sub_co_i32 s14, 0, s19
	v_add_nc_u64_e32 v[8:9], v[8:9], v[4:5]
	v_cmp_gt_i32_e32 vcc_lo, 32, v1
	s_mul_f32 s6, s6, 0x4f7ffffe
	v_dual_mov_b32 v11, v5 :: v_dual_cndmask_b32 v3, v7, v1, vcc_lo
	s_delay_alu instid0(SALU_CYCLE_2) | instskip(NEXT) | instid1(VALU_DEP_1)
	s_cvt_u32_f32 s6, s6
	v_add_nc_u64_e32 v[10:11], v[12:13], v[10:11]
	s_delay_alu instid0(VALU_DEP_2) | instskip(NEXT) | instid1(SALU_CYCLE_1)
	v_dual_mov_b32 v1, v5 :: v_dual_lshlrev_b32 v23, 2, v3
	s_mul_i32 s14, s14, s6
	v_mov_b32_e32 v3, 0
	s_mul_hi_u32 s20, s6, s14
	s_mul_u64 s[14:15], s[0:1], s[12:13]
	s_add_co_i32 s12, s6, s20
	s_mov_b32 s6, s13
	s_branch .LBB22_10
.LBB22_8:                               ;   in Loop: Header=BB22_10 Depth=1
	s_wait_xcnt 0x0
	s_or_b32 exec_lo, exec_lo, s20
	v_mov_b32_e32 v4, 1
.LBB22_9:                               ;   in Loop: Header=BB22_10 Depth=1
	s_or_b32 exec_lo, exec_lo, s0
	s_wait_dscnt 0x0
	ds_bpermute_b32 v3, v23, v26
	s_wait_storecnt_dscnt 0x0
	v_add_nc_u32_e32 v2, v4, v2
	v_min_i32_e32 v3, v3, v26
	ds_bpermute_b32 v7, v17, v3
	s_wait_dscnt 0x0
	v_min_i32_e32 v3, v7, v3
	ds_bpermute_b32 v7, v18, v3
	s_wait_dscnt 0x0
	;; [unrolled: 3-line block ×5, first 2 shown]
	v_cmp_le_i32_e32 vcc_lo, s5, v3
	s_or_b32 s6, vcc_lo, s6
	s_delay_alu instid0(SALU_CYCLE_1)
	s_and_not1_b32 exec_lo, exec_lo, s6
	s_cbranch_execz .LBB22_24
.LBB22_10:                              ; =>This Loop Header: Depth=1
                                        ;     Child Loop BB22_13 Depth 2
	v_dual_mov_b32 v26, s5 :: v_dual_add_nc_u32 v27, v6, v0
	v_mov_b32_e32 v29, v15
	s_mov_b32 s20, exec_lo
	ds_store_b8 v14, v5 offset:1024
	ds_store_b32 v22, v5
	s_wait_dscnt 0x0
	v_cmpx_lt_i32_e64 v27, v15
	s_cbranch_execz .LBB22_18
; %bb.11:                               ;   in Loop: Header=BB22_10 Depth=1
	v_dual_mov_b32 v26, s5 :: v_dual_ashrrev_i32 v7, 31, v6
	v_mul_lo_u32 v28, v3, s7
	v_mov_b32_e32 v29, v15
	s_mov_b32 s21, 0
	s_delay_alu instid0(VALU_DEP_3) | instskip(NEXT) | instid1(VALU_DEP_1)
	v_add_nc_u64_e32 v[6:7], v[0:1], v[6:7]
	v_lshlrev_b64_e32 v[12:13], 2, v[6:7]
	s_delay_alu instid0(VALU_DEP_1)
	v_add_nc_u64_e32 v[6:7], s[10:11], v[12:13]
	v_add_nc_u64_e32 v[12:13], s[8:9], v[12:13]
	s_branch .LBB22_13
.LBB22_12:                              ;   in Loop: Header=BB22_13 Depth=2
	s_wait_xcnt 0x0
	s_or_b32 exec_lo, exec_lo, s0
	v_add_nc_u32_e32 v27, 16, v27
	s_xor_b32 s22, vcc_lo, -1
	v_add_nc_u64_e32 v[6:7], 64, v[6:7]
	v_add_nc_u64_e32 v[12:13], 64, v[12:13]
	s_delay_alu instid0(VALU_DEP_3) | instskip(SKIP_1) | instid1(SALU_CYCLE_1)
	v_cmp_ge_i32_e64 s0, v27, v15
	s_or_b32 s0, s22, s0
	s_and_b32 s0, exec_lo, s0
	s_delay_alu instid0(SALU_CYCLE_1) | instskip(NEXT) | instid1(SALU_CYCLE_1)
	s_or_b32 s21, s0, s21
	s_and_not1_b32 exec_lo, exec_lo, s21
	s_cbranch_execz .LBB22_17
.LBB22_13:                              ;   Parent Loop BB22_10 Depth=1
                                        ; =>  This Inner Loop Header: Depth=2
	global_load_b32 v4, v[6:7], off
	s_wait_loadcnt 0x0
	v_subrev_nc_u32_e32 v30, s16, v4
	s_delay_alu instid0(VALU_DEP_1) | instskip(NEXT) | instid1(VALU_DEP_1)
	v_sub_nc_u32_e32 v4, 0, v30
	v_max_i32_e32 v4, v30, v4
	s_delay_alu instid0(VALU_DEP_1) | instskip(NEXT) | instid1(VALU_DEP_1)
	v_mul_u64_e32 v[32:33], s[12:13], v[4:5]
	v_mul_lo_u32 v31, v33, s19
	s_delay_alu instid0(VALU_DEP_1) | instskip(NEXT) | instid1(VALU_DEP_1)
	v_dual_sub_nc_u32 v4, v4, v31 :: v_dual_add_nc_u32 v31, 1, v33
	v_cmp_le_u32_e32 vcc_lo, s19, v4
	s_delay_alu instid0(VALU_DEP_2) | instskip(SKIP_1) | instid1(VALU_DEP_1)
	v_dual_cndmask_b32 v31, v33, v31, vcc_lo :: v_dual_ashrrev_i32 v33, 31, v30
	v_subrev_nc_u32_e32 v32, s19, v4
	v_dual_cndmask_b32 v4, v4, v32, vcc_lo :: v_dual_add_nc_u32 v32, 1, v31
	s_delay_alu instid0(VALU_DEP_1) | instskip(NEXT) | instid1(VALU_DEP_2)
	v_cmp_le_u32_e32 vcc_lo, s19, v4
	v_dual_cndmask_b32 v4, v31, v32, vcc_lo :: v_dual_bitop2_b32 v33, s1, v33 bitop3:0x14
	s_delay_alu instid0(VALU_DEP_1) | instskip(NEXT) | instid1(VALU_DEP_1)
	v_xor_b32_e32 v4, v4, v33
	v_dual_mov_b32 v4, v29 :: v_dual_sub_nc_u32 v31, v4, v33
	s_delay_alu instid0(VALU_DEP_1) | instskip(SKIP_3) | instid1(SALU_CYCLE_1)
	v_cmp_ne_u32_e64 s0, v31, v3
	v_cmp_eq_u32_e32 vcc_lo, v31, v3
	s_wait_xcnt 0x0
	s_and_saveexec_b32 s22, s0
	s_xor_b32 s0, exec_lo, s22
; %bb.14:                               ;   in Loop: Header=BB22_13 Depth=2
	v_min_i32_e32 v26, v31, v26
                                        ; implicit-def: $vgpr30
                                        ; implicit-def: $vgpr4
; %bb.15:                               ;   in Loop: Header=BB22_13 Depth=2
	s_or_saveexec_b32 s0, s0
	v_mov_b32_e32 v29, v27
	s_xor_b32 exec_lo, exec_lo, s0
	s_cbranch_execz .LBB22_12
; %bb.16:                               ;   in Loop: Header=BB22_13 Depth=2
	global_load_b32 v31, v[12:13], off
	v_sub_nc_u32_e32 v29, v30, v28
	s_delay_alu instid0(VALU_DEP_1)
	v_lshl_add_u32 v30, v29, 2, v16
	v_mov_b32_e32 v29, v4
	ds_store_b8 v14, v25 offset:1024
	s_wait_loadcnt 0x0
	ds_store_b32 v30, v31
	s_branch .LBB22_12
.LBB22_17:                              ;   in Loop: Header=BB22_10 Depth=1
	s_or_b32 exec_lo, exec_lo, s21
.LBB22_18:                              ;   in Loop: Header=BB22_10 Depth=1
	s_delay_alu instid0(SALU_CYCLE_1)
	s_or_b32 exec_lo, exec_lo, s20
	ds_bpermute_b32 v4, v17, v29
	s_wait_dscnt 0x0
	ds_load_u8 v7, v14 offset:1024
	v_min_i32_e32 v4, v4, v29
	ds_bpermute_b32 v6, v18, v4
	s_wait_dscnt 0x0
	v_min_i32_e32 v4, v6, v4
	ds_bpermute_b32 v6, v19, v4
	s_wait_dscnt 0x0
	;; [unrolled: 3-line block ×3, first 2 shown]
	v_min_i32_e32 v4, v6, v4
	ds_bpermute_b32 v6, v21, v4
	v_and_b32_e32 v4, 1, v7
	s_delay_alu instid0(VALU_DEP_1)
	v_cmp_eq_u32_e32 vcc_lo, 1, v4
	v_mov_b32_e32 v4, 0
	s_and_saveexec_b32 s0, vcc_lo
	s_cbranch_execz .LBB22_9
; %bb.19:                               ;   in Loop: Header=BB22_10 Depth=1
	v_add_nc_u32_e32 v3, s17, v3
	global_store_b32 v2, v3, s[2:3] scale_offset
	s_wait_xcnt 0x0
	s_and_saveexec_b32 s20, s4
	s_cbranch_execz .LBB22_8
; %bb.20:                               ;   in Loop: Header=BB22_10 Depth=1
	v_ashrrev_i32_e32 v3, 31, v2
	s_and_b32 vcc_lo, exec_lo, s18
	s_delay_alu instid0(VALU_DEP_1)
	v_mul_u64_e32 v[12:13], s[14:15], v[2:3]
	ds_load_b32 v3, v22
	s_cbranch_vccz .LBB22_22
; %bb.21:                               ;   in Loop: Header=BB22_10 Depth=1
	v_lshl_add_u64 v[28:29], v[12:13], 2, v[8:9]
	s_wait_dscnt 0x0
	global_store_b32 v[28:29], v3, off
	s_cbranch_execnz .LBB22_8
	s_branch .LBB22_23
.LBB22_22:                              ;   in Loop: Header=BB22_10 Depth=1
.LBB22_23:                              ;   in Loop: Header=BB22_10 Depth=1
	v_lshl_add_u64 v[12:13], v[12:13], 2, v[10:11]
	s_wait_dscnt 0x0
	global_store_b32 v[12:13], v3, off
	s_branch .LBB22_8
.LBB22_24:
	s_endpgm
	.section	.rodata,"a",@progbits
	.p2align	6, 0x0
	.amdhsa_kernel _ZN9rocsparseL44csr2gebsr_wavefront_per_row_multipass_kernelILi256ELi2ELi16ELi32EfEEv20rocsparse_direction_iiiiii21rocsparse_index_base_PKT3_PKiS7_S2_PS3_PiS9_
		.amdhsa_group_segment_fixed_size 1032
		.amdhsa_private_segment_fixed_size 0
		.amdhsa_kernarg_size 88
		.amdhsa_user_sgpr_count 2
		.amdhsa_user_sgpr_dispatch_ptr 0
		.amdhsa_user_sgpr_queue_ptr 0
		.amdhsa_user_sgpr_kernarg_segment_ptr 1
		.amdhsa_user_sgpr_dispatch_id 0
		.amdhsa_user_sgpr_kernarg_preload_length 0
		.amdhsa_user_sgpr_kernarg_preload_offset 0
		.amdhsa_user_sgpr_private_segment_size 0
		.amdhsa_wavefront_size32 1
		.amdhsa_uses_dynamic_stack 0
		.amdhsa_enable_private_segment 0
		.amdhsa_system_sgpr_workgroup_id_x 1
		.amdhsa_system_sgpr_workgroup_id_y 0
		.amdhsa_system_sgpr_workgroup_id_z 0
		.amdhsa_system_sgpr_workgroup_info 0
		.amdhsa_system_vgpr_workitem_id 0
		.amdhsa_next_free_vgpr 34
		.amdhsa_next_free_sgpr 23
		.amdhsa_named_barrier_count 0
		.amdhsa_reserve_vcc 1
		.amdhsa_float_round_mode_32 0
		.amdhsa_float_round_mode_16_64 0
		.amdhsa_float_denorm_mode_32 3
		.amdhsa_float_denorm_mode_16_64 3
		.amdhsa_fp16_overflow 0
		.amdhsa_memory_ordered 1
		.amdhsa_forward_progress 1
		.amdhsa_inst_pref_size 12
		.amdhsa_round_robin_scheduling 0
		.amdhsa_exception_fp_ieee_invalid_op 0
		.amdhsa_exception_fp_denorm_src 0
		.amdhsa_exception_fp_ieee_div_zero 0
		.amdhsa_exception_fp_ieee_overflow 0
		.amdhsa_exception_fp_ieee_underflow 0
		.amdhsa_exception_fp_ieee_inexact 0
		.amdhsa_exception_int_div_zero 0
	.end_amdhsa_kernel
	.section	.text._ZN9rocsparseL44csr2gebsr_wavefront_per_row_multipass_kernelILi256ELi2ELi16ELi32EfEEv20rocsparse_direction_iiiiii21rocsparse_index_base_PKT3_PKiS7_S2_PS3_PiS9_,"axG",@progbits,_ZN9rocsparseL44csr2gebsr_wavefront_per_row_multipass_kernelILi256ELi2ELi16ELi32EfEEv20rocsparse_direction_iiiiii21rocsparse_index_base_PKT3_PKiS7_S2_PS3_PiS9_,comdat
.Lfunc_end22:
	.size	_ZN9rocsparseL44csr2gebsr_wavefront_per_row_multipass_kernelILi256ELi2ELi16ELi32EfEEv20rocsparse_direction_iiiiii21rocsparse_index_base_PKT3_PKiS7_S2_PS3_PiS9_, .Lfunc_end22-_ZN9rocsparseL44csr2gebsr_wavefront_per_row_multipass_kernelILi256ELi2ELi16ELi32EfEEv20rocsparse_direction_iiiiii21rocsparse_index_base_PKT3_PKiS7_S2_PS3_PiS9_
                                        ; -- End function
	.set _ZN9rocsparseL44csr2gebsr_wavefront_per_row_multipass_kernelILi256ELi2ELi16ELi32EfEEv20rocsparse_direction_iiiiii21rocsparse_index_base_PKT3_PKiS7_S2_PS3_PiS9_.num_vgpr, 34
	.set _ZN9rocsparseL44csr2gebsr_wavefront_per_row_multipass_kernelILi256ELi2ELi16ELi32EfEEv20rocsparse_direction_iiiiii21rocsparse_index_base_PKT3_PKiS7_S2_PS3_PiS9_.num_agpr, 0
	.set _ZN9rocsparseL44csr2gebsr_wavefront_per_row_multipass_kernelILi256ELi2ELi16ELi32EfEEv20rocsparse_direction_iiiiii21rocsparse_index_base_PKT3_PKiS7_S2_PS3_PiS9_.numbered_sgpr, 23
	.set _ZN9rocsparseL44csr2gebsr_wavefront_per_row_multipass_kernelILi256ELi2ELi16ELi32EfEEv20rocsparse_direction_iiiiii21rocsparse_index_base_PKT3_PKiS7_S2_PS3_PiS9_.num_named_barrier, 0
	.set _ZN9rocsparseL44csr2gebsr_wavefront_per_row_multipass_kernelILi256ELi2ELi16ELi32EfEEv20rocsparse_direction_iiiiii21rocsparse_index_base_PKT3_PKiS7_S2_PS3_PiS9_.private_seg_size, 0
	.set _ZN9rocsparseL44csr2gebsr_wavefront_per_row_multipass_kernelILi256ELi2ELi16ELi32EfEEv20rocsparse_direction_iiiiii21rocsparse_index_base_PKT3_PKiS7_S2_PS3_PiS9_.uses_vcc, 1
	.set _ZN9rocsparseL44csr2gebsr_wavefront_per_row_multipass_kernelILi256ELi2ELi16ELi32EfEEv20rocsparse_direction_iiiiii21rocsparse_index_base_PKT3_PKiS7_S2_PS3_PiS9_.uses_flat_scratch, 0
	.set _ZN9rocsparseL44csr2gebsr_wavefront_per_row_multipass_kernelILi256ELi2ELi16ELi32EfEEv20rocsparse_direction_iiiiii21rocsparse_index_base_PKT3_PKiS7_S2_PS3_PiS9_.has_dyn_sized_stack, 0
	.set _ZN9rocsparseL44csr2gebsr_wavefront_per_row_multipass_kernelILi256ELi2ELi16ELi32EfEEv20rocsparse_direction_iiiiii21rocsparse_index_base_PKT3_PKiS7_S2_PS3_PiS9_.has_recursion, 0
	.set _ZN9rocsparseL44csr2gebsr_wavefront_per_row_multipass_kernelILi256ELi2ELi16ELi32EfEEv20rocsparse_direction_iiiiii21rocsparse_index_base_PKT3_PKiS7_S2_PS3_PiS9_.has_indirect_call, 0
	.section	.AMDGPU.csdata,"",@progbits
; Kernel info:
; codeLenInByte = 1460
; TotalNumSgprs: 25
; NumVgprs: 34
; ScratchSize: 0
; MemoryBound: 0
; FloatMode: 240
; IeeeMode: 1
; LDSByteSize: 1032 bytes/workgroup (compile time only)
; SGPRBlocks: 0
; VGPRBlocks: 2
; NumSGPRsForWavesPerEU: 25
; NumVGPRsForWavesPerEU: 34
; NamedBarCnt: 0
; Occupancy: 16
; WaveLimiterHint : 0
; COMPUTE_PGM_RSRC2:SCRATCH_EN: 0
; COMPUTE_PGM_RSRC2:USER_SGPR: 2
; COMPUTE_PGM_RSRC2:TRAP_HANDLER: 0
; COMPUTE_PGM_RSRC2:TGID_X_EN: 1
; COMPUTE_PGM_RSRC2:TGID_Y_EN: 0
; COMPUTE_PGM_RSRC2:TGID_Z_EN: 0
; COMPUTE_PGM_RSRC2:TIDIG_COMP_CNT: 0
	.section	.text._ZN9rocsparseL44csr2gebsr_wavefront_per_row_multipass_kernelILi256ELi2ELi32ELi64EfEEv20rocsparse_direction_iiiiii21rocsparse_index_base_PKT3_PKiS7_S2_PS3_PiS9_,"axG",@progbits,_ZN9rocsparseL44csr2gebsr_wavefront_per_row_multipass_kernelILi256ELi2ELi32ELi64EfEEv20rocsparse_direction_iiiiii21rocsparse_index_base_PKT3_PKiS7_S2_PS3_PiS9_,comdat
	.globl	_ZN9rocsparseL44csr2gebsr_wavefront_per_row_multipass_kernelILi256ELi2ELi32ELi64EfEEv20rocsparse_direction_iiiiii21rocsparse_index_base_PKT3_PKiS7_S2_PS3_PiS9_ ; -- Begin function _ZN9rocsparseL44csr2gebsr_wavefront_per_row_multipass_kernelILi256ELi2ELi32ELi64EfEEv20rocsparse_direction_iiiiii21rocsparse_index_base_PKT3_PKiS7_S2_PS3_PiS9_
	.p2align	8
	.type	_ZN9rocsparseL44csr2gebsr_wavefront_per_row_multipass_kernelILi256ELi2ELi32ELi64EfEEv20rocsparse_direction_iiiiii21rocsparse_index_base_PKT3_PKiS7_S2_PS3_PiS9_,@function
_ZN9rocsparseL44csr2gebsr_wavefront_per_row_multipass_kernelILi256ELi2ELi32ELi64EfEEv20rocsparse_direction_iiiiii21rocsparse_index_base_PKT3_PKiS7_S2_PS3_PiS9_: ; @_ZN9rocsparseL44csr2gebsr_wavefront_per_row_multipass_kernelILi256ELi2ELi32ELi64EfEEv20rocsparse_direction_iiiiii21rocsparse_index_base_PKT3_PKiS7_S2_PS3_PiS9_
; %bb.0:
	s_clause 0x1
	s_load_b128 s[4:7], s[0:1], 0xc
	s_load_b64 s[12:13], s[0:1], 0x0
	s_bfe_u32 s2, ttmp6, 0x4000c
	s_and_b32 s3, ttmp6, 15
	s_add_co_i32 s2, s2, 1
	s_getreg_b32 s8, hwreg(HW_REG_IB_STS2, 6, 4)
	s_mul_i32 s2, ttmp9, s2
	v_dual_lshrrev_b32 v14, 6, v0 :: v_dual_mov_b32 v2, 0
	s_add_co_i32 s3, s3, s2
	s_cmp_eq_u32 s8, 0
	v_bfe_u32 v3, v0, 5, 1
	s_cselect_b32 s2, ttmp9, s3
	s_clause 0x1
	s_load_b32 s16, s[0:1], 0x1c
	s_load_b64 s[8:9], s[0:1], 0x28
	v_lshl_or_b32 v1, s2, 2, v14
	v_mov_b32_e32 v6, 0
	s_wait_kmcnt 0x0
	s_delay_alu instid0(VALU_DEP_2) | instskip(SKIP_1) | instid1(VALU_DEP_2)
	v_mad_u32 v4, v1, s6, v3
	v_cmp_gt_i32_e32 vcc_lo, s6, v3
	v_cmp_gt_i32_e64 s2, s13, v4
	s_and_b32 s2, vcc_lo, s2
	s_delay_alu instid0(SALU_CYCLE_1)
	s_and_saveexec_b32 s3, s2
	s_cbranch_execz .LBB23_2
; %bb.1:
	global_load_b32 v5, v4, s[8:9] scale_offset
	s_wait_loadcnt 0x0
	v_subrev_nc_u32_e32 v6, s16, v5
.LBB23_2:
	s_or_b32 exec_lo, exec_lo, s3
	v_mov_b32_e32 v15, 0
	s_and_saveexec_b32 s3, s2
	s_cbranch_execz .LBB23_4
; %bb.3:
	global_load_b32 v4, v4, s[8:9] offset:4 scale_offset
	s_wait_loadcnt 0x0
	v_subrev_nc_u32_e32 v15, s16, v4
.LBB23_4:
	s_or_b32 exec_lo, exec_lo, s3
	s_load_b32 s17, s[0:1], 0x38
	s_mov_b32 s3, exec_lo
	v_cmpx_gt_i32_e64 s4, v1
	s_cbranch_execz .LBB23_6
; %bb.5:
	s_load_b64 s[8:9], s[0:1], 0x48
	s_wait_kmcnt 0x0
	global_load_b32 v1, v1, s[8:9] scale_offset
	s_wait_loadcnt 0x0
	v_subrev_nc_u32_e32 v2, s17, v1
.LBB23_6:
	s_or_b32 exec_lo, exec_lo, s3
	s_cmp_lt_i32 s5, 1
	s_cbranch_scc1 .LBB23_24
; %bb.7:
	v_mbcnt_lo_u32_b32 v5, -1, 0
	s_clause 0x3
	s_load_b64 s[2:3], s[0:1], 0x50
	s_load_b64 s[14:15], s[0:1], 0x40
	;; [unrolled: 1-line block ×4, first 2 shown]
	v_mul_lo_u32 v12, s7, v3
	v_mov_b32_e32 v22, 0x7c
	v_bfrev_b32_e32 v25, 0.5
	v_dual_lshlrev_b32 v7, 7, v3 :: v_dual_bitop2_b32 v1, 16, v5 bitop3:0x14
	s_mov_b32 s13, 0
	v_mov_b32_e32 v26, 1
	s_wait_xcnt 0x0
	s_delay_alu instid0(VALU_DEP_2) | instskip(SKIP_2) | instid1(VALU_DEP_3)
	v_cmp_gt_i32_e64 s0, 32, v1
	v_and_b32_e32 v4, 31, v0
	v_and_b32_e32 v0, 0xc0, v0
	v_dual_ashrrev_i32 v13, 31, v12 :: v_dual_cndmask_b32 v1, v5, v1, s0
	s_delay_alu instid0(VALU_DEP_2) | instskip(SKIP_2) | instid1(VALU_DEP_4)
	v_lshl_or_b32 v16, v0, 2, v7
	v_xor_b32_e32 v0, 4, v5
	v_xor_b32_e32 v8, 8, v5
	v_lshlrev_b32_e32 v17, 2, v1
	s_delay_alu instid0(VALU_DEP_2) | instskip(NEXT) | instid1(VALU_DEP_1)
	v_cmp_gt_i32_e64 s0, 32, v8
	v_dual_cndmask_b32 v7, v5, v8, s0 :: v_dual_bitop2_b32 v1, 2, v5 bitop3:0x14
	v_cmp_gt_i32_e64 s0, 32, v0
	s_delay_alu instid0(VALU_DEP_1) | instskip(NEXT) | instid1(VALU_DEP_3)
	v_dual_lshlrev_b32 v18, 2, v7 :: v_dual_cndmask_b32 v0, v5, v0, s0
	v_cmp_gt_i32_e64 s0, 32, v1
	s_delay_alu instid0(VALU_DEP_2) | instskip(NEXT) | instid1(VALU_DEP_2)
	v_dual_lshlrev_b32 v19, 2, v0 :: v_dual_bitop2_b32 v7, 1, v5 bitop3:0x14
	v_cndmask_b32_e64 v1, v5, v1, s0
	v_cmp_gt_u32_e64 s0, s7, v4
	v_mul_lo_u32 v0, s6, v4
	s_and_b32 s4, vcc_lo, s0
	v_cmp_gt_i32_e32 vcc_lo, 32, v7
	s_cmp_lg_u32 s12, 0
	v_lshlrev_b32_e32 v20, 2, v1
	s_cselect_b32 s18, -1, 0
	s_abs_i32 s19, s7
	v_cndmask_b32_e32 v1, v5, v7, vcc_lo
	s_cvt_f32_u32 s0, s19
	v_lshlrev_b32_e32 v10, 2, v4
	s_mov_b32 s12, s6
	s_ashr_i32 s1, s7, 31
	v_rcp_iflag_f32_e32 v7, s0
	v_dual_lshlrev_b32 v21, 2, v1 :: v_dual_mov_b32 v1, 0
	v_or_b32_e32 v23, v16, v10
	s_mov_b32 s0, s7
	s_wait_kmcnt 0x0
	s_delay_alu instid0(VALU_DEP_2) | instskip(SKIP_4) | instid1(VALU_DEP_4)
	v_lshl_add_u64 v[8:9], v[0:1], 2, s[14:15]
	v_dual_lshlrev_b32 v0, 2, v3 :: v_dual_bitop2_b32 v3, 32, v5 bitop3:0x54
	v_readfirstlane_b32 s6, v7
	v_lshl_add_u64 v[12:13], v[12:13], 2, s[14:15]
	v_mov_b32_e32 v11, v1
	v_add_nc_u64_e32 v[8:9], v[8:9], v[0:1]
	v_cmp_gt_i32_e32 vcc_lo, 32, v3
	s_mul_f32 s6, s6, 0x4f7ffffe
	s_sub_co_i32 s14, 0, s19
	v_cndmask_b32_e32 v0, v5, v3, vcc_lo
	s_delay_alu instid0(SALU_CYCLE_1) | instskip(SKIP_2) | instid1(VALU_DEP_3)
	s_cvt_u32_f32 s6, s6
	v_mov_b32_e32 v5, v1
	v_add_nc_u64_e32 v[10:11], v[12:13], v[10:11]
	v_dual_mov_b32 v3, 0 :: v_dual_lshlrev_b32 v24, 2, v0
	s_mul_i32 s14, s14, s6
	s_delay_alu instid0(SALU_CYCLE_1)
	s_mul_hi_u32 s20, s6, s14
	s_mul_u64 s[14:15], s[0:1], s[12:13]
	s_add_co_i32 s12, s6, s20
	s_mov_b32 s6, s13
	s_branch .LBB23_10
.LBB23_8:                               ;   in Loop: Header=BB23_10 Depth=1
	s_wait_xcnt 0x0
	s_or_b32 exec_lo, exec_lo, s20
	s_wait_dscnt 0x0
	v_mov_b32_e32 v0, 1
.LBB23_9:                               ;   in Loop: Header=BB23_10 Depth=1
	s_or_b32 exec_lo, exec_lo, s0
	ds_bpermute_b32 v3, v24, v27
	s_wait_storecnt_dscnt 0x0
	v_dual_add_nc_u32 v2, v0, v2 :: v_dual_min_i32 v3, v3, v27
	ds_bpermute_b32 v7, v17, v3
	s_wait_dscnt 0x0
	v_min_i32_e32 v3, v7, v3
	ds_bpermute_b32 v7, v18, v3
	s_wait_dscnt 0x0
	v_min_i32_e32 v3, v7, v3
	;; [unrolled: 3-line block ×5, first 2 shown]
	ds_bpermute_b32 v3, v25, v3
	s_wait_dscnt 0x0
	v_cmp_le_i32_e32 vcc_lo, s5, v3
	s_or_b32 s6, vcc_lo, s6
	s_delay_alu instid0(SALU_CYCLE_1)
	s_and_not1_b32 exec_lo, exec_lo, s6
	s_cbranch_execz .LBB23_24
.LBB23_10:                              ; =>This Loop Header: Depth=1
                                        ;     Child Loop BB23_13 Depth 2
	v_dual_mov_b32 v27, s5 :: v_dual_add_nc_u32 v28, v6, v4
	v_mov_b32_e32 v30, v15
	s_mov_b32 s20, exec_lo
	ds_store_b8 v14, v1 offset:1024
	ds_store_b32 v23, v1
	s_wait_dscnt 0x0
	v_cmpx_lt_i32_e64 v28, v15
	s_cbranch_execz .LBB23_18
; %bb.11:                               ;   in Loop: Header=BB23_10 Depth=1
	v_dual_ashrrev_i32 v7, 31, v6 :: v_dual_mov_b32 v27, s5
	v_mul_lo_u32 v29, v3, s7
	v_mov_b32_e32 v30, v15
	s_mov_b32 s21, 0
	s_delay_alu instid0(VALU_DEP_3) | instskip(NEXT) | instid1(VALU_DEP_1)
	v_add_nc_u64_e32 v[6:7], v[4:5], v[6:7]
	v_lshlrev_b64_e32 v[12:13], 2, v[6:7]
	s_delay_alu instid0(VALU_DEP_1)
	v_add_nc_u64_e32 v[6:7], s[10:11], v[12:13]
	v_add_nc_u64_e32 v[12:13], s[8:9], v[12:13]
	s_branch .LBB23_13
.LBB23_12:                              ;   in Loop: Header=BB23_13 Depth=2
	s_wait_xcnt 0x0
	s_or_b32 exec_lo, exec_lo, s0
	v_add_nc_u32_e32 v28, 32, v28
	s_xor_b32 s22, vcc_lo, -1
	v_add_nc_u64_e32 v[6:7], 0x80, v[6:7]
	v_add_nc_u64_e32 v[12:13], 0x80, v[12:13]
	s_delay_alu instid0(VALU_DEP_3) | instskip(SKIP_1) | instid1(SALU_CYCLE_1)
	v_cmp_ge_i32_e64 s0, v28, v15
	s_or_b32 s0, s22, s0
	s_and_b32 s0, exec_lo, s0
	s_delay_alu instid0(SALU_CYCLE_1) | instskip(NEXT) | instid1(SALU_CYCLE_1)
	s_or_b32 s21, s0, s21
	s_and_not1_b32 exec_lo, exec_lo, s21
	s_cbranch_execz .LBB23_17
.LBB23_13:                              ;   Parent Loop BB23_10 Depth=1
                                        ; =>  This Inner Loop Header: Depth=2
	global_load_b32 v0, v[6:7], off
	s_wait_loadcnt 0x0
	v_subrev_nc_u32_e32 v31, s16, v0
	s_delay_alu instid0(VALU_DEP_1) | instskip(NEXT) | instid1(VALU_DEP_1)
	v_sub_nc_u32_e32 v0, 0, v31
	v_max_i32_e32 v0, v31, v0
	s_delay_alu instid0(VALU_DEP_1) | instskip(NEXT) | instid1(VALU_DEP_1)
	v_mul_u64_e32 v[32:33], s[12:13], v[0:1]
	v_mul_lo_u32 v32, v33, s19
	s_delay_alu instid0(VALU_DEP_1) | instskip(NEXT) | instid1(VALU_DEP_1)
	v_dual_sub_nc_u32 v0, v0, v32 :: v_dual_add_nc_u32 v32, 1, v33
	v_cmp_le_u32_e32 vcc_lo, s19, v0
	s_delay_alu instid0(VALU_DEP_2) | instskip(SKIP_1) | instid1(VALU_DEP_1)
	v_cndmask_b32_e32 v32, v33, v32, vcc_lo
	v_subrev_nc_u32_e32 v34, s19, v0
	v_dual_cndmask_b32 v0, v0, v34 :: v_dual_ashrrev_i32 v33, 31, v31
	s_delay_alu instid0(VALU_DEP_3) | instskip(NEXT) | instid1(VALU_DEP_2)
	v_add_nc_u32_e32 v34, 1, v32
	v_cmp_le_u32_e32 vcc_lo, s19, v0
	s_delay_alu instid0(VALU_DEP_2) | instskip(NEXT) | instid1(VALU_DEP_1)
	v_dual_cndmask_b32 v0, v32, v34, vcc_lo :: v_dual_bitop2_b32 v33, s1, v33 bitop3:0x14
	v_xor_b32_e32 v0, v0, v33
	s_delay_alu instid0(VALU_DEP_1) | instskip(NEXT) | instid1(VALU_DEP_1)
	v_dual_sub_nc_u32 v32, v0, v33 :: v_dual_mov_b32 v0, v30
	v_cmp_ne_u32_e64 s0, v32, v3
	v_cmp_eq_u32_e32 vcc_lo, v32, v3
	s_wait_xcnt 0x0
	s_and_saveexec_b32 s22, s0
	s_delay_alu instid0(SALU_CYCLE_1)
	s_xor_b32 s0, exec_lo, s22
; %bb.14:                               ;   in Loop: Header=BB23_13 Depth=2
	v_min_i32_e32 v27, v32, v27
                                        ; implicit-def: $vgpr31
                                        ; implicit-def: $vgpr0
; %bb.15:                               ;   in Loop: Header=BB23_13 Depth=2
	s_or_saveexec_b32 s0, s0
	v_mov_b32_e32 v30, v28
	s_xor_b32 exec_lo, exec_lo, s0
	s_cbranch_execz .LBB23_12
; %bb.16:                               ;   in Loop: Header=BB23_13 Depth=2
	global_load_b32 v32, v[12:13], off
	v_sub_nc_u32_e32 v30, v31, v29
	s_delay_alu instid0(VALU_DEP_1)
	v_lshl_add_u32 v31, v30, 2, v16
	v_mov_b32_e32 v30, v0
	ds_store_b8 v14, v26 offset:1024
	s_wait_loadcnt 0x0
	ds_store_b32 v31, v32
	s_branch .LBB23_12
.LBB23_17:                              ;   in Loop: Header=BB23_10 Depth=1
	s_or_b32 exec_lo, exec_lo, s21
.LBB23_18:                              ;   in Loop: Header=BB23_10 Depth=1
	s_delay_alu instid0(SALU_CYCLE_1)
	s_or_b32 exec_lo, exec_lo, s20
	ds_bpermute_b32 v0, v17, v30
	s_wait_dscnt 0x0
	ds_load_u8 v7, v14 offset:1024
	v_min_i32_e32 v0, v0, v30
	ds_bpermute_b32 v6, v18, v0
	s_wait_dscnt 0x0
	v_min_i32_e32 v0, v6, v0
	ds_bpermute_b32 v6, v19, v0
	s_wait_dscnt 0x0
	;; [unrolled: 3-line block ×4, first 2 shown]
	v_min_i32_e32 v0, v6, v0
	ds_bpermute_b32 v6, v22, v0
	v_and_b32_e32 v0, 1, v7
	s_delay_alu instid0(VALU_DEP_1)
	v_cmp_eq_u32_e32 vcc_lo, 1, v0
	v_mov_b32_e32 v0, 0
	s_and_saveexec_b32 s0, vcc_lo
	s_cbranch_execz .LBB23_9
; %bb.19:                               ;   in Loop: Header=BB23_10 Depth=1
	v_add_nc_u32_e32 v0, s17, v3
	global_store_b32 v2, v0, s[2:3] scale_offset
	s_wait_xcnt 0x0
	s_and_saveexec_b32 s20, s4
	s_cbranch_execz .LBB23_8
; %bb.20:                               ;   in Loop: Header=BB23_10 Depth=1
	v_ashrrev_i32_e32 v3, 31, v2
	ds_load_b32 v0, v23
	s_and_b32 vcc_lo, exec_lo, s18
	v_mul_u64_e32 v[12:13], s[14:15], v[2:3]
	s_cbranch_vccz .LBB23_22
; %bb.21:                               ;   in Loop: Header=BB23_10 Depth=1
	s_delay_alu instid0(VALU_DEP_1)
	v_lshl_add_u64 v[28:29], v[12:13], 2, v[8:9]
	s_wait_dscnt 0x0
	global_store_b32 v[28:29], v0, off
	s_cbranch_execnz .LBB23_8
	s_branch .LBB23_23
.LBB23_22:                              ;   in Loop: Header=BB23_10 Depth=1
.LBB23_23:                              ;   in Loop: Header=BB23_10 Depth=1
	s_delay_alu instid0(VALU_DEP_1)
	v_lshl_add_u64 v[12:13], v[12:13], 2, v[10:11]
	s_wait_dscnt 0x0
	global_store_b32 v[12:13], v0, off
	s_branch .LBB23_8
.LBB23_24:
	s_endpgm
	.section	.rodata,"a",@progbits
	.p2align	6, 0x0
	.amdhsa_kernel _ZN9rocsparseL44csr2gebsr_wavefront_per_row_multipass_kernelILi256ELi2ELi32ELi64EfEEv20rocsparse_direction_iiiiii21rocsparse_index_base_PKT3_PKiS7_S2_PS3_PiS9_
		.amdhsa_group_segment_fixed_size 1028
		.amdhsa_private_segment_fixed_size 0
		.amdhsa_kernarg_size 88
		.amdhsa_user_sgpr_count 2
		.amdhsa_user_sgpr_dispatch_ptr 0
		.amdhsa_user_sgpr_queue_ptr 0
		.amdhsa_user_sgpr_kernarg_segment_ptr 1
		.amdhsa_user_sgpr_dispatch_id 0
		.amdhsa_user_sgpr_kernarg_preload_length 0
		.amdhsa_user_sgpr_kernarg_preload_offset 0
		.amdhsa_user_sgpr_private_segment_size 0
		.amdhsa_wavefront_size32 1
		.amdhsa_uses_dynamic_stack 0
		.amdhsa_enable_private_segment 0
		.amdhsa_system_sgpr_workgroup_id_x 1
		.amdhsa_system_sgpr_workgroup_id_y 0
		.amdhsa_system_sgpr_workgroup_id_z 0
		.amdhsa_system_sgpr_workgroup_info 0
		.amdhsa_system_vgpr_workitem_id 0
		.amdhsa_next_free_vgpr 35
		.amdhsa_next_free_sgpr 23
		.amdhsa_named_barrier_count 0
		.amdhsa_reserve_vcc 1
		.amdhsa_float_round_mode_32 0
		.amdhsa_float_round_mode_16_64 0
		.amdhsa_float_denorm_mode_32 3
		.amdhsa_float_denorm_mode_16_64 3
		.amdhsa_fp16_overflow 0
		.amdhsa_memory_ordered 1
		.amdhsa_forward_progress 1
		.amdhsa_inst_pref_size 12
		.amdhsa_round_robin_scheduling 0
		.amdhsa_exception_fp_ieee_invalid_op 0
		.amdhsa_exception_fp_denorm_src 0
		.amdhsa_exception_fp_ieee_div_zero 0
		.amdhsa_exception_fp_ieee_overflow 0
		.amdhsa_exception_fp_ieee_underflow 0
		.amdhsa_exception_fp_ieee_inexact 0
		.amdhsa_exception_int_div_zero 0
	.end_amdhsa_kernel
	.section	.text._ZN9rocsparseL44csr2gebsr_wavefront_per_row_multipass_kernelILi256ELi2ELi32ELi64EfEEv20rocsparse_direction_iiiiii21rocsparse_index_base_PKT3_PKiS7_S2_PS3_PiS9_,"axG",@progbits,_ZN9rocsparseL44csr2gebsr_wavefront_per_row_multipass_kernelILi256ELi2ELi32ELi64EfEEv20rocsparse_direction_iiiiii21rocsparse_index_base_PKT3_PKiS7_S2_PS3_PiS9_,comdat
.Lfunc_end23:
	.size	_ZN9rocsparseL44csr2gebsr_wavefront_per_row_multipass_kernelILi256ELi2ELi32ELi64EfEEv20rocsparse_direction_iiiiii21rocsparse_index_base_PKT3_PKiS7_S2_PS3_PiS9_, .Lfunc_end23-_ZN9rocsparseL44csr2gebsr_wavefront_per_row_multipass_kernelILi256ELi2ELi32ELi64EfEEv20rocsparse_direction_iiiiii21rocsparse_index_base_PKT3_PKiS7_S2_PS3_PiS9_
                                        ; -- End function
	.set _ZN9rocsparseL44csr2gebsr_wavefront_per_row_multipass_kernelILi256ELi2ELi32ELi64EfEEv20rocsparse_direction_iiiiii21rocsparse_index_base_PKT3_PKiS7_S2_PS3_PiS9_.num_vgpr, 35
	.set _ZN9rocsparseL44csr2gebsr_wavefront_per_row_multipass_kernelILi256ELi2ELi32ELi64EfEEv20rocsparse_direction_iiiiii21rocsparse_index_base_PKT3_PKiS7_S2_PS3_PiS9_.num_agpr, 0
	.set _ZN9rocsparseL44csr2gebsr_wavefront_per_row_multipass_kernelILi256ELi2ELi32ELi64EfEEv20rocsparse_direction_iiiiii21rocsparse_index_base_PKT3_PKiS7_S2_PS3_PiS9_.numbered_sgpr, 23
	.set _ZN9rocsparseL44csr2gebsr_wavefront_per_row_multipass_kernelILi256ELi2ELi32ELi64EfEEv20rocsparse_direction_iiiiii21rocsparse_index_base_PKT3_PKiS7_S2_PS3_PiS9_.num_named_barrier, 0
	.set _ZN9rocsparseL44csr2gebsr_wavefront_per_row_multipass_kernelILi256ELi2ELi32ELi64EfEEv20rocsparse_direction_iiiiii21rocsparse_index_base_PKT3_PKiS7_S2_PS3_PiS9_.private_seg_size, 0
	.set _ZN9rocsparseL44csr2gebsr_wavefront_per_row_multipass_kernelILi256ELi2ELi32ELi64EfEEv20rocsparse_direction_iiiiii21rocsparse_index_base_PKT3_PKiS7_S2_PS3_PiS9_.uses_vcc, 1
	.set _ZN9rocsparseL44csr2gebsr_wavefront_per_row_multipass_kernelILi256ELi2ELi32ELi64EfEEv20rocsparse_direction_iiiiii21rocsparse_index_base_PKT3_PKiS7_S2_PS3_PiS9_.uses_flat_scratch, 0
	.set _ZN9rocsparseL44csr2gebsr_wavefront_per_row_multipass_kernelILi256ELi2ELi32ELi64EfEEv20rocsparse_direction_iiiiii21rocsparse_index_base_PKT3_PKiS7_S2_PS3_PiS9_.has_dyn_sized_stack, 0
	.set _ZN9rocsparseL44csr2gebsr_wavefront_per_row_multipass_kernelILi256ELi2ELi32ELi64EfEEv20rocsparse_direction_iiiiii21rocsparse_index_base_PKT3_PKiS7_S2_PS3_PiS9_.has_recursion, 0
	.set _ZN9rocsparseL44csr2gebsr_wavefront_per_row_multipass_kernelILi256ELi2ELi32ELi64EfEEv20rocsparse_direction_iiiiii21rocsparse_index_base_PKT3_PKiS7_S2_PS3_PiS9_.has_indirect_call, 0
	.section	.AMDGPU.csdata,"",@progbits
; Kernel info:
; codeLenInByte = 1536
; TotalNumSgprs: 25
; NumVgprs: 35
; ScratchSize: 0
; MemoryBound: 0
; FloatMode: 240
; IeeeMode: 1
; LDSByteSize: 1028 bytes/workgroup (compile time only)
; SGPRBlocks: 0
; VGPRBlocks: 2
; NumSGPRsForWavesPerEU: 25
; NumVGPRsForWavesPerEU: 35
; NamedBarCnt: 0
; Occupancy: 16
; WaveLimiterHint : 0
; COMPUTE_PGM_RSRC2:SCRATCH_EN: 0
; COMPUTE_PGM_RSRC2:USER_SGPR: 2
; COMPUTE_PGM_RSRC2:TRAP_HANDLER: 0
; COMPUTE_PGM_RSRC2:TGID_X_EN: 1
; COMPUTE_PGM_RSRC2:TGID_Y_EN: 0
; COMPUTE_PGM_RSRC2:TGID_Z_EN: 0
; COMPUTE_PGM_RSRC2:TIDIG_COMP_CNT: 0
	.section	.text._ZN9rocsparseL44csr2gebsr_wavefront_per_row_multipass_kernelILi256ELi2ELi32ELi32EfEEv20rocsparse_direction_iiiiii21rocsparse_index_base_PKT3_PKiS7_S2_PS3_PiS9_,"axG",@progbits,_ZN9rocsparseL44csr2gebsr_wavefront_per_row_multipass_kernelILi256ELi2ELi32ELi32EfEEv20rocsparse_direction_iiiiii21rocsparse_index_base_PKT3_PKiS7_S2_PS3_PiS9_,comdat
	.globl	_ZN9rocsparseL44csr2gebsr_wavefront_per_row_multipass_kernelILi256ELi2ELi32ELi32EfEEv20rocsparse_direction_iiiiii21rocsparse_index_base_PKT3_PKiS7_S2_PS3_PiS9_ ; -- Begin function _ZN9rocsparseL44csr2gebsr_wavefront_per_row_multipass_kernelILi256ELi2ELi32ELi32EfEEv20rocsparse_direction_iiiiii21rocsparse_index_base_PKT3_PKiS7_S2_PS3_PiS9_
	.p2align	8
	.type	_ZN9rocsparseL44csr2gebsr_wavefront_per_row_multipass_kernelILi256ELi2ELi32ELi32EfEEv20rocsparse_direction_iiiiii21rocsparse_index_base_PKT3_PKiS7_S2_PS3_PiS9_,@function
_ZN9rocsparseL44csr2gebsr_wavefront_per_row_multipass_kernelILi256ELi2ELi32ELi32EfEEv20rocsparse_direction_iiiiii21rocsparse_index_base_PKT3_PKiS7_S2_PS3_PiS9_: ; @_ZN9rocsparseL44csr2gebsr_wavefront_per_row_multipass_kernelILi256ELi2ELi32ELi32EfEEv20rocsparse_direction_iiiiii21rocsparse_index_base_PKT3_PKiS7_S2_PS3_PiS9_
; %bb.0:
	s_clause 0x1
	s_load_b128 s[4:7], s[0:1], 0xc
	s_load_b64 s[12:13], s[0:1], 0x0
	s_bfe_u32 s2, ttmp6, 0x4000c
	s_and_b32 s3, ttmp6, 15
	s_add_co_i32 s2, s2, 1
	s_getreg_b32 s8, hwreg(HW_REG_IB_STS2, 6, 4)
	s_mul_i32 s2, ttmp9, s2
	v_dual_lshrrev_b32 v20, 5, v0 :: v_dual_mov_b32 v2, 0
	s_add_co_i32 s3, s3, s2
	s_cmp_eq_u32 s8, 0
	v_bfe_u32 v1, v0, 4, 1
	s_cselect_b32 s2, ttmp9, s3
	s_clause 0x1
	s_load_b32 s18, s[0:1], 0x1c
	s_load_b64 s[8:9], s[0:1], 0x28
	v_lshl_or_b32 v3, s2, 3, v20
	v_mov_b32_e32 v6, 0
	s_wait_kmcnt 0x0
	s_delay_alu instid0(VALU_DEP_2) | instskip(SKIP_1) | instid1(VALU_DEP_2)
	v_mad_u32 v4, v3, s6, v1
	v_cmp_gt_i32_e32 vcc_lo, s6, v1
	v_cmp_gt_i32_e64 s2, s13, v4
	s_and_b32 s2, vcc_lo, s2
	s_delay_alu instid0(SALU_CYCLE_1)
	s_and_saveexec_b32 s3, s2
	s_cbranch_execz .LBB24_2
; %bb.1:
	global_load_b32 v5, v4, s[8:9] scale_offset
	s_wait_loadcnt 0x0
	v_subrev_nc_u32_e32 v6, s18, v5
.LBB24_2:
	s_or_b32 exec_lo, exec_lo, s3
	v_mov_b32_e32 v21, 0
	s_and_saveexec_b32 s3, s2
	s_cbranch_execz .LBB24_4
; %bb.3:
	global_load_b32 v4, v4, s[8:9] offset:4 scale_offset
	s_wait_loadcnt 0x0
	v_subrev_nc_u32_e32 v21, s18, v4
.LBB24_4:
	s_or_b32 exec_lo, exec_lo, s3
	s_load_b32 s19, s[0:1], 0x38
	s_mov_b32 s3, exec_lo
	v_cmpx_gt_i32_e64 s4, v3
	s_cbranch_execz .LBB24_6
; %bb.5:
	s_load_b64 s[8:9], s[0:1], 0x48
	s_wait_kmcnt 0x0
	global_load_b32 v2, v3, s[8:9] scale_offset
	s_wait_loadcnt 0x0
	v_subrev_nc_u32_e32 v2, s19, v2
.LBB24_6:
	s_or_b32 exec_lo, exec_lo, s3
	s_cmp_lt_i32 s5, 1
	s_cbranch_scc1 .LBB24_29
; %bb.7:
	v_mbcnt_lo_u32_b32 v7, -1, 0
	v_lshlrev_b32_e32 v3, 7, v1
	s_clause 0x3
	s_load_b64 s[2:3], s[0:1], 0x50
	s_load_b64 s[22:23], s[0:1], 0x40
	;; [unrolled: 1-line block ×4, first 2 shown]
	v_mul_lo_u32 v10, s7, v1
	s_cmp_lg_u32 s12, 0
	v_xor_b32_e32 v4, 8, v7
	v_lshl_or_b32 v22, v20, 8, v3
	v_xor_b32_e32 v8, 1, v7
	v_xor_b32_e32 v5, 2, v7
	s_cselect_b32 s4, -1, 0
	s_wait_xcnt 0x0
	v_cmp_gt_i32_e64 s0, 32, v4
	v_xor_b32_e32 v3, 4, v7
	s_abs_i32 s20, s7
	s_mov_b32 s13, 0
	v_dual_ashrrev_i32 v11, 31, v10 :: v_dual_cndmask_b32 v4, v7, v4, s0
	s_delay_alu instid0(VALU_DEP_2)
	v_cmp_gt_i32_e64 s0, 32, v3
	v_and_b32_e32 v0, 15, v0
	s_mov_b32 s12, s6
	s_ashr_i32 s15, s7, 31
	s_mov_b32 s14, s7
	v_cndmask_b32_e64 v3, v7, v3, s0
	v_cmp_gt_i32_e64 s0, 32, v5
	v_lshlrev_b32_e32 v23, 2, v4
	v_dual_lshlrev_b32 v12, 2, v0 :: v_dual_lshlrev_b32 v4, 2, v1
	s_delay_alu instid0(VALU_DEP_3) | instskip(SKIP_1) | instid1(VALU_DEP_3)
	v_dual_cndmask_b32 v5, v7, v5, s0 :: v_dual_bitop2_b32 v1, 16, v7 bitop3:0x14
	v_cmp_gt_i32_e64 s0, 32, v8
	v_dual_lshlrev_b32 v24, 2, v3 :: v_dual_bitop2_b32 v28, v22, v12 bitop3:0x54
	s_wait_kmcnt 0x0
	v_lshl_add_u64 v[14:15], v[10:11], 2, s[22:23]
	v_mul_lo_u32 v10, v0, s6
	v_cndmask_b32_e64 v8, v7, v8, s0
	s_cvt_f32_u32 s0, s20
	v_dual_lshlrev_b32 v25, 2, v5 :: v_dual_mov_b32 v5, 0
	s_mul_u64 s[16:17], s[14:15], s[12:13]
	s_delay_alu instid0(SALU_CYCLE_1) | instskip(SKIP_4) | instid1(VALU_DEP_4)
	v_rcp_iflag_f32_e32 v3, s0
	v_cmp_gt_i32_e64 s0, 32, v1
	v_lshlrev_b32_e32 v26, 2, v8
	v_add_nc_u64_e32 v[8:9], s[22:23], v[4:5]
	v_dual_mov_b32 v13, v5 :: v_dual_mov_b32 v11, v5
	v_cndmask_b32_e64 v4, v7, v1, s0
	s_delay_alu instid0(TRANS32_DEP_1) | instskip(SKIP_1) | instid1(VALU_DEP_4)
	v_readfirstlane_b32 s0, v3
	v_or_b32_e32 v3, 16, v0
	v_add_nc_u64_e32 v[12:13], v[14:15], v[12:13]
	v_lshl_add_u32 v14, s6, 4, v10
	s_sub_co_i32 s6, 0, s20
	s_mul_f32 s12, s0, 0x4f7ffffe
	v_cmp_gt_u32_e64 s0, s7, v0
	v_cmp_gt_u32_e64 s1, s7, v3
	v_lshl_or_b32 v27, v7, 2, 60
	s_cvt_u32_f32 s12, s12
	v_dual_mov_b32 v1, v5 :: v_dual_lshlrev_b32 v29, 2, v4
	v_dual_mov_b32 v30, 0x7c :: v_dual_mov_b32 v15, v5
	s_delay_alu instid0(SALU_CYCLE_1)
	s_mul_i32 s14, s6, s12
	v_dual_mov_b32 v31, 1 :: v_dual_mov_b32 v33, 0
	s_and_b32 s6, s0, vcc_lo
	s_mul_hi_u32 s0, s12, s14
	s_and_b32 s1, vcc_lo, s1
	s_add_co_i32 s12, s12, s0
	s_mov_b32 s14, s13
	s_branch .LBB24_10
.LBB24_8:                               ;   in Loop: Header=BB24_10 Depth=1
	s_wait_xcnt 0x0
	s_or_b32 exec_lo, exec_lo, s21
	s_wait_dscnt 0x0
	v_mov_b32_e32 v3, 1
.LBB24_9:                               ;   in Loop: Header=BB24_10 Depth=1
	s_or_b32 exec_lo, exec_lo, s0
	ds_bpermute_b32 v4, v29, v32
	s_wait_storecnt_dscnt 0x0
	v_dual_add_nc_u32 v2, v3, v2 :: v_dual_min_i32 v4, v4, v32
	ds_bpermute_b32 v7, v23, v4
	s_wait_dscnt 0x0
	v_min_i32_e32 v4, v7, v4
	ds_bpermute_b32 v7, v24, v4
	s_wait_dscnt 0x0
	v_min_i32_e32 v4, v7, v4
	;; [unrolled: 3-line block ×4, first 2 shown]
	ds_bpermute_b32 v33, v30, v4
	s_wait_dscnt 0x0
	v_cmp_le_i32_e32 vcc_lo, s5, v33
	s_or_b32 s14, vcc_lo, s14
	s_delay_alu instid0(SALU_CYCLE_1)
	s_and_not1_b32 exec_lo, exec_lo, s14
	s_cbranch_execz .LBB24_29
.LBB24_10:                              ; =>This Loop Header: Depth=1
                                        ;     Child Loop BB24_13 Depth 2
	v_dual_mov_b32 v32, s5 :: v_dual_add_nc_u32 v3, v6, v0
	v_mov_b32_e32 v19, v21
	s_mov_b32 s21, exec_lo
	ds_store_b8 v20, v5 offset:2048
	ds_store_2addr_b32 v28, v5, v5 offset1:16
	s_wait_dscnt 0x0
	v_cmpx_lt_i32_e64 v3, v21
	s_cbranch_execz .LBB24_18
; %bb.11:                               ;   in Loop: Header=BB24_10 Depth=1
	v_dual_mov_b32 v32, s5 :: v_dual_ashrrev_i32 v7, 31, v6
	v_mul_lo_u32 v18, v33, s7
	v_mov_b32_e32 v19, v21
	s_mov_b32 s22, 0
	s_delay_alu instid0(VALU_DEP_3) | instskip(NEXT) | instid1(VALU_DEP_1)
	v_add_nc_u64_e32 v[6:7], v[0:1], v[6:7]
	v_lshlrev_b64_e32 v[16:17], 2, v[6:7]
	s_delay_alu instid0(VALU_DEP_1)
	v_add_nc_u64_e32 v[6:7], s[10:11], v[16:17]
	v_add_nc_u64_e32 v[16:17], s[8:9], v[16:17]
	s_branch .LBB24_13
.LBB24_12:                              ;   in Loop: Header=BB24_13 Depth=2
	s_wait_xcnt 0x0
	s_or_b32 exec_lo, exec_lo, s0
	v_add_nc_u32_e32 v3, 16, v3
	s_xor_b32 s23, vcc_lo, -1
	v_add_nc_u64_e32 v[6:7], 64, v[6:7]
	v_add_nc_u64_e32 v[16:17], 64, v[16:17]
	s_delay_alu instid0(VALU_DEP_3) | instskip(SKIP_1) | instid1(SALU_CYCLE_1)
	v_cmp_ge_i32_e64 s0, v3, v21
	s_or_b32 s0, s23, s0
	s_and_b32 s0, exec_lo, s0
	s_delay_alu instid0(SALU_CYCLE_1) | instskip(NEXT) | instid1(SALU_CYCLE_1)
	s_or_b32 s22, s0, s22
	s_and_not1_b32 exec_lo, exec_lo, s22
	s_cbranch_execz .LBB24_17
.LBB24_13:                              ;   Parent Loop BB24_10 Depth=1
                                        ; =>  This Inner Loop Header: Depth=2
	global_load_b32 v4, v[6:7], off
	s_wait_loadcnt 0x0
	v_subrev_nc_u32_e32 v34, s18, v4
	s_delay_alu instid0(VALU_DEP_1) | instskip(NEXT) | instid1(VALU_DEP_1)
	v_sub_nc_u32_e32 v4, 0, v34
	v_max_i32_e32 v4, v34, v4
	s_delay_alu instid0(VALU_DEP_1) | instskip(NEXT) | instid1(VALU_DEP_1)
	v_mul_u64_e32 v[36:37], s[12:13], v[4:5]
	v_mul_lo_u32 v35, v37, s20
	s_delay_alu instid0(VALU_DEP_1) | instskip(NEXT) | instid1(VALU_DEP_1)
	v_dual_sub_nc_u32 v4, v4, v35 :: v_dual_add_nc_u32 v35, 1, v37
	v_cmp_le_u32_e32 vcc_lo, s20, v4
	s_delay_alu instid0(VALU_DEP_2) | instskip(SKIP_1) | instid1(VALU_DEP_1)
	v_dual_cndmask_b32 v35, v37, v35, vcc_lo :: v_dual_ashrrev_i32 v37, 31, v34
	v_subrev_nc_u32_e32 v36, s20, v4
	v_dual_cndmask_b32 v4, v4, v36, vcc_lo :: v_dual_add_nc_u32 v36, 1, v35
	s_delay_alu instid0(VALU_DEP_1) | instskip(NEXT) | instid1(VALU_DEP_2)
	v_cmp_le_u32_e32 vcc_lo, s20, v4
	v_dual_cndmask_b32 v4, v35, v36, vcc_lo :: v_dual_bitop2_b32 v37, s15, v37 bitop3:0x14
	s_delay_alu instid0(VALU_DEP_1) | instskip(NEXT) | instid1(VALU_DEP_1)
	v_xor_b32_e32 v4, v4, v37
	v_dual_mov_b32 v4, v19 :: v_dual_sub_nc_u32 v35, v4, v37
	s_delay_alu instid0(VALU_DEP_1) | instskip(SKIP_3) | instid1(SALU_CYCLE_1)
	v_cmp_ne_u32_e64 s0, v35, v33
	v_cmp_eq_u32_e32 vcc_lo, v35, v33
	s_wait_xcnt 0x0
	s_and_saveexec_b32 s23, s0
	s_xor_b32 s0, exec_lo, s23
; %bb.14:                               ;   in Loop: Header=BB24_13 Depth=2
	v_min_i32_e32 v32, v35, v32
                                        ; implicit-def: $vgpr34
                                        ; implicit-def: $vgpr4
; %bb.15:                               ;   in Loop: Header=BB24_13 Depth=2
	s_or_saveexec_b32 s0, s0
	v_mov_b32_e32 v19, v3
	s_xor_b32 exec_lo, exec_lo, s0
	s_cbranch_execz .LBB24_12
; %bb.16:                               ;   in Loop: Header=BB24_13 Depth=2
	global_load_b32 v35, v[16:17], off
	v_sub_nc_u32_e32 v19, v34, v18
	s_delay_alu instid0(VALU_DEP_1)
	v_lshl_add_u32 v34, v19, 2, v22
	v_mov_b32_e32 v19, v4
	ds_store_b8 v20, v31 offset:2048
	s_wait_loadcnt 0x0
	ds_store_b32 v34, v35
	s_branch .LBB24_12
.LBB24_17:                              ;   in Loop: Header=BB24_10 Depth=1
	s_or_b32 exec_lo, exec_lo, s22
.LBB24_18:                              ;   in Loop: Header=BB24_10 Depth=1
	s_delay_alu instid0(SALU_CYCLE_1)
	s_or_b32 exec_lo, exec_lo, s21
	ds_bpermute_b32 v3, v23, v19
	s_wait_dscnt 0x0
	ds_load_u8 v7, v20 offset:2048
	v_min_i32_e32 v3, v3, v19
	ds_bpermute_b32 v4, v24, v3
	s_wait_dscnt 0x0
	v_min_i32_e32 v3, v4, v3
	ds_bpermute_b32 v4, v25, v3
	s_wait_dscnt 0x0
	;; [unrolled: 3-line block ×3, first 2 shown]
	v_min_i32_e32 v3, v4, v3
	ds_bpermute_b32 v6, v27, v3
	v_and_b32_e32 v3, 1, v7
	s_delay_alu instid0(VALU_DEP_1)
	v_cmp_eq_u32_e32 vcc_lo, 1, v3
	v_mov_b32_e32 v3, 0
	s_and_saveexec_b32 s0, vcc_lo
	s_cbranch_execz .LBB24_9
; %bb.19:                               ;   in Loop: Header=BB24_10 Depth=1
	v_ashrrev_i32_e32 v3, 31, v2
	s_delay_alu instid0(VALU_DEP_1) | instskip(SKIP_3) | instid1(VALU_DEP_1)
	v_mul_u64_e32 v[16:17], s[16:17], v[2:3]
	v_add_nc_u32_e32 v3, s19, v33
	global_store_b32 v2, v3, s[2:3] scale_offset
	v_lshlrev_b64_e32 v[16:17], 2, v[16:17]
	v_add_nc_u64_e32 v[18:19], v[8:9], v[16:17]
	v_add_nc_u64_e32 v[16:17], v[12:13], v[16:17]
	s_wait_xcnt 0x0
	s_and_saveexec_b32 s21, s6
	s_cbranch_execz .LBB24_23
; %bb.20:                               ;   in Loop: Header=BB24_10 Depth=1
	ds_load_b32 v3, v28
	s_and_b32 vcc_lo, exec_lo, s4
	s_cbranch_vccz .LBB24_26
; %bb.21:                               ;   in Loop: Header=BB24_10 Depth=1
	v_lshl_add_u64 v[34:35], v[10:11], 2, v[18:19]
	s_wait_dscnt 0x0
	global_store_b32 v[34:35], v3, off
	s_cbranch_execnz .LBB24_23
.LBB24_22:                              ;   in Loop: Header=BB24_10 Depth=1
	s_wait_dscnt 0x0
	global_store_b32 v[16:17], v3, off
.LBB24_23:                              ;   in Loop: Header=BB24_10 Depth=1
	s_wait_xcnt 0x0
	s_or_b32 exec_lo, exec_lo, s21
	s_and_saveexec_b32 s21, s1
	s_cbranch_execz .LBB24_8
; %bb.24:                               ;   in Loop: Header=BB24_10 Depth=1
	s_and_not1_b32 vcc_lo, exec_lo, s4
	s_cbranch_vccnz .LBB24_27
; %bb.25:                               ;   in Loop: Header=BB24_10 Depth=1
	s_wait_dscnt 0x0
	ds_load_b32 v3, v28 offset:64
	v_lshl_add_u64 v[18:19], v[14:15], 2, v[18:19]
	s_wait_dscnt 0x0
	global_store_b32 v[18:19], v3, off
	s_cbranch_execnz .LBB24_8
	s_branch .LBB24_28
.LBB24_26:                              ;   in Loop: Header=BB24_10 Depth=1
	s_branch .LBB24_22
.LBB24_27:                              ;   in Loop: Header=BB24_10 Depth=1
.LBB24_28:                              ;   in Loop: Header=BB24_10 Depth=1
	s_wait_dscnt 0x0
	s_wait_xcnt 0x0
	ds_load_b32 v3, v28 offset:64
	s_wait_dscnt 0x0
	global_store_b32 v[16:17], v3, off offset:64
	s_branch .LBB24_8
.LBB24_29:
	s_endpgm
	.section	.rodata,"a",@progbits
	.p2align	6, 0x0
	.amdhsa_kernel _ZN9rocsparseL44csr2gebsr_wavefront_per_row_multipass_kernelILi256ELi2ELi32ELi32EfEEv20rocsparse_direction_iiiiii21rocsparse_index_base_PKT3_PKiS7_S2_PS3_PiS9_
		.amdhsa_group_segment_fixed_size 2056
		.amdhsa_private_segment_fixed_size 0
		.amdhsa_kernarg_size 88
		.amdhsa_user_sgpr_count 2
		.amdhsa_user_sgpr_dispatch_ptr 0
		.amdhsa_user_sgpr_queue_ptr 0
		.amdhsa_user_sgpr_kernarg_segment_ptr 1
		.amdhsa_user_sgpr_dispatch_id 0
		.amdhsa_user_sgpr_kernarg_preload_length 0
		.amdhsa_user_sgpr_kernarg_preload_offset 0
		.amdhsa_user_sgpr_private_segment_size 0
		.amdhsa_wavefront_size32 1
		.amdhsa_uses_dynamic_stack 0
		.amdhsa_enable_private_segment 0
		.amdhsa_system_sgpr_workgroup_id_x 1
		.amdhsa_system_sgpr_workgroup_id_y 0
		.amdhsa_system_sgpr_workgroup_id_z 0
		.amdhsa_system_sgpr_workgroup_info 0
		.amdhsa_system_vgpr_workitem_id 0
		.amdhsa_next_free_vgpr 38
		.amdhsa_next_free_sgpr 24
		.amdhsa_named_barrier_count 0
		.amdhsa_reserve_vcc 1
		.amdhsa_float_round_mode_32 0
		.amdhsa_float_round_mode_16_64 0
		.amdhsa_float_denorm_mode_32 3
		.amdhsa_float_denorm_mode_16_64 3
		.amdhsa_fp16_overflow 0
		.amdhsa_memory_ordered 1
		.amdhsa_forward_progress 1
		.amdhsa_inst_pref_size 13
		.amdhsa_round_robin_scheduling 0
		.amdhsa_exception_fp_ieee_invalid_op 0
		.amdhsa_exception_fp_denorm_src 0
		.amdhsa_exception_fp_ieee_div_zero 0
		.amdhsa_exception_fp_ieee_overflow 0
		.amdhsa_exception_fp_ieee_underflow 0
		.amdhsa_exception_fp_ieee_inexact 0
		.amdhsa_exception_int_div_zero 0
	.end_amdhsa_kernel
	.section	.text._ZN9rocsparseL44csr2gebsr_wavefront_per_row_multipass_kernelILi256ELi2ELi32ELi32EfEEv20rocsparse_direction_iiiiii21rocsparse_index_base_PKT3_PKiS7_S2_PS3_PiS9_,"axG",@progbits,_ZN9rocsparseL44csr2gebsr_wavefront_per_row_multipass_kernelILi256ELi2ELi32ELi32EfEEv20rocsparse_direction_iiiiii21rocsparse_index_base_PKT3_PKiS7_S2_PS3_PiS9_,comdat
.Lfunc_end24:
	.size	_ZN9rocsparseL44csr2gebsr_wavefront_per_row_multipass_kernelILi256ELi2ELi32ELi32EfEEv20rocsparse_direction_iiiiii21rocsparse_index_base_PKT3_PKiS7_S2_PS3_PiS9_, .Lfunc_end24-_ZN9rocsparseL44csr2gebsr_wavefront_per_row_multipass_kernelILi256ELi2ELi32ELi32EfEEv20rocsparse_direction_iiiiii21rocsparse_index_base_PKT3_PKiS7_S2_PS3_PiS9_
                                        ; -- End function
	.set _ZN9rocsparseL44csr2gebsr_wavefront_per_row_multipass_kernelILi256ELi2ELi32ELi32EfEEv20rocsparse_direction_iiiiii21rocsparse_index_base_PKT3_PKiS7_S2_PS3_PiS9_.num_vgpr, 38
	.set _ZN9rocsparseL44csr2gebsr_wavefront_per_row_multipass_kernelILi256ELi2ELi32ELi32EfEEv20rocsparse_direction_iiiiii21rocsparse_index_base_PKT3_PKiS7_S2_PS3_PiS9_.num_agpr, 0
	.set _ZN9rocsparseL44csr2gebsr_wavefront_per_row_multipass_kernelILi256ELi2ELi32ELi32EfEEv20rocsparse_direction_iiiiii21rocsparse_index_base_PKT3_PKiS7_S2_PS3_PiS9_.numbered_sgpr, 24
	.set _ZN9rocsparseL44csr2gebsr_wavefront_per_row_multipass_kernelILi256ELi2ELi32ELi32EfEEv20rocsparse_direction_iiiiii21rocsparse_index_base_PKT3_PKiS7_S2_PS3_PiS9_.num_named_barrier, 0
	.set _ZN9rocsparseL44csr2gebsr_wavefront_per_row_multipass_kernelILi256ELi2ELi32ELi32EfEEv20rocsparse_direction_iiiiii21rocsparse_index_base_PKT3_PKiS7_S2_PS3_PiS9_.private_seg_size, 0
	.set _ZN9rocsparseL44csr2gebsr_wavefront_per_row_multipass_kernelILi256ELi2ELi32ELi32EfEEv20rocsparse_direction_iiiiii21rocsparse_index_base_PKT3_PKiS7_S2_PS3_PiS9_.uses_vcc, 1
	.set _ZN9rocsparseL44csr2gebsr_wavefront_per_row_multipass_kernelILi256ELi2ELi32ELi32EfEEv20rocsparse_direction_iiiiii21rocsparse_index_base_PKT3_PKiS7_S2_PS3_PiS9_.uses_flat_scratch, 0
	.set _ZN9rocsparseL44csr2gebsr_wavefront_per_row_multipass_kernelILi256ELi2ELi32ELi32EfEEv20rocsparse_direction_iiiiii21rocsparse_index_base_PKT3_PKiS7_S2_PS3_PiS9_.has_dyn_sized_stack, 0
	.set _ZN9rocsparseL44csr2gebsr_wavefront_per_row_multipass_kernelILi256ELi2ELi32ELi32EfEEv20rocsparse_direction_iiiiii21rocsparse_index_base_PKT3_PKiS7_S2_PS3_PiS9_.has_recursion, 0
	.set _ZN9rocsparseL44csr2gebsr_wavefront_per_row_multipass_kernelILi256ELi2ELi32ELi32EfEEv20rocsparse_direction_iiiiii21rocsparse_index_base_PKT3_PKiS7_S2_PS3_PiS9_.has_indirect_call, 0
	.section	.AMDGPU.csdata,"",@progbits
; Kernel info:
; codeLenInByte = 1600
; TotalNumSgprs: 26
; NumVgprs: 38
; ScratchSize: 0
; MemoryBound: 0
; FloatMode: 240
; IeeeMode: 1
; LDSByteSize: 2056 bytes/workgroup (compile time only)
; SGPRBlocks: 0
; VGPRBlocks: 2
; NumSGPRsForWavesPerEU: 26
; NumVGPRsForWavesPerEU: 38
; NamedBarCnt: 0
; Occupancy: 16
; WaveLimiterHint : 0
; COMPUTE_PGM_RSRC2:SCRATCH_EN: 0
; COMPUTE_PGM_RSRC2:USER_SGPR: 2
; COMPUTE_PGM_RSRC2:TRAP_HANDLER: 0
; COMPUTE_PGM_RSRC2:TGID_X_EN: 1
; COMPUTE_PGM_RSRC2:TGID_Y_EN: 0
; COMPUTE_PGM_RSRC2:TGID_Z_EN: 0
; COMPUTE_PGM_RSRC2:TIDIG_COMP_CNT: 0
	.section	.text._ZN9rocsparseL44csr2gebsr_wavefront_per_row_multipass_kernelILi256ELi2ELi64ELi64EfEEv20rocsparse_direction_iiiiii21rocsparse_index_base_PKT3_PKiS7_S2_PS3_PiS9_,"axG",@progbits,_ZN9rocsparseL44csr2gebsr_wavefront_per_row_multipass_kernelILi256ELi2ELi64ELi64EfEEv20rocsparse_direction_iiiiii21rocsparse_index_base_PKT3_PKiS7_S2_PS3_PiS9_,comdat
	.globl	_ZN9rocsparseL44csr2gebsr_wavefront_per_row_multipass_kernelILi256ELi2ELi64ELi64EfEEv20rocsparse_direction_iiiiii21rocsparse_index_base_PKT3_PKiS7_S2_PS3_PiS9_ ; -- Begin function _ZN9rocsparseL44csr2gebsr_wavefront_per_row_multipass_kernelILi256ELi2ELi64ELi64EfEEv20rocsparse_direction_iiiiii21rocsparse_index_base_PKT3_PKiS7_S2_PS3_PiS9_
	.p2align	8
	.type	_ZN9rocsparseL44csr2gebsr_wavefront_per_row_multipass_kernelILi256ELi2ELi64ELi64EfEEv20rocsparse_direction_iiiiii21rocsparse_index_base_PKT3_PKiS7_S2_PS3_PiS9_,@function
_ZN9rocsparseL44csr2gebsr_wavefront_per_row_multipass_kernelILi256ELi2ELi64ELi64EfEEv20rocsparse_direction_iiiiii21rocsparse_index_base_PKT3_PKiS7_S2_PS3_PiS9_: ; @_ZN9rocsparseL44csr2gebsr_wavefront_per_row_multipass_kernelILi256ELi2ELi64ELi64EfEEv20rocsparse_direction_iiiiii21rocsparse_index_base_PKT3_PKiS7_S2_PS3_PiS9_
; %bb.0:
	s_clause 0x1
	s_load_b128 s[4:7], s[0:1], 0xc
	s_load_b64 s[12:13], s[0:1], 0x0
	s_bfe_u32 s2, ttmp6, 0x4000c
	s_and_b32 s3, ttmp6, 15
	s_add_co_i32 s2, s2, 1
	s_getreg_b32 s8, hwreg(HW_REG_IB_STS2, 6, 4)
	s_mul_i32 s2, ttmp9, s2
	v_dual_lshrrev_b32 v20, 6, v0 :: v_dual_mov_b32 v2, 0
	s_add_co_i32 s3, s3, s2
	s_cmp_eq_u32 s8, 0
	v_bfe_u32 v1, v0, 5, 1
	s_cselect_b32 s2, ttmp9, s3
	s_clause 0x1
	s_load_b32 s18, s[0:1], 0x1c
	s_load_b64 s[8:9], s[0:1], 0x28
	v_lshl_or_b32 v3, s2, 2, v20
	v_mov_b32_e32 v6, 0
	s_wait_kmcnt 0x0
	s_delay_alu instid0(VALU_DEP_2) | instskip(SKIP_1) | instid1(VALU_DEP_2)
	v_mad_u32 v4, v3, s6, v1
	v_cmp_gt_i32_e32 vcc_lo, s6, v1
	v_cmp_gt_i32_e64 s2, s13, v4
	s_and_b32 s2, vcc_lo, s2
	s_delay_alu instid0(SALU_CYCLE_1)
	s_and_saveexec_b32 s3, s2
	s_cbranch_execz .LBB25_2
; %bb.1:
	global_load_b32 v5, v4, s[8:9] scale_offset
	s_wait_loadcnt 0x0
	v_subrev_nc_u32_e32 v6, s18, v5
.LBB25_2:
	s_or_b32 exec_lo, exec_lo, s3
	v_mov_b32_e32 v21, 0
	s_and_saveexec_b32 s3, s2
	s_cbranch_execz .LBB25_4
; %bb.3:
	global_load_b32 v4, v4, s[8:9] offset:4 scale_offset
	s_wait_loadcnt 0x0
	v_subrev_nc_u32_e32 v21, s18, v4
.LBB25_4:
	s_or_b32 exec_lo, exec_lo, s3
	s_load_b32 s19, s[0:1], 0x38
	s_mov_b32 s3, exec_lo
	v_cmpx_gt_i32_e64 s4, v3
	s_cbranch_execz .LBB25_6
; %bb.5:
	s_load_b64 s[8:9], s[0:1], 0x48
	s_wait_kmcnt 0x0
	global_load_b32 v2, v3, s[8:9] scale_offset
	s_wait_loadcnt 0x0
	v_subrev_nc_u32_e32 v2, s19, v2
.LBB25_6:
	s_or_b32 exec_lo, exec_lo, s3
	s_cmp_lt_i32 s5, 1
	s_cbranch_scc1 .LBB25_29
; %bb.7:
	v_mbcnt_lo_u32_b32 v7, -1, 0
	v_lshlrev_b32_e32 v3, 8, v1
	s_clause 0x3
	s_load_b64 s[2:3], s[0:1], 0x50
	s_load_b64 s[22:23], s[0:1], 0x40
	;; [unrolled: 1-line block ×4, first 2 shown]
	v_mul_lo_u32 v10, s7, v1
	s_cmp_lg_u32 s12, 0
	v_xor_b32_e32 v4, 16, v7
	v_lshl_or_b32 v22, v20, 9, v3
	v_xor_b32_e32 v8, 2, v7
	v_xor_b32_e32 v5, 4, v7
	s_cselect_b32 s4, -1, 0
	s_wait_xcnt 0x0
	v_cmp_gt_i32_e64 s0, 32, v4
	v_xor_b32_e32 v3, 8, v7
	s_abs_i32 s20, s7
	v_dual_mov_b32 v28, 0x7c :: v_dual_ashrrev_i32 v11, 31, v10
	v_cndmask_b32_e64 v4, v7, v4, s0
	s_delay_alu instid0(VALU_DEP_3)
	v_cmp_gt_i32_e64 s0, 32, v3
	v_and_b32_e32 v0, 31, v0
	v_xor_b32_e32 v9, 1, v7
	s_mov_b32 s13, 0
	v_dual_lshlrev_b32 v23, 2, v4 :: v_dual_cndmask_b32 v3, v7, v3, s0
	v_cmp_gt_i32_e64 s0, 32, v5
	s_mov_b32 s12, s6
	s_ashr_i32 s15, s7, 31
	s_mov_b32 s14, s7
	v_bfrev_b32_e32 v31, 0.5
	v_cndmask_b32_e64 v5, v7, v5, s0
	v_cmp_gt_i32_e64 s0, 32, v8
	s_mul_u64 s[16:17], s[14:15], s[12:13]
	v_dual_mov_b32 v34, 0 :: v_dual_lshlrev_b32 v24, 2, v3
	v_lshlrev_b32_e32 v12, 2, v0
	v_cndmask_b32_e64 v8, v7, v8, s0
	v_cmp_gt_i32_e64 s0, 32, v9
	v_dual_lshlrev_b32 v25, 2, v5 :: v_dual_mov_b32 v5, 0
	s_delay_alu instid0(VALU_DEP_4) | instskip(NEXT) | instid1(VALU_DEP_3)
	v_dual_lshlrev_b32 v4, 2, v1 :: v_dual_bitop2_b32 v29, v22, v12 bitop3:0x54
	v_cndmask_b32_e64 v9, v7, v9, s0
	s_cvt_f32_u32 s0, s20
	v_dual_lshlrev_b32 v26, 2, v8 :: v_dual_bitop2_b32 v1, 32, v7 bitop3:0x54
	s_wait_kmcnt 0x0
	v_lshl_add_u64 v[14:15], v[10:11], 2, s[22:23]
	v_lshlrev_b32_e32 v27, 2, v9
	v_rcp_iflag_f32_e32 v3, s0
	v_mul_lo_u32 v10, v0, s6
	v_cmp_gt_i32_e64 s0, 32, v1
	v_add_nc_u64_e32 v[8:9], s[22:23], v[4:5]
	v_dual_mov_b32 v13, v5 :: v_dual_mov_b32 v11, v5
	s_delay_alu instid0(VALU_DEP_3) | instskip(NEXT) | instid1(TRANS32_DEP_1)
	v_dual_mov_b32 v32, 1 :: v_dual_cndmask_b32 v4, v7, v1, s0
	v_readfirstlane_b32 s0, v3
	v_or_b32_e32 v3, 32, v0
	s_delay_alu instid0(VALU_DEP_4) | instskip(NEXT) | instid1(VALU_DEP_4)
	v_add_nc_u64_e32 v[12:13], v[14:15], v[12:13]
	v_dual_mov_b32 v1, v5 :: v_dual_lshlrev_b32 v30, 2, v4
	s_mul_f32 s12, s0, 0x4f7ffffe
	v_cmp_gt_u32_e64 s0, s7, v0
	v_lshl_add_u32 v14, s6, 5, v10
	s_sub_co_i32 s6, 0, s20
	v_cmp_gt_u32_e64 s1, s7, v3
	v_mov_b32_e32 v15, v5
	s_cvt_u32_f32 s12, s12
	s_and_b32 s1, vcc_lo, s1
	s_delay_alu instid0(SALU_CYCLE_2)
	s_mul_i32 s14, s6, s12
	s_and_b32 s6, s0, vcc_lo
	s_mul_hi_u32 s0, s12, s14
	s_mov_b32 s14, s13
	s_add_co_i32 s12, s12, s0
	s_branch .LBB25_10
.LBB25_8:                               ;   in Loop: Header=BB25_10 Depth=1
	s_wait_xcnt 0x0
	s_or_b32 exec_lo, exec_lo, s21
	s_wait_dscnt 0x0
	v_mov_b32_e32 v3, 1
.LBB25_9:                               ;   in Loop: Header=BB25_10 Depth=1
	s_or_b32 exec_lo, exec_lo, s0
	ds_bpermute_b32 v4, v30, v33
	s_wait_storecnt_dscnt 0x0
	v_dual_add_nc_u32 v2, v3, v2 :: v_dual_min_i32 v4, v4, v33
	ds_bpermute_b32 v7, v23, v4
	s_wait_dscnt 0x0
	v_min_i32_e32 v4, v7, v4
	ds_bpermute_b32 v7, v24, v4
	s_wait_dscnt 0x0
	v_min_i32_e32 v4, v7, v4
	;; [unrolled: 3-line block ×5, first 2 shown]
	ds_bpermute_b32 v34, v31, v4
	s_wait_dscnt 0x0
	v_cmp_le_i32_e32 vcc_lo, s5, v34
	s_or_b32 s14, vcc_lo, s14
	s_delay_alu instid0(SALU_CYCLE_1)
	s_and_not1_b32 exec_lo, exec_lo, s14
	s_cbranch_execz .LBB25_29
.LBB25_10:                              ; =>This Loop Header: Depth=1
                                        ;     Child Loop BB25_13 Depth 2
	v_dual_add_nc_u32 v3, v6, v0 :: v_dual_mov_b32 v33, s5
	v_mov_b32_e32 v19, v21
	s_mov_b32 s21, exec_lo
	ds_store_b8 v20, v5 offset:2048
	ds_store_2addr_b32 v29, v5, v5 offset1:32
	s_wait_dscnt 0x0
	v_cmpx_lt_i32_e64 v3, v21
	s_cbranch_execz .LBB25_18
; %bb.11:                               ;   in Loop: Header=BB25_10 Depth=1
	v_dual_ashrrev_i32 v7, 31, v6 :: v_dual_mov_b32 v33, s5
	v_mul_lo_u32 v18, v34, s7
	v_mov_b32_e32 v19, v21
	s_mov_b32 s22, 0
	s_delay_alu instid0(VALU_DEP_3) | instskip(NEXT) | instid1(VALU_DEP_1)
	v_add_nc_u64_e32 v[6:7], v[0:1], v[6:7]
	v_lshlrev_b64_e32 v[16:17], 2, v[6:7]
	s_delay_alu instid0(VALU_DEP_1)
	v_add_nc_u64_e32 v[6:7], s[10:11], v[16:17]
	v_add_nc_u64_e32 v[16:17], s[8:9], v[16:17]
	s_branch .LBB25_13
.LBB25_12:                              ;   in Loop: Header=BB25_13 Depth=2
	s_wait_xcnt 0x0
	s_or_b32 exec_lo, exec_lo, s0
	v_add_nc_u32_e32 v3, 32, v3
	s_xor_b32 s23, vcc_lo, -1
	v_add_nc_u64_e32 v[6:7], 0x80, v[6:7]
	v_add_nc_u64_e32 v[16:17], 0x80, v[16:17]
	s_delay_alu instid0(VALU_DEP_3) | instskip(SKIP_1) | instid1(SALU_CYCLE_1)
	v_cmp_ge_i32_e64 s0, v3, v21
	s_or_b32 s0, s23, s0
	s_and_b32 s0, exec_lo, s0
	s_delay_alu instid0(SALU_CYCLE_1) | instskip(NEXT) | instid1(SALU_CYCLE_1)
	s_or_b32 s22, s0, s22
	s_and_not1_b32 exec_lo, exec_lo, s22
	s_cbranch_execz .LBB25_17
.LBB25_13:                              ;   Parent Loop BB25_10 Depth=1
                                        ; =>  This Inner Loop Header: Depth=2
	global_load_b32 v4, v[6:7], off
	s_wait_loadcnt 0x0
	v_subrev_nc_u32_e32 v35, s18, v4
	s_delay_alu instid0(VALU_DEP_1) | instskip(NEXT) | instid1(VALU_DEP_1)
	v_sub_nc_u32_e32 v4, 0, v35
	v_max_i32_e32 v4, v35, v4
	s_delay_alu instid0(VALU_DEP_1) | instskip(NEXT) | instid1(VALU_DEP_1)
	v_mul_u64_e32 v[36:37], s[12:13], v[4:5]
	v_mul_lo_u32 v36, v37, s20
	s_delay_alu instid0(VALU_DEP_1) | instskip(NEXT) | instid1(VALU_DEP_1)
	v_dual_sub_nc_u32 v4, v4, v36 :: v_dual_add_nc_u32 v36, 1, v37
	v_cmp_le_u32_e32 vcc_lo, s20, v4
	s_delay_alu instid0(VALU_DEP_2) | instskip(SKIP_1) | instid1(VALU_DEP_1)
	v_cndmask_b32_e32 v36, v37, v36, vcc_lo
	v_subrev_nc_u32_e32 v38, s20, v4
	v_dual_cndmask_b32 v4, v4, v38 :: v_dual_ashrrev_i32 v37, 31, v35
	s_delay_alu instid0(VALU_DEP_3) | instskip(NEXT) | instid1(VALU_DEP_2)
	v_add_nc_u32_e32 v38, 1, v36
	v_cmp_le_u32_e32 vcc_lo, s20, v4
	s_delay_alu instid0(VALU_DEP_2) | instskip(NEXT) | instid1(VALU_DEP_1)
	v_dual_cndmask_b32 v4, v36, v38, vcc_lo :: v_dual_bitop2_b32 v37, s15, v37 bitop3:0x14
	v_xor_b32_e32 v4, v4, v37
	s_delay_alu instid0(VALU_DEP_1) | instskip(NEXT) | instid1(VALU_DEP_1)
	v_dual_sub_nc_u32 v36, v4, v37 :: v_dual_mov_b32 v4, v19
	v_cmp_ne_u32_e64 s0, v36, v34
	v_cmp_eq_u32_e32 vcc_lo, v36, v34
	s_wait_xcnt 0x0
	s_and_saveexec_b32 s23, s0
	s_delay_alu instid0(SALU_CYCLE_1)
	s_xor_b32 s0, exec_lo, s23
; %bb.14:                               ;   in Loop: Header=BB25_13 Depth=2
	v_min_i32_e32 v33, v36, v33
                                        ; implicit-def: $vgpr35
                                        ; implicit-def: $vgpr4
; %bb.15:                               ;   in Loop: Header=BB25_13 Depth=2
	s_or_saveexec_b32 s0, s0
	v_mov_b32_e32 v19, v3
	s_xor_b32 exec_lo, exec_lo, s0
	s_cbranch_execz .LBB25_12
; %bb.16:                               ;   in Loop: Header=BB25_13 Depth=2
	global_load_b32 v36, v[16:17], off
	v_sub_nc_u32_e32 v19, v35, v18
	s_delay_alu instid0(VALU_DEP_1)
	v_lshl_add_u32 v35, v19, 2, v22
	v_mov_b32_e32 v19, v4
	ds_store_b8 v20, v32 offset:2048
	s_wait_loadcnt 0x0
	ds_store_b32 v35, v36
	s_branch .LBB25_12
.LBB25_17:                              ;   in Loop: Header=BB25_10 Depth=1
	s_or_b32 exec_lo, exec_lo, s22
.LBB25_18:                              ;   in Loop: Header=BB25_10 Depth=1
	s_delay_alu instid0(SALU_CYCLE_1)
	s_or_b32 exec_lo, exec_lo, s21
	ds_bpermute_b32 v3, v23, v19
	s_wait_dscnt 0x0
	ds_load_u8 v7, v20 offset:2048
	v_min_i32_e32 v3, v3, v19
	ds_bpermute_b32 v4, v24, v3
	s_wait_dscnt 0x0
	v_min_i32_e32 v3, v4, v3
	ds_bpermute_b32 v4, v25, v3
	s_wait_dscnt 0x0
	;; [unrolled: 3-line block ×4, first 2 shown]
	v_min_i32_e32 v3, v4, v3
	ds_bpermute_b32 v6, v28, v3
	v_and_b32_e32 v3, 1, v7
	s_delay_alu instid0(VALU_DEP_1)
	v_cmp_eq_u32_e32 vcc_lo, 1, v3
	v_mov_b32_e32 v3, 0
	s_and_saveexec_b32 s0, vcc_lo
	s_cbranch_execz .LBB25_9
; %bb.19:                               ;   in Loop: Header=BB25_10 Depth=1
	v_ashrrev_i32_e32 v3, 31, v2
	s_delay_alu instid0(VALU_DEP_1) | instskip(SKIP_3) | instid1(VALU_DEP_1)
	v_mul_u64_e32 v[16:17], s[16:17], v[2:3]
	v_add_nc_u32_e32 v3, s19, v34
	global_store_b32 v2, v3, s[2:3] scale_offset
	v_lshlrev_b64_e32 v[16:17], 2, v[16:17]
	v_add_nc_u64_e32 v[18:19], v[8:9], v[16:17]
	v_add_nc_u64_e32 v[16:17], v[12:13], v[16:17]
	s_wait_xcnt 0x0
	s_and_saveexec_b32 s21, s6
	s_cbranch_execz .LBB25_23
; %bb.20:                               ;   in Loop: Header=BB25_10 Depth=1
	ds_load_b32 v3, v29
	s_and_b32 vcc_lo, exec_lo, s4
	s_cbranch_vccz .LBB25_26
; %bb.21:                               ;   in Loop: Header=BB25_10 Depth=1
	v_lshl_add_u64 v[34:35], v[10:11], 2, v[18:19]
	s_wait_dscnt 0x0
	global_store_b32 v[34:35], v3, off
	s_cbranch_execnz .LBB25_23
.LBB25_22:                              ;   in Loop: Header=BB25_10 Depth=1
	s_wait_dscnt 0x0
	global_store_b32 v[16:17], v3, off
.LBB25_23:                              ;   in Loop: Header=BB25_10 Depth=1
	s_wait_xcnt 0x0
	s_or_b32 exec_lo, exec_lo, s21
	s_and_saveexec_b32 s21, s1
	s_cbranch_execz .LBB25_8
; %bb.24:                               ;   in Loop: Header=BB25_10 Depth=1
	s_and_not1_b32 vcc_lo, exec_lo, s4
	s_cbranch_vccnz .LBB25_27
; %bb.25:                               ;   in Loop: Header=BB25_10 Depth=1
	s_wait_dscnt 0x0
	ds_load_b32 v3, v29 offset:128
	v_lshl_add_u64 v[18:19], v[14:15], 2, v[18:19]
	s_wait_dscnt 0x0
	global_store_b32 v[18:19], v3, off
	s_cbranch_execnz .LBB25_8
	s_branch .LBB25_28
.LBB25_26:                              ;   in Loop: Header=BB25_10 Depth=1
	s_branch .LBB25_22
.LBB25_27:                              ;   in Loop: Header=BB25_10 Depth=1
.LBB25_28:                              ;   in Loop: Header=BB25_10 Depth=1
	s_wait_dscnt 0x0
	s_wait_xcnt 0x0
	ds_load_b32 v3, v29 offset:128
	s_wait_dscnt 0x0
	global_store_b32 v[16:17], v3, off offset:128
	s_branch .LBB25_8
.LBB25_29:
	s_endpgm
	.section	.rodata,"a",@progbits
	.p2align	6, 0x0
	.amdhsa_kernel _ZN9rocsparseL44csr2gebsr_wavefront_per_row_multipass_kernelILi256ELi2ELi64ELi64EfEEv20rocsparse_direction_iiiiii21rocsparse_index_base_PKT3_PKiS7_S2_PS3_PiS9_
		.amdhsa_group_segment_fixed_size 2052
		.amdhsa_private_segment_fixed_size 0
		.amdhsa_kernarg_size 88
		.amdhsa_user_sgpr_count 2
		.amdhsa_user_sgpr_dispatch_ptr 0
		.amdhsa_user_sgpr_queue_ptr 0
		.amdhsa_user_sgpr_kernarg_segment_ptr 1
		.amdhsa_user_sgpr_dispatch_id 0
		.amdhsa_user_sgpr_kernarg_preload_length 0
		.amdhsa_user_sgpr_kernarg_preload_offset 0
		.amdhsa_user_sgpr_private_segment_size 0
		.amdhsa_wavefront_size32 1
		.amdhsa_uses_dynamic_stack 0
		.amdhsa_enable_private_segment 0
		.amdhsa_system_sgpr_workgroup_id_x 1
		.amdhsa_system_sgpr_workgroup_id_y 0
		.amdhsa_system_sgpr_workgroup_id_z 0
		.amdhsa_system_sgpr_workgroup_info 0
		.amdhsa_system_vgpr_workitem_id 0
		.amdhsa_next_free_vgpr 39
		.amdhsa_next_free_sgpr 24
		.amdhsa_named_barrier_count 0
		.amdhsa_reserve_vcc 1
		.amdhsa_float_round_mode_32 0
		.amdhsa_float_round_mode_16_64 0
		.amdhsa_float_denorm_mode_32 3
		.amdhsa_float_denorm_mode_16_64 3
		.amdhsa_fp16_overflow 0
		.amdhsa_memory_ordered 1
		.amdhsa_forward_progress 1
		.amdhsa_inst_pref_size 13
		.amdhsa_round_robin_scheduling 0
		.amdhsa_exception_fp_ieee_invalid_op 0
		.amdhsa_exception_fp_denorm_src 0
		.amdhsa_exception_fp_ieee_div_zero 0
		.amdhsa_exception_fp_ieee_overflow 0
		.amdhsa_exception_fp_ieee_underflow 0
		.amdhsa_exception_fp_ieee_inexact 0
		.amdhsa_exception_int_div_zero 0
	.end_amdhsa_kernel
	.section	.text._ZN9rocsparseL44csr2gebsr_wavefront_per_row_multipass_kernelILi256ELi2ELi64ELi64EfEEv20rocsparse_direction_iiiiii21rocsparse_index_base_PKT3_PKiS7_S2_PS3_PiS9_,"axG",@progbits,_ZN9rocsparseL44csr2gebsr_wavefront_per_row_multipass_kernelILi256ELi2ELi64ELi64EfEEv20rocsparse_direction_iiiiii21rocsparse_index_base_PKT3_PKiS7_S2_PS3_PiS9_,comdat
.Lfunc_end25:
	.size	_ZN9rocsparseL44csr2gebsr_wavefront_per_row_multipass_kernelILi256ELi2ELi64ELi64EfEEv20rocsparse_direction_iiiiii21rocsparse_index_base_PKT3_PKiS7_S2_PS3_PiS9_, .Lfunc_end25-_ZN9rocsparseL44csr2gebsr_wavefront_per_row_multipass_kernelILi256ELi2ELi64ELi64EfEEv20rocsparse_direction_iiiiii21rocsparse_index_base_PKT3_PKiS7_S2_PS3_PiS9_
                                        ; -- End function
	.set _ZN9rocsparseL44csr2gebsr_wavefront_per_row_multipass_kernelILi256ELi2ELi64ELi64EfEEv20rocsparse_direction_iiiiii21rocsparse_index_base_PKT3_PKiS7_S2_PS3_PiS9_.num_vgpr, 39
	.set _ZN9rocsparseL44csr2gebsr_wavefront_per_row_multipass_kernelILi256ELi2ELi64ELi64EfEEv20rocsparse_direction_iiiiii21rocsparse_index_base_PKT3_PKiS7_S2_PS3_PiS9_.num_agpr, 0
	.set _ZN9rocsparseL44csr2gebsr_wavefront_per_row_multipass_kernelILi256ELi2ELi64ELi64EfEEv20rocsparse_direction_iiiiii21rocsparse_index_base_PKT3_PKiS7_S2_PS3_PiS9_.numbered_sgpr, 24
	.set _ZN9rocsparseL44csr2gebsr_wavefront_per_row_multipass_kernelILi256ELi2ELi64ELi64EfEEv20rocsparse_direction_iiiiii21rocsparse_index_base_PKT3_PKiS7_S2_PS3_PiS9_.num_named_barrier, 0
	.set _ZN9rocsparseL44csr2gebsr_wavefront_per_row_multipass_kernelILi256ELi2ELi64ELi64EfEEv20rocsparse_direction_iiiiii21rocsparse_index_base_PKT3_PKiS7_S2_PS3_PiS9_.private_seg_size, 0
	.set _ZN9rocsparseL44csr2gebsr_wavefront_per_row_multipass_kernelILi256ELi2ELi64ELi64EfEEv20rocsparse_direction_iiiiii21rocsparse_index_base_PKT3_PKiS7_S2_PS3_PiS9_.uses_vcc, 1
	.set _ZN9rocsparseL44csr2gebsr_wavefront_per_row_multipass_kernelILi256ELi2ELi64ELi64EfEEv20rocsparse_direction_iiiiii21rocsparse_index_base_PKT3_PKiS7_S2_PS3_PiS9_.uses_flat_scratch, 0
	.set _ZN9rocsparseL44csr2gebsr_wavefront_per_row_multipass_kernelILi256ELi2ELi64ELi64EfEEv20rocsparse_direction_iiiiii21rocsparse_index_base_PKT3_PKiS7_S2_PS3_PiS9_.has_dyn_sized_stack, 0
	.set _ZN9rocsparseL44csr2gebsr_wavefront_per_row_multipass_kernelILi256ELi2ELi64ELi64EfEEv20rocsparse_direction_iiiiii21rocsparse_index_base_PKT3_PKiS7_S2_PS3_PiS9_.has_recursion, 0
	.set _ZN9rocsparseL44csr2gebsr_wavefront_per_row_multipass_kernelILi256ELi2ELi64ELi64EfEEv20rocsparse_direction_iiiiii21rocsparse_index_base_PKT3_PKiS7_S2_PS3_PiS9_.has_indirect_call, 0
	.section	.AMDGPU.csdata,"",@progbits
; Kernel info:
; codeLenInByte = 1664
; TotalNumSgprs: 26
; NumVgprs: 39
; ScratchSize: 0
; MemoryBound: 0
; FloatMode: 240
; IeeeMode: 1
; LDSByteSize: 2052 bytes/workgroup (compile time only)
; SGPRBlocks: 0
; VGPRBlocks: 2
; NumSGPRsForWavesPerEU: 26
; NumVGPRsForWavesPerEU: 39
; NamedBarCnt: 0
; Occupancy: 16
; WaveLimiterHint : 0
; COMPUTE_PGM_RSRC2:SCRATCH_EN: 0
; COMPUTE_PGM_RSRC2:USER_SGPR: 2
; COMPUTE_PGM_RSRC2:TRAP_HANDLER: 0
; COMPUTE_PGM_RSRC2:TGID_X_EN: 1
; COMPUTE_PGM_RSRC2:TGID_Y_EN: 0
; COMPUTE_PGM_RSRC2:TGID_Z_EN: 0
; COMPUTE_PGM_RSRC2:TIDIG_COMP_CNT: 0
	.section	.text._ZN9rocsparseL44csr2gebsr_wavefront_per_row_multipass_kernelILi256ELi2ELi64ELi32EfEEv20rocsparse_direction_iiiiii21rocsparse_index_base_PKT3_PKiS7_S2_PS3_PiS9_,"axG",@progbits,_ZN9rocsparseL44csr2gebsr_wavefront_per_row_multipass_kernelILi256ELi2ELi64ELi32EfEEv20rocsparse_direction_iiiiii21rocsparse_index_base_PKT3_PKiS7_S2_PS3_PiS9_,comdat
	.globl	_ZN9rocsparseL44csr2gebsr_wavefront_per_row_multipass_kernelILi256ELi2ELi64ELi32EfEEv20rocsparse_direction_iiiiii21rocsparse_index_base_PKT3_PKiS7_S2_PS3_PiS9_ ; -- Begin function _ZN9rocsparseL44csr2gebsr_wavefront_per_row_multipass_kernelILi256ELi2ELi64ELi32EfEEv20rocsparse_direction_iiiiii21rocsparse_index_base_PKT3_PKiS7_S2_PS3_PiS9_
	.p2align	8
	.type	_ZN9rocsparseL44csr2gebsr_wavefront_per_row_multipass_kernelILi256ELi2ELi64ELi32EfEEv20rocsparse_direction_iiiiii21rocsparse_index_base_PKT3_PKiS7_S2_PS3_PiS9_,@function
_ZN9rocsparseL44csr2gebsr_wavefront_per_row_multipass_kernelILi256ELi2ELi64ELi32EfEEv20rocsparse_direction_iiiiii21rocsparse_index_base_PKT3_PKiS7_S2_PS3_PiS9_: ; @_ZN9rocsparseL44csr2gebsr_wavefront_per_row_multipass_kernelILi256ELi2ELi64ELi32EfEEv20rocsparse_direction_iiiiii21rocsparse_index_base_PKT3_PKiS7_S2_PS3_PiS9_
; %bb.0:
	s_clause 0x1
	s_load_b128 s[4:7], s[0:1], 0xc
	s_load_b64 s[14:15], s[0:1], 0x0
	s_bfe_u32 s2, ttmp6, 0x4000c
	s_and_b32 s3, ttmp6, 15
	s_add_co_i32 s2, s2, 1
	s_getreg_b32 s8, hwreg(HW_REG_IB_STS2, 6, 4)
	s_mul_i32 s2, ttmp9, s2
	v_dual_lshrrev_b32 v24, 5, v0 :: v_dual_mov_b32 v2, 0
	s_add_co_i32 s3, s3, s2
	s_cmp_eq_u32 s8, 0
	v_bfe_u32 v1, v0, 4, 1
	s_cselect_b32 s2, ttmp9, s3
	s_clause 0x1
	s_load_b32 s20, s[0:1], 0x1c
	s_load_b64 s[8:9], s[0:1], 0x28
	v_lshl_or_b32 v3, s2, 3, v24
	v_mov_b32_e32 v12, 0
	s_wait_kmcnt 0x0
	s_delay_alu instid0(VALU_DEP_2) | instskip(SKIP_1) | instid1(VALU_DEP_2)
	v_mad_u32 v4, v3, s6, v1
	v_cmp_gt_i32_e32 vcc_lo, s6, v1
	v_cmp_gt_i32_e64 s2, s15, v4
	s_and_b32 s2, vcc_lo, s2
	s_delay_alu instid0(SALU_CYCLE_1)
	s_and_saveexec_b32 s3, s2
	s_cbranch_execz .LBB26_2
; %bb.1:
	global_load_b32 v5, v4, s[8:9] scale_offset
	s_wait_loadcnt 0x0
	v_subrev_nc_u32_e32 v12, s20, v5
.LBB26_2:
	s_or_b32 exec_lo, exec_lo, s3
	v_mov_b32_e32 v25, 0
	s_and_saveexec_b32 s3, s2
	s_cbranch_execz .LBB26_4
; %bb.3:
	global_load_b32 v4, v4, s[8:9] offset:4 scale_offset
	s_wait_loadcnt 0x0
	v_subrev_nc_u32_e32 v25, s20, v4
.LBB26_4:
	s_or_b32 exec_lo, exec_lo, s3
	s_load_b32 s21, s[0:1], 0x38
	s_mov_b32 s3, exec_lo
	v_cmpx_gt_i32_e64 s4, v3
	s_cbranch_execz .LBB26_6
; %bb.5:
	s_load_b64 s[8:9], s[0:1], 0x48
	s_wait_kmcnt 0x0
	global_load_b32 v2, v3, s[8:9] scale_offset
	s_wait_loadcnt 0x0
	v_subrev_nc_u32_e32 v2, s21, v2
.LBB26_6:
	s_or_b32 exec_lo, exec_lo, s3
	s_cmp_lt_i32 s5, 1
	s_cbranch_scc1 .LBB26_39
; %bb.7:
	v_mbcnt_lo_u32_b32 v3, -1, 0
	s_clause 0x3
	s_load_b64 s[8:9], s[0:1], 0x50
	s_load_b64 s[2:3], s[0:1], 0x40
	;; [unrolled: 1-line block ×4, first 2 shown]
	s_cmp_lg_u32 s14, 0
	s_mov_b32 s15, 0
	s_cselect_b32 s4, -1, 0
	v_dual_lshlrev_b32 v5, 8, v1 :: v_dual_bitop2_b32 v4, 8, v3 bitop3:0x14
	s_mov_b32 s14, s6
	s_ashr_i32 s17, s7, 31
	s_mov_b32 s16, s7
	s_wait_xcnt 0x0
	v_cmp_gt_i32_e64 s0, 32, v4
	v_lshl_or_b32 v26, v24, 9, v5
	s_mul_u64 s[18:19], s[16:17], s[14:15]
	s_abs_i32 s16, s7
	v_lshl_or_b32 v31, v3, 2, 60
	v_dual_cndmask_b32 v4, v3, v4, s0 :: v_dual_bitop2_b32 v6, 4, v3 bitop3:0x14
	v_xor_b32_e32 v5, 2, v3
	s_cvt_f32_u32 s1, s16
	s_delay_alu instid0(VALU_DEP_2) | instskip(NEXT) | instid1(VALU_DEP_3)
	v_dual_mov_b32 v37, 0 :: v_dual_lshlrev_b32 v27, 2, v4
	v_cmp_gt_i32_e64 s0, 32, v6
	v_and_b32_e32 v0, 15, v0
	s_mov_b32 s22, s15
	v_dual_mov_b32 v35, 1 :: v_dual_cndmask_b32 v4, v3, v6, s0
	v_cmp_gt_i32_e64 s0, 32, v5
	v_xor_b32_e32 v7, 1, v3
	v_mul_lo_u32 v6, s7, v1
	v_lshlrev_b32_e32 v8, 2, v0
	s_delay_alu instid0(VALU_DEP_4) | instskip(NEXT) | instid1(VALU_DEP_4)
	v_dual_lshlrev_b32 v28, 2, v4 :: v_dual_cndmask_b32 v5, v3, v5, s0
	v_cmp_gt_i32_e64 s0, 32, v7
	v_dual_lshlrev_b32 v4, 2, v1 :: v_dual_bitop2_b32 v1, 16, v3 bitop3:0x14
	s_delay_alu instid0(VALU_DEP_3) | instskip(NEXT) | instid1(VALU_DEP_3)
	v_dual_lshlrev_b32 v29, 2, v5 :: v_dual_bitop2_b32 v32, v26, v8 bitop3:0x54
	v_dual_cndmask_b32 v7, v3, v7, s0 :: v_dual_mov_b32 v5, 0
	s_delay_alu instid0(VALU_DEP_3) | instskip(SKIP_1) | instid1(VALU_DEP_3)
	v_cmp_gt_i32_e64 s0, 32, v1
	v_mov_b32_e32 v34, 0x7c
	v_dual_lshlrev_b32 v30, 2, v7 :: v_dual_ashrrev_i32 v7, 31, v6
	s_delay_alu instid0(VALU_DEP_3)
	v_dual_mov_b32 v9, v5 :: v_dual_cndmask_b32 v3, v3, v1, s0
	v_mov_b32_e32 v1, v5
	v_cmp_gt_u32_e64 s0, s7, v0
	s_wait_kmcnt 0x0
	v_lshl_add_u64 v[10:11], v[6:7], 2, s[2:3]
	v_add_nc_u64_e32 v[6:7], s[2:3], v[4:5]
	v_rcp_iflag_f32_e32 v4, s1
	v_dual_lshlrev_b32 v33, 2, v3 :: v_dual_mov_b32 v19, v5
	s_delay_alu instid0(VALU_DEP_3) | instskip(SKIP_3) | instid1(TRANS32_DEP_1)
	v_add_nc_u64_e32 v[8:9], v[10:11], v[8:9]
	v_mul_lo_u32 v10, v0, s6
	s_lshl_b32 s6, s6, 4
	v_or_b32_e32 v3, 16, v0
	v_readfirstlane_b32 s3, v4
	v_dual_mov_b32 v11, v5 :: v_dual_mov_b32 v15, v5
	s_mul_f32 s14, s3, 0x4f7ffffe
	v_dual_add_nc_u32 v14, s6, v10 :: v_dual_bitop2_b32 v4, 48, v0 bitop3:0x54
	v_cmp_gt_u32_e64 s1, s7, v3
	v_or_b32_e32 v3, 32, v0
	s_cvt_u32_f32 s14, s14
	v_dual_mov_b32 v17, v5 :: v_dual_add_nc_u32 v16, s6, v14
	v_cmp_gt_u32_e64 s3, s7, v4
	s_delay_alu instid0(VALU_DEP_3)
	v_cmp_gt_u32_e64 s2, s7, v3
	s_and_b32 s1, vcc_lo, s1
	v_add_nc_u32_e32 v18, s6, v16
	s_and_b32 s6, s0, vcc_lo
	s_sub_co_i32 s0, 0, s16
	s_and_b32 s2, vcc_lo, s2
	s_mul_i32 s0, s0, s14
	s_and_b32 s3, vcc_lo, s3
	s_mul_hi_u32 s0, s14, s0
	s_delay_alu instid0(SALU_CYCLE_1)
	s_add_co_i32 s14, s14, s0
	s_branch .LBB26_10
.LBB26_8:                               ;   in Loop: Header=BB26_10 Depth=1
	s_wait_xcnt 0x0
	s_or_b32 exec_lo, exec_lo, s23
	s_wait_dscnt 0x0
	v_mov_b32_e32 v3, 1
.LBB26_9:                               ;   in Loop: Header=BB26_10 Depth=1
	s_or_b32 exec_lo, exec_lo, s0
	ds_bpermute_b32 v4, v33, v36
	s_wait_storecnt_dscnt 0x0
	v_dual_add_nc_u32 v2, v3, v2 :: v_dual_min_i32 v4, v4, v36
	ds_bpermute_b32 v13, v27, v4
	s_wait_dscnt 0x0
	v_min_i32_e32 v4, v13, v4
	ds_bpermute_b32 v13, v28, v4
	s_wait_dscnt 0x0
	v_min_i32_e32 v4, v13, v4
	;; [unrolled: 3-line block ×4, first 2 shown]
	ds_bpermute_b32 v37, v34, v4
	s_wait_dscnt 0x0
	v_cmp_le_i32_e32 vcc_lo, s5, v37
	s_or_b32 s22, vcc_lo, s22
	s_delay_alu instid0(SALU_CYCLE_1)
	s_and_not1_b32 exec_lo, exec_lo, s22
	s_cbranch_execz .LBB26_39
.LBB26_10:                              ; =>This Loop Header: Depth=1
                                        ;     Child Loop BB26_13 Depth 2
	v_dual_mov_b32 v36, s5 :: v_dual_add_nc_u32 v3, v12, v0
	v_mov_b32_e32 v23, v25
	s_mov_b32 s23, exec_lo
	ds_store_b8 v24, v5 offset:4096
	ds_store_2addr_b32 v32, v5, v5 offset1:16
	ds_store_2addr_b32 v32, v5, v5 offset0:32 offset1:48
	s_wait_dscnt 0x0
	v_cmpx_lt_i32_e64 v3, v25
	s_cbranch_execz .LBB26_18
; %bb.11:                               ;   in Loop: Header=BB26_10 Depth=1
	v_dual_mov_b32 v36, s5 :: v_dual_ashrrev_i32 v13, 31, v12
	v_mul_lo_u32 v22, v37, s7
	v_mov_b32_e32 v23, v25
	s_mov_b32 s24, 0
	s_delay_alu instid0(VALU_DEP_3) | instskip(NEXT) | instid1(VALU_DEP_1)
	v_add_nc_u64_e32 v[12:13], v[0:1], v[12:13]
	v_lshlrev_b64_e32 v[20:21], 2, v[12:13]
	s_delay_alu instid0(VALU_DEP_1)
	v_add_nc_u64_e32 v[12:13], s[12:13], v[20:21]
	v_add_nc_u64_e32 v[20:21], s[10:11], v[20:21]
	s_branch .LBB26_13
.LBB26_12:                              ;   in Loop: Header=BB26_13 Depth=2
	s_wait_xcnt 0x0
	s_or_b32 exec_lo, exec_lo, s0
	v_add_nc_u32_e32 v3, 16, v3
	s_xor_b32 s25, vcc_lo, -1
	v_add_nc_u64_e32 v[12:13], 64, v[12:13]
	v_add_nc_u64_e32 v[20:21], 64, v[20:21]
	s_delay_alu instid0(VALU_DEP_3) | instskip(SKIP_1) | instid1(SALU_CYCLE_1)
	v_cmp_ge_i32_e64 s0, v3, v25
	s_or_b32 s0, s25, s0
	s_and_b32 s0, exec_lo, s0
	s_delay_alu instid0(SALU_CYCLE_1) | instskip(NEXT) | instid1(SALU_CYCLE_1)
	s_or_b32 s24, s0, s24
	s_and_not1_b32 exec_lo, exec_lo, s24
	s_cbranch_execz .LBB26_17
.LBB26_13:                              ;   Parent Loop BB26_10 Depth=1
                                        ; =>  This Inner Loop Header: Depth=2
	global_load_b32 v4, v[12:13], off
	s_wait_loadcnt 0x0
	v_subrev_nc_u32_e32 v38, s20, v4
	s_delay_alu instid0(VALU_DEP_1) | instskip(NEXT) | instid1(VALU_DEP_1)
	v_sub_nc_u32_e32 v4, 0, v38
	v_max_i32_e32 v4, v38, v4
	s_delay_alu instid0(VALU_DEP_1) | instskip(NEXT) | instid1(VALU_DEP_1)
	v_mul_u64_e32 v[40:41], s[14:15], v[4:5]
	v_mul_lo_u32 v39, v41, s16
	s_delay_alu instid0(VALU_DEP_1) | instskip(NEXT) | instid1(VALU_DEP_1)
	v_dual_sub_nc_u32 v4, v4, v39 :: v_dual_add_nc_u32 v39, 1, v41
	v_cmp_le_u32_e32 vcc_lo, s16, v4
	s_delay_alu instid0(VALU_DEP_2) | instskip(SKIP_1) | instid1(VALU_DEP_1)
	v_dual_cndmask_b32 v39, v41, v39, vcc_lo :: v_dual_ashrrev_i32 v41, 31, v38
	v_subrev_nc_u32_e32 v40, s16, v4
	v_dual_cndmask_b32 v4, v4, v40, vcc_lo :: v_dual_add_nc_u32 v40, 1, v39
	s_delay_alu instid0(VALU_DEP_1) | instskip(NEXT) | instid1(VALU_DEP_2)
	v_cmp_le_u32_e32 vcc_lo, s16, v4
	v_dual_cndmask_b32 v4, v39, v40, vcc_lo :: v_dual_bitop2_b32 v41, s17, v41 bitop3:0x14
	s_delay_alu instid0(VALU_DEP_1) | instskip(NEXT) | instid1(VALU_DEP_1)
	v_xor_b32_e32 v4, v4, v41
	v_dual_mov_b32 v4, v23 :: v_dual_sub_nc_u32 v39, v4, v41
	s_delay_alu instid0(VALU_DEP_1) | instskip(SKIP_3) | instid1(SALU_CYCLE_1)
	v_cmp_ne_u32_e64 s0, v39, v37
	v_cmp_eq_u32_e32 vcc_lo, v39, v37
	s_wait_xcnt 0x0
	s_and_saveexec_b32 s25, s0
	s_xor_b32 s0, exec_lo, s25
; %bb.14:                               ;   in Loop: Header=BB26_13 Depth=2
	v_min_i32_e32 v36, v39, v36
                                        ; implicit-def: $vgpr38
                                        ; implicit-def: $vgpr4
; %bb.15:                               ;   in Loop: Header=BB26_13 Depth=2
	s_or_saveexec_b32 s0, s0
	v_mov_b32_e32 v23, v3
	s_xor_b32 exec_lo, exec_lo, s0
	s_cbranch_execz .LBB26_12
; %bb.16:                               ;   in Loop: Header=BB26_13 Depth=2
	global_load_b32 v39, v[20:21], off
	v_sub_nc_u32_e32 v23, v38, v22
	s_delay_alu instid0(VALU_DEP_1)
	v_lshl_add_u32 v38, v23, 2, v26
	v_mov_b32_e32 v23, v4
	ds_store_b8 v24, v35 offset:4096
	s_wait_loadcnt 0x0
	ds_store_b32 v38, v39
	s_branch .LBB26_12
.LBB26_17:                              ;   in Loop: Header=BB26_10 Depth=1
	s_or_b32 exec_lo, exec_lo, s24
.LBB26_18:                              ;   in Loop: Header=BB26_10 Depth=1
	s_delay_alu instid0(SALU_CYCLE_1)
	s_or_b32 exec_lo, exec_lo, s23
	ds_bpermute_b32 v3, v27, v23
	s_wait_dscnt 0x0
	ds_load_u8 v13, v24 offset:4096
	v_min_i32_e32 v3, v3, v23
	ds_bpermute_b32 v4, v28, v3
	s_wait_dscnt 0x0
	v_min_i32_e32 v3, v4, v3
	ds_bpermute_b32 v4, v29, v3
	s_wait_dscnt 0x0
	;; [unrolled: 3-line block ×3, first 2 shown]
	v_min_i32_e32 v3, v4, v3
	ds_bpermute_b32 v12, v31, v3
	v_and_b32_e32 v3, 1, v13
	s_delay_alu instid0(VALU_DEP_1)
	v_cmp_eq_u32_e32 vcc_lo, 1, v3
	v_mov_b32_e32 v3, 0
	s_and_saveexec_b32 s0, vcc_lo
	s_cbranch_execz .LBB26_9
; %bb.19:                               ;   in Loop: Header=BB26_10 Depth=1
	v_ashrrev_i32_e32 v3, 31, v2
	s_delay_alu instid0(VALU_DEP_1) | instskip(SKIP_3) | instid1(VALU_DEP_1)
	v_mul_u64_e32 v[20:21], s[18:19], v[2:3]
	v_add_nc_u32_e32 v3, s21, v37
	global_store_b32 v2, v3, s[8:9] scale_offset
	v_lshlrev_b64_e32 v[20:21], 2, v[20:21]
	v_add_nc_u64_e32 v[22:23], v[6:7], v[20:21]
	v_add_nc_u64_e32 v[20:21], v[8:9], v[20:21]
	s_wait_xcnt 0x0
	s_and_saveexec_b32 s23, s6
	s_cbranch_execz .LBB26_23
; %bb.20:                               ;   in Loop: Header=BB26_10 Depth=1
	ds_load_b32 v3, v32
	s_and_b32 vcc_lo, exec_lo, s4
	s_cbranch_vccz .LBB26_34
; %bb.21:                               ;   in Loop: Header=BB26_10 Depth=1
	v_lshl_add_u64 v[38:39], v[10:11], 2, v[22:23]
	s_wait_dscnt 0x0
	global_store_b32 v[38:39], v3, off
	s_cbranch_execnz .LBB26_23
.LBB26_22:                              ;   in Loop: Header=BB26_10 Depth=1
	s_wait_dscnt 0x0
	global_store_b32 v[20:21], v3, off
.LBB26_23:                              ;   in Loop: Header=BB26_10 Depth=1
	s_wait_xcnt 0x0
	s_or_b32 exec_lo, exec_lo, s23
	s_and_saveexec_b32 s23, s1
	s_cbranch_execz .LBB26_27
; %bb.24:                               ;   in Loop: Header=BB26_10 Depth=1
	s_and_not1_b32 vcc_lo, exec_lo, s4
	s_cbranch_vccnz .LBB26_35
; %bb.25:                               ;   in Loop: Header=BB26_10 Depth=1
	s_wait_dscnt 0x0
	ds_load_b32 v3, v32 offset:64
	v_lshl_add_u64 v[38:39], v[14:15], 2, v[22:23]
	s_wait_dscnt 0x0
	global_store_b32 v[38:39], v3, off
	s_cbranch_execnz .LBB26_27
.LBB26_26:                              ;   in Loop: Header=BB26_10 Depth=1
	s_wait_dscnt 0x0
	s_wait_xcnt 0x0
	ds_load_b32 v3, v32 offset:64
	s_wait_dscnt 0x0
	global_store_b32 v[20:21], v3, off offset:64
.LBB26_27:                              ;   in Loop: Header=BB26_10 Depth=1
	s_wait_xcnt 0x0
	s_or_b32 exec_lo, exec_lo, s23
	s_and_saveexec_b32 s23, s2
	s_cbranch_execz .LBB26_31
; %bb.28:                               ;   in Loop: Header=BB26_10 Depth=1
	s_and_not1_b32 vcc_lo, exec_lo, s4
	s_cbranch_vccnz .LBB26_36
; %bb.29:                               ;   in Loop: Header=BB26_10 Depth=1
	s_wait_dscnt 0x0
	ds_load_b32 v3, v32 offset:128
	v_lshl_add_u64 v[38:39], v[16:17], 2, v[22:23]
	s_wait_dscnt 0x0
	global_store_b32 v[38:39], v3, off
	s_cbranch_execnz .LBB26_31
.LBB26_30:                              ;   in Loop: Header=BB26_10 Depth=1
	s_wait_dscnt 0x0
	s_wait_xcnt 0x0
	ds_load_b32 v3, v32 offset:128
	s_wait_dscnt 0x0
	global_store_b32 v[20:21], v3, off offset:128
.LBB26_31:                              ;   in Loop: Header=BB26_10 Depth=1
	s_wait_xcnt 0x0
	s_or_b32 exec_lo, exec_lo, s23
	s_and_saveexec_b32 s23, s3
	s_cbranch_execz .LBB26_8
; %bb.32:                               ;   in Loop: Header=BB26_10 Depth=1
	s_and_not1_b32 vcc_lo, exec_lo, s4
	s_cbranch_vccnz .LBB26_37
; %bb.33:                               ;   in Loop: Header=BB26_10 Depth=1
	s_wait_dscnt 0x0
	ds_load_b32 v3, v32 offset:192
	v_lshl_add_u64 v[22:23], v[18:19], 2, v[22:23]
	s_wait_dscnt 0x0
	global_store_b32 v[22:23], v3, off
	s_cbranch_execnz .LBB26_8
	s_branch .LBB26_38
.LBB26_34:                              ;   in Loop: Header=BB26_10 Depth=1
	s_branch .LBB26_22
.LBB26_35:                              ;   in Loop: Header=BB26_10 Depth=1
	s_branch .LBB26_26
.LBB26_36:                              ;   in Loop: Header=BB26_10 Depth=1
	s_branch .LBB26_30
.LBB26_37:                              ;   in Loop: Header=BB26_10 Depth=1
.LBB26_38:                              ;   in Loop: Header=BB26_10 Depth=1
	s_wait_dscnt 0x0
	s_wait_xcnt 0x0
	ds_load_b32 v3, v32 offset:192
	s_wait_dscnt 0x0
	global_store_b32 v[20:21], v3, off offset:192
	s_branch .LBB26_8
.LBB26_39:
	s_endpgm
	.section	.rodata,"a",@progbits
	.p2align	6, 0x0
	.amdhsa_kernel _ZN9rocsparseL44csr2gebsr_wavefront_per_row_multipass_kernelILi256ELi2ELi64ELi32EfEEv20rocsparse_direction_iiiiii21rocsparse_index_base_PKT3_PKiS7_S2_PS3_PiS9_
		.amdhsa_group_segment_fixed_size 4104
		.amdhsa_private_segment_fixed_size 0
		.amdhsa_kernarg_size 88
		.amdhsa_user_sgpr_count 2
		.amdhsa_user_sgpr_dispatch_ptr 0
		.amdhsa_user_sgpr_queue_ptr 0
		.amdhsa_user_sgpr_kernarg_segment_ptr 1
		.amdhsa_user_sgpr_dispatch_id 0
		.amdhsa_user_sgpr_kernarg_preload_length 0
		.amdhsa_user_sgpr_kernarg_preload_offset 0
		.amdhsa_user_sgpr_private_segment_size 0
		.amdhsa_wavefront_size32 1
		.amdhsa_uses_dynamic_stack 0
		.amdhsa_enable_private_segment 0
		.amdhsa_system_sgpr_workgroup_id_x 1
		.amdhsa_system_sgpr_workgroup_id_y 0
		.amdhsa_system_sgpr_workgroup_id_z 0
		.amdhsa_system_sgpr_workgroup_info 0
		.amdhsa_system_vgpr_workitem_id 0
		.amdhsa_next_free_vgpr 42
		.amdhsa_next_free_sgpr 26
		.amdhsa_named_barrier_count 0
		.amdhsa_reserve_vcc 1
		.amdhsa_float_round_mode_32 0
		.amdhsa_float_round_mode_16_64 0
		.amdhsa_float_denorm_mode_32 3
		.amdhsa_float_denorm_mode_16_64 3
		.amdhsa_fp16_overflow 0
		.amdhsa_memory_ordered 1
		.amdhsa_forward_progress 1
		.amdhsa_inst_pref_size 15
		.amdhsa_round_robin_scheduling 0
		.amdhsa_exception_fp_ieee_invalid_op 0
		.amdhsa_exception_fp_denorm_src 0
		.amdhsa_exception_fp_ieee_div_zero 0
		.amdhsa_exception_fp_ieee_overflow 0
		.amdhsa_exception_fp_ieee_underflow 0
		.amdhsa_exception_fp_ieee_inexact 0
		.amdhsa_exception_int_div_zero 0
	.end_amdhsa_kernel
	.section	.text._ZN9rocsparseL44csr2gebsr_wavefront_per_row_multipass_kernelILi256ELi2ELi64ELi32EfEEv20rocsparse_direction_iiiiii21rocsparse_index_base_PKT3_PKiS7_S2_PS3_PiS9_,"axG",@progbits,_ZN9rocsparseL44csr2gebsr_wavefront_per_row_multipass_kernelILi256ELi2ELi64ELi32EfEEv20rocsparse_direction_iiiiii21rocsparse_index_base_PKT3_PKiS7_S2_PS3_PiS9_,comdat
.Lfunc_end26:
	.size	_ZN9rocsparseL44csr2gebsr_wavefront_per_row_multipass_kernelILi256ELi2ELi64ELi32EfEEv20rocsparse_direction_iiiiii21rocsparse_index_base_PKT3_PKiS7_S2_PS3_PiS9_, .Lfunc_end26-_ZN9rocsparseL44csr2gebsr_wavefront_per_row_multipass_kernelILi256ELi2ELi64ELi32EfEEv20rocsparse_direction_iiiiii21rocsparse_index_base_PKT3_PKiS7_S2_PS3_PiS9_
                                        ; -- End function
	.set _ZN9rocsparseL44csr2gebsr_wavefront_per_row_multipass_kernelILi256ELi2ELi64ELi32EfEEv20rocsparse_direction_iiiiii21rocsparse_index_base_PKT3_PKiS7_S2_PS3_PiS9_.num_vgpr, 42
	.set _ZN9rocsparseL44csr2gebsr_wavefront_per_row_multipass_kernelILi256ELi2ELi64ELi32EfEEv20rocsparse_direction_iiiiii21rocsparse_index_base_PKT3_PKiS7_S2_PS3_PiS9_.num_agpr, 0
	.set _ZN9rocsparseL44csr2gebsr_wavefront_per_row_multipass_kernelILi256ELi2ELi64ELi32EfEEv20rocsparse_direction_iiiiii21rocsparse_index_base_PKT3_PKiS7_S2_PS3_PiS9_.numbered_sgpr, 26
	.set _ZN9rocsparseL44csr2gebsr_wavefront_per_row_multipass_kernelILi256ELi2ELi64ELi32EfEEv20rocsparse_direction_iiiiii21rocsparse_index_base_PKT3_PKiS7_S2_PS3_PiS9_.num_named_barrier, 0
	.set _ZN9rocsparseL44csr2gebsr_wavefront_per_row_multipass_kernelILi256ELi2ELi64ELi32EfEEv20rocsparse_direction_iiiiii21rocsparse_index_base_PKT3_PKiS7_S2_PS3_PiS9_.private_seg_size, 0
	.set _ZN9rocsparseL44csr2gebsr_wavefront_per_row_multipass_kernelILi256ELi2ELi64ELi32EfEEv20rocsparse_direction_iiiiii21rocsparse_index_base_PKT3_PKiS7_S2_PS3_PiS9_.uses_vcc, 1
	.set _ZN9rocsparseL44csr2gebsr_wavefront_per_row_multipass_kernelILi256ELi2ELi64ELi32EfEEv20rocsparse_direction_iiiiii21rocsparse_index_base_PKT3_PKiS7_S2_PS3_PiS9_.uses_flat_scratch, 0
	.set _ZN9rocsparseL44csr2gebsr_wavefront_per_row_multipass_kernelILi256ELi2ELi64ELi32EfEEv20rocsparse_direction_iiiiii21rocsparse_index_base_PKT3_PKiS7_S2_PS3_PiS9_.has_dyn_sized_stack, 0
	.set _ZN9rocsparseL44csr2gebsr_wavefront_per_row_multipass_kernelILi256ELi2ELi64ELi32EfEEv20rocsparse_direction_iiiiii21rocsparse_index_base_PKT3_PKiS7_S2_PS3_PiS9_.has_recursion, 0
	.set _ZN9rocsparseL44csr2gebsr_wavefront_per_row_multipass_kernelILi256ELi2ELi64ELi32EfEEv20rocsparse_direction_iiiiii21rocsparse_index_base_PKT3_PKiS7_S2_PS3_PiS9_.has_indirect_call, 0
	.section	.AMDGPU.csdata,"",@progbits
; Kernel info:
; codeLenInByte = 1876
; TotalNumSgprs: 28
; NumVgprs: 42
; ScratchSize: 0
; MemoryBound: 0
; FloatMode: 240
; IeeeMode: 1
; LDSByteSize: 4104 bytes/workgroup (compile time only)
; SGPRBlocks: 0
; VGPRBlocks: 2
; NumSGPRsForWavesPerEU: 28
; NumVGPRsForWavesPerEU: 42
; NamedBarCnt: 0
; Occupancy: 16
; WaveLimiterHint : 0
; COMPUTE_PGM_RSRC2:SCRATCH_EN: 0
; COMPUTE_PGM_RSRC2:USER_SGPR: 2
; COMPUTE_PGM_RSRC2:TRAP_HANDLER: 0
; COMPUTE_PGM_RSRC2:TGID_X_EN: 1
; COMPUTE_PGM_RSRC2:TGID_Y_EN: 0
; COMPUTE_PGM_RSRC2:TGID_Z_EN: 0
; COMPUTE_PGM_RSRC2:TIDIG_COMP_CNT: 0
	.section	.text._ZN9rocsparseL44csr2gebsr_wavefront_per_row_multipass_kernelILi256ELi4ELi2ELi8EfEEv20rocsparse_direction_iiiiii21rocsparse_index_base_PKT3_PKiS7_S2_PS3_PiS9_,"axG",@progbits,_ZN9rocsparseL44csr2gebsr_wavefront_per_row_multipass_kernelILi256ELi4ELi2ELi8EfEEv20rocsparse_direction_iiiiii21rocsparse_index_base_PKT3_PKiS7_S2_PS3_PiS9_,comdat
	.globl	_ZN9rocsparseL44csr2gebsr_wavefront_per_row_multipass_kernelILi256ELi4ELi2ELi8EfEEv20rocsparse_direction_iiiiii21rocsparse_index_base_PKT3_PKiS7_S2_PS3_PiS9_ ; -- Begin function _ZN9rocsparseL44csr2gebsr_wavefront_per_row_multipass_kernelILi256ELi4ELi2ELi8EfEEv20rocsparse_direction_iiiiii21rocsparse_index_base_PKT3_PKiS7_S2_PS3_PiS9_
	.p2align	8
	.type	_ZN9rocsparseL44csr2gebsr_wavefront_per_row_multipass_kernelILi256ELi4ELi2ELi8EfEEv20rocsparse_direction_iiiiii21rocsparse_index_base_PKT3_PKiS7_S2_PS3_PiS9_,@function
_ZN9rocsparseL44csr2gebsr_wavefront_per_row_multipass_kernelILi256ELi4ELi2ELi8EfEEv20rocsparse_direction_iiiiii21rocsparse_index_base_PKT3_PKiS7_S2_PS3_PiS9_: ; @_ZN9rocsparseL44csr2gebsr_wavefront_per_row_multipass_kernelILi256ELi4ELi2ELi8EfEEv20rocsparse_direction_iiiiii21rocsparse_index_base_PKT3_PKiS7_S2_PS3_PiS9_
; %bb.0:
	s_clause 0x1
	s_load_b128 s[4:7], s[0:1], 0xc
	s_load_b64 s[12:13], s[0:1], 0x0
	s_bfe_u32 s2, ttmp6, 0x4000c
	s_and_b32 s3, ttmp6, 15
	s_add_co_i32 s2, s2, 1
	s_getreg_b32 s8, hwreg(HW_REG_IB_STS2, 6, 4)
	s_mul_i32 s2, ttmp9, s2
	v_dual_lshrrev_b32 v14, 3, v0 :: v_dual_mov_b32 v2, 0
	s_add_co_i32 s3, s3, s2
	s_cmp_eq_u32 s8, 0
	v_bfe_u32 v3, v0, 1, 2
	s_cselect_b32 s2, ttmp9, s3
	s_clause 0x1
	s_load_b32 s16, s[0:1], 0x1c
	s_load_b64 s[8:9], s[0:1], 0x28
	v_lshl_or_b32 v1, s2, 5, v14
	v_mov_b32_e32 v8, 0
	s_wait_kmcnt 0x0
	s_delay_alu instid0(VALU_DEP_2) | instskip(SKIP_1) | instid1(VALU_DEP_2)
	v_mad_u32 v4, v1, s6, v3
	v_cmp_gt_i32_e32 vcc_lo, s6, v3
	v_cmp_gt_i32_e64 s2, s13, v4
	s_and_b32 s2, vcc_lo, s2
	s_delay_alu instid0(SALU_CYCLE_1)
	s_and_saveexec_b32 s3, s2
	s_cbranch_execz .LBB27_2
; %bb.1:
	global_load_b32 v5, v4, s[8:9] scale_offset
	s_wait_loadcnt 0x0
	v_subrev_nc_u32_e32 v8, s16, v5
.LBB27_2:
	s_or_b32 exec_lo, exec_lo, s3
	v_mov_b32_e32 v15, 0
	s_and_saveexec_b32 s3, s2
	s_cbranch_execz .LBB27_4
; %bb.3:
	global_load_b32 v4, v4, s[8:9] offset:4 scale_offset
	s_wait_loadcnt 0x0
	v_subrev_nc_u32_e32 v15, s16, v4
.LBB27_4:
	s_or_b32 exec_lo, exec_lo, s3
	s_load_b32 s17, s[0:1], 0x38
	s_mov_b32 s3, exec_lo
	v_cmpx_gt_i32_e64 s4, v1
	s_cbranch_execz .LBB27_6
; %bb.5:
	s_load_b64 s[8:9], s[0:1], 0x48
	s_wait_kmcnt 0x0
	global_load_b32 v1, v1, s[8:9] scale_offset
	s_wait_loadcnt 0x0
	v_subrev_nc_u32_e32 v2, s17, v1
.LBB27_6:
	s_or_b32 exec_lo, exec_lo, s3
	s_cmp_lt_i32 s5, 1
	s_cbranch_scc1 .LBB27_24
; %bb.7:
	v_mbcnt_lo_u32_b32 v9, -1, 0
	s_clause 0x3
	s_load_b64 s[2:3], s[0:1], 0x50
	s_load_b64 s[14:15], s[0:1], 0x40
	;; [unrolled: 1-line block ×4, first 2 shown]
	v_mul_lo_u32 v12, s7, v3
	s_mov_b32 s13, 0
	v_dual_lshlrev_b32 v5, 3, v3 :: v_dual_bitop2_b32 v1, 1, v9 bitop3:0x14
	v_mov_b32_e32 v23, 1
	s_wait_xcnt 0x0
	s_delay_alu instid0(VALU_DEP_2) | instskip(SKIP_2) | instid1(VALU_DEP_3)
	v_cmp_gt_i32_e64 s0, 32, v1
	v_and_b32_e32 v4, 1, v0
	v_and_b32_e32 v0, 0xf8, v0
	v_dual_ashrrev_i32 v13, 31, v12 :: v_dual_cndmask_b32 v1, v9, v1, s0
	s_delay_alu instid0(VALU_DEP_3) | instskip(NEXT) | instid1(VALU_DEP_3)
	v_cmp_gt_u32_e64 s0, s7, v4
	v_lshl_or_b32 v16, v0, 2, v5
	v_mul_lo_u32 v0, s6, v4
	v_dual_lshlrev_b32 v22, 2, v9 :: v_dual_lshlrev_b32 v10, 2, v4
	s_and_b32 s4, vcc_lo, s0
	v_lshlrev_b32_e32 v17, 2, v1
	s_cmp_lg_u32 s12, 0
	s_delay_alu instid0(VALU_DEP_2)
	v_dual_mov_b32 v1, 0 :: v_dual_bitop2_b32 v19, v16, v10 bitop3:0x54
	s_cselect_b32 s18, -1, 0
	s_abs_i32 s19, s7
	s_mov_b32 s12, s6
	s_cvt_f32_u32 s0, s19
	s_wait_kmcnt 0x0
	v_lshl_add_u64 v[6:7], v[0:1], 2, s[14:15]
	v_dual_mov_b32 v5, v1 :: v_dual_lshlrev_b32 v0, 2, v3
	v_rcp_iflag_f32_e32 v3, s0
	v_lshl_add_u64 v[12:13], v[12:13], 2, s[14:15]
	s_sub_co_i32 s14, 0, s19
	s_delay_alu instid0(VALU_DEP_2) | instskip(SKIP_2) | instid1(TRANS32_DEP_1)
	v_add_nc_u64_e32 v[6:7], v[6:7], v[0:1]
	v_dual_mov_b32 v11, v1 :: v_dual_bitop2_b32 v0, 4, v9 bitop3:0x14
	v_or_b32_e32 v18, 4, v22
	v_readfirstlane_b32 s6, v3
	v_xor_b32_e32 v3, 2, v9
	s_delay_alu instid0(VALU_DEP_4)
	v_cmp_gt_i32_e32 vcc_lo, 32, v0
	v_add_nc_u64_e32 v[10:11], v[12:13], v[10:11]
	v_or_b32_e32 v22, 28, v22
	s_mul_f32 s6, s6, 0x4f7ffffe
	s_ashr_i32 s1, s7, 31
	v_cndmask_b32_e32 v0, v9, v0, vcc_lo
	v_cmp_gt_i32_e32 vcc_lo, 32, v3
	s_cvt_u32_f32 s6, s6
	s_mov_b32 s0, s7
	v_cndmask_b32_e32 v3, v9, v3, vcc_lo
	s_delay_alu instid0(SALU_CYCLE_1)
	s_mul_i32 s14, s14, s6
	v_lshlrev_b32_e32 v20, 2, v0
	s_mul_hi_u32 s20, s6, s14
	s_mul_u64 s[14:15], s[0:1], s[12:13]
	v_dual_lshlrev_b32 v21, 2, v3 :: v_dual_mov_b32 v3, 0
	s_add_co_i32 s12, s6, s20
	s_mov_b32 s6, s13
	s_branch .LBB27_10
.LBB27_8:                               ;   in Loop: Header=BB27_10 Depth=1
	s_wait_xcnt 0x0
	s_or_b32 exec_lo, exec_lo, s20
	s_wait_dscnt 0x0
	v_mov_b32_e32 v0, 1
.LBB27_9:                               ;   in Loop: Header=BB27_10 Depth=1
	s_or_b32 exec_lo, exec_lo, s0
	ds_bpermute_b32 v3, v20, v24
	s_wait_storecnt_dscnt 0x0
	v_dual_add_nc_u32 v2, v0, v2 :: v_dual_min_i32 v3, v3, v24
	ds_bpermute_b32 v9, v21, v3
	s_wait_dscnt 0x0
	v_min_i32_e32 v3, v9, v3
	ds_bpermute_b32 v9, v17, v3
	s_wait_dscnt 0x0
	v_min_i32_e32 v3, v9, v3
	ds_bpermute_b32 v3, v22, v3
	s_wait_dscnt 0x0
	v_cmp_le_i32_e32 vcc_lo, s5, v3
	s_or_b32 s6, vcc_lo, s6
	s_delay_alu instid0(SALU_CYCLE_1)
	s_and_not1_b32 exec_lo, exec_lo, s6
	s_cbranch_execz .LBB27_24
.LBB27_10:                              ; =>This Loop Header: Depth=1
                                        ;     Child Loop BB27_13 Depth 2
	v_dual_mov_b32 v24, s5 :: v_dual_add_nc_u32 v25, v8, v4
	v_mov_b32_e32 v27, v15
	s_mov_b32 s20, exec_lo
	ds_store_b8 v14, v1 offset:1024
	ds_store_b32 v19, v1
	s_wait_dscnt 0x0
	v_cmpx_lt_i32_e64 v25, v15
	s_cbranch_execz .LBB27_18
; %bb.11:                               ;   in Loop: Header=BB27_10 Depth=1
	v_dual_mov_b32 v24, s5 :: v_dual_ashrrev_i32 v9, 31, v8
	v_mul_lo_u32 v26, v3, s7
	v_mov_b32_e32 v27, v15
	s_mov_b32 s21, 0
	s_delay_alu instid0(VALU_DEP_3) | instskip(NEXT) | instid1(VALU_DEP_1)
	v_add_nc_u64_e32 v[8:9], v[4:5], v[8:9]
	v_lshlrev_b64_e32 v[12:13], 2, v[8:9]
	s_delay_alu instid0(VALU_DEP_1)
	v_add_nc_u64_e32 v[8:9], s[10:11], v[12:13]
	v_add_nc_u64_e32 v[12:13], s[8:9], v[12:13]
	s_branch .LBB27_13
.LBB27_12:                              ;   in Loop: Header=BB27_13 Depth=2
	s_wait_xcnt 0x0
	s_or_b32 exec_lo, exec_lo, s0
	v_add_nc_u32_e32 v25, 2, v25
	s_xor_b32 s22, vcc_lo, -1
	v_add_nc_u64_e32 v[8:9], 8, v[8:9]
	v_add_nc_u64_e32 v[12:13], 8, v[12:13]
	s_delay_alu instid0(VALU_DEP_3) | instskip(SKIP_1) | instid1(SALU_CYCLE_1)
	v_cmp_ge_i32_e64 s0, v25, v15
	s_or_b32 s0, s22, s0
	s_and_b32 s0, exec_lo, s0
	s_delay_alu instid0(SALU_CYCLE_1) | instskip(NEXT) | instid1(SALU_CYCLE_1)
	s_or_b32 s21, s0, s21
	s_and_not1_b32 exec_lo, exec_lo, s21
	s_cbranch_execz .LBB27_17
.LBB27_13:                              ;   Parent Loop BB27_10 Depth=1
                                        ; =>  This Inner Loop Header: Depth=2
	global_load_b32 v0, v[8:9], off
	s_wait_loadcnt 0x0
	v_subrev_nc_u32_e32 v28, s16, v0
	s_delay_alu instid0(VALU_DEP_1) | instskip(NEXT) | instid1(VALU_DEP_1)
	v_sub_nc_u32_e32 v0, 0, v28
	v_max_i32_e32 v0, v28, v0
	s_delay_alu instid0(VALU_DEP_1) | instskip(NEXT) | instid1(VALU_DEP_1)
	v_mul_u64_e32 v[30:31], s[12:13], v[0:1]
	v_mul_lo_u32 v29, v31, s19
	s_delay_alu instid0(VALU_DEP_1) | instskip(NEXT) | instid1(VALU_DEP_1)
	v_dual_sub_nc_u32 v0, v0, v29 :: v_dual_add_nc_u32 v29, 1, v31
	v_cmp_le_u32_e32 vcc_lo, s19, v0
	s_delay_alu instid0(VALU_DEP_2) | instskip(SKIP_1) | instid1(VALU_DEP_1)
	v_dual_cndmask_b32 v29, v31, v29, vcc_lo :: v_dual_ashrrev_i32 v31, 31, v28
	v_subrev_nc_u32_e32 v30, s19, v0
	v_dual_cndmask_b32 v0, v0, v30, vcc_lo :: v_dual_add_nc_u32 v30, 1, v29
	s_delay_alu instid0(VALU_DEP_1) | instskip(NEXT) | instid1(VALU_DEP_2)
	v_cmp_le_u32_e32 vcc_lo, s19, v0
	v_dual_cndmask_b32 v0, v29, v30, vcc_lo :: v_dual_bitop2_b32 v31, s1, v31 bitop3:0x14
	s_delay_alu instid0(VALU_DEP_1) | instskip(NEXT) | instid1(VALU_DEP_1)
	v_xor_b32_e32 v0, v0, v31
	v_dual_mov_b32 v0, v27 :: v_dual_sub_nc_u32 v29, v0, v31
	s_delay_alu instid0(VALU_DEP_1) | instskip(SKIP_3) | instid1(SALU_CYCLE_1)
	v_cmp_ne_u32_e64 s0, v29, v3
	v_cmp_eq_u32_e32 vcc_lo, v29, v3
	s_wait_xcnt 0x0
	s_and_saveexec_b32 s22, s0
	s_xor_b32 s0, exec_lo, s22
; %bb.14:                               ;   in Loop: Header=BB27_13 Depth=2
	v_min_i32_e32 v24, v29, v24
                                        ; implicit-def: $vgpr28
                                        ; implicit-def: $vgpr0
; %bb.15:                               ;   in Loop: Header=BB27_13 Depth=2
	s_or_saveexec_b32 s0, s0
	v_mov_b32_e32 v27, v25
	s_xor_b32 exec_lo, exec_lo, s0
	s_cbranch_execz .LBB27_12
; %bb.16:                               ;   in Loop: Header=BB27_13 Depth=2
	global_load_b32 v29, v[12:13], off
	v_sub_nc_u32_e32 v27, v28, v26
	s_delay_alu instid0(VALU_DEP_1)
	v_lshl_add_u32 v28, v27, 2, v16
	v_mov_b32_e32 v27, v0
	ds_store_b8 v14, v23 offset:1024
	s_wait_loadcnt 0x0
	ds_store_b32 v28, v29
	s_branch .LBB27_12
.LBB27_17:                              ;   in Loop: Header=BB27_10 Depth=1
	s_or_b32 exec_lo, exec_lo, s21
.LBB27_18:                              ;   in Loop: Header=BB27_10 Depth=1
	s_delay_alu instid0(SALU_CYCLE_1)
	s_or_b32 exec_lo, exec_lo, s20
	ds_bpermute_b32 v0, v17, v27
	s_wait_dscnt 0x0
	ds_load_u8 v9, v14 offset:1024
	v_min_i32_e32 v0, v0, v27
	ds_bpermute_b32 v8, v18, v0
	s_wait_dscnt 0x1
	v_and_b32_e32 v0, 1, v9
	s_delay_alu instid0(VALU_DEP_1)
	v_cmp_eq_u32_e32 vcc_lo, 1, v0
	v_mov_b32_e32 v0, 0
	s_and_saveexec_b32 s0, vcc_lo
	s_cbranch_execz .LBB27_9
; %bb.19:                               ;   in Loop: Header=BB27_10 Depth=1
	v_add_nc_u32_e32 v0, s17, v3
	global_store_b32 v2, v0, s[2:3] scale_offset
	s_wait_xcnt 0x0
	s_and_saveexec_b32 s20, s4
	s_cbranch_execz .LBB27_8
; %bb.20:                               ;   in Loop: Header=BB27_10 Depth=1
	v_ashrrev_i32_e32 v3, 31, v2
	ds_load_b32 v0, v19
	s_and_b32 vcc_lo, exec_lo, s18
	v_mul_u64_e32 v[12:13], s[14:15], v[2:3]
	s_cbranch_vccz .LBB27_22
; %bb.21:                               ;   in Loop: Header=BB27_10 Depth=1
	s_delay_alu instid0(VALU_DEP_1)
	v_lshl_add_u64 v[26:27], v[12:13], 2, v[6:7]
	s_wait_dscnt 0x0
	global_store_b32 v[26:27], v0, off
	s_cbranch_execnz .LBB27_8
	s_branch .LBB27_23
.LBB27_22:                              ;   in Loop: Header=BB27_10 Depth=1
.LBB27_23:                              ;   in Loop: Header=BB27_10 Depth=1
	s_delay_alu instid0(VALU_DEP_1)
	v_lshl_add_u64 v[12:13], v[12:13], 2, v[10:11]
	s_wait_dscnt 0x0
	global_store_b32 v[12:13], v0, off
	s_branch .LBB27_8
.LBB27_24:
	s_endpgm
	.section	.rodata,"a",@progbits
	.p2align	6, 0x0
	.amdhsa_kernel _ZN9rocsparseL44csr2gebsr_wavefront_per_row_multipass_kernelILi256ELi4ELi2ELi8EfEEv20rocsparse_direction_iiiiii21rocsparse_index_base_PKT3_PKiS7_S2_PS3_PiS9_
		.amdhsa_group_segment_fixed_size 1056
		.amdhsa_private_segment_fixed_size 0
		.amdhsa_kernarg_size 88
		.amdhsa_user_sgpr_count 2
		.amdhsa_user_sgpr_dispatch_ptr 0
		.amdhsa_user_sgpr_queue_ptr 0
		.amdhsa_user_sgpr_kernarg_segment_ptr 1
		.amdhsa_user_sgpr_dispatch_id 0
		.amdhsa_user_sgpr_kernarg_preload_length 0
		.amdhsa_user_sgpr_kernarg_preload_offset 0
		.amdhsa_user_sgpr_private_segment_size 0
		.amdhsa_wavefront_size32 1
		.amdhsa_uses_dynamic_stack 0
		.amdhsa_enable_private_segment 0
		.amdhsa_system_sgpr_workgroup_id_x 1
		.amdhsa_system_sgpr_workgroup_id_y 0
		.amdhsa_system_sgpr_workgroup_id_z 0
		.amdhsa_system_sgpr_workgroup_info 0
		.amdhsa_system_vgpr_workitem_id 0
		.amdhsa_next_free_vgpr 32
		.amdhsa_next_free_sgpr 23
		.amdhsa_named_barrier_count 0
		.amdhsa_reserve_vcc 1
		.amdhsa_float_round_mode_32 0
		.amdhsa_float_round_mode_16_64 0
		.amdhsa_float_denorm_mode_32 3
		.amdhsa_float_denorm_mode_16_64 3
		.amdhsa_fp16_overflow 0
		.amdhsa_memory_ordered 1
		.amdhsa_forward_progress 1
		.amdhsa_inst_pref_size 11
		.amdhsa_round_robin_scheduling 0
		.amdhsa_exception_fp_ieee_invalid_op 0
		.amdhsa_exception_fp_denorm_src 0
		.amdhsa_exception_fp_ieee_div_zero 0
		.amdhsa_exception_fp_ieee_overflow 0
		.amdhsa_exception_fp_ieee_underflow 0
		.amdhsa_exception_fp_ieee_inexact 0
		.amdhsa_exception_int_div_zero 0
	.end_amdhsa_kernel
	.section	.text._ZN9rocsparseL44csr2gebsr_wavefront_per_row_multipass_kernelILi256ELi4ELi2ELi8EfEEv20rocsparse_direction_iiiiii21rocsparse_index_base_PKT3_PKiS7_S2_PS3_PiS9_,"axG",@progbits,_ZN9rocsparseL44csr2gebsr_wavefront_per_row_multipass_kernelILi256ELi4ELi2ELi8EfEEv20rocsparse_direction_iiiiii21rocsparse_index_base_PKT3_PKiS7_S2_PS3_PiS9_,comdat
.Lfunc_end27:
	.size	_ZN9rocsparseL44csr2gebsr_wavefront_per_row_multipass_kernelILi256ELi4ELi2ELi8EfEEv20rocsparse_direction_iiiiii21rocsparse_index_base_PKT3_PKiS7_S2_PS3_PiS9_, .Lfunc_end27-_ZN9rocsparseL44csr2gebsr_wavefront_per_row_multipass_kernelILi256ELi4ELi2ELi8EfEEv20rocsparse_direction_iiiiii21rocsparse_index_base_PKT3_PKiS7_S2_PS3_PiS9_
                                        ; -- End function
	.set _ZN9rocsparseL44csr2gebsr_wavefront_per_row_multipass_kernelILi256ELi4ELi2ELi8EfEEv20rocsparse_direction_iiiiii21rocsparse_index_base_PKT3_PKiS7_S2_PS3_PiS9_.num_vgpr, 32
	.set _ZN9rocsparseL44csr2gebsr_wavefront_per_row_multipass_kernelILi256ELi4ELi2ELi8EfEEv20rocsparse_direction_iiiiii21rocsparse_index_base_PKT3_PKiS7_S2_PS3_PiS9_.num_agpr, 0
	.set _ZN9rocsparseL44csr2gebsr_wavefront_per_row_multipass_kernelILi256ELi4ELi2ELi8EfEEv20rocsparse_direction_iiiiii21rocsparse_index_base_PKT3_PKiS7_S2_PS3_PiS9_.numbered_sgpr, 23
	.set _ZN9rocsparseL44csr2gebsr_wavefront_per_row_multipass_kernelILi256ELi4ELi2ELi8EfEEv20rocsparse_direction_iiiiii21rocsparse_index_base_PKT3_PKiS7_S2_PS3_PiS9_.num_named_barrier, 0
	.set _ZN9rocsparseL44csr2gebsr_wavefront_per_row_multipass_kernelILi256ELi4ELi2ELi8EfEEv20rocsparse_direction_iiiiii21rocsparse_index_base_PKT3_PKiS7_S2_PS3_PiS9_.private_seg_size, 0
	.set _ZN9rocsparseL44csr2gebsr_wavefront_per_row_multipass_kernelILi256ELi4ELi2ELi8EfEEv20rocsparse_direction_iiiiii21rocsparse_index_base_PKT3_PKiS7_S2_PS3_PiS9_.uses_vcc, 1
	.set _ZN9rocsparseL44csr2gebsr_wavefront_per_row_multipass_kernelILi256ELi4ELi2ELi8EfEEv20rocsparse_direction_iiiiii21rocsparse_index_base_PKT3_PKiS7_S2_PS3_PiS9_.uses_flat_scratch, 0
	.set _ZN9rocsparseL44csr2gebsr_wavefront_per_row_multipass_kernelILi256ELi4ELi2ELi8EfEEv20rocsparse_direction_iiiiii21rocsparse_index_base_PKT3_PKiS7_S2_PS3_PiS9_.has_dyn_sized_stack, 0
	.set _ZN9rocsparseL44csr2gebsr_wavefront_per_row_multipass_kernelILi256ELi4ELi2ELi8EfEEv20rocsparse_direction_iiiiii21rocsparse_index_base_PKT3_PKiS7_S2_PS3_PiS9_.has_recursion, 0
	.set _ZN9rocsparseL44csr2gebsr_wavefront_per_row_multipass_kernelILi256ELi4ELi2ELi8EfEEv20rocsparse_direction_iiiiii21rocsparse_index_base_PKT3_PKiS7_S2_PS3_PiS9_.has_indirect_call, 0
	.section	.AMDGPU.csdata,"",@progbits
; Kernel info:
; codeLenInByte = 1340
; TotalNumSgprs: 25
; NumVgprs: 32
; ScratchSize: 0
; MemoryBound: 0
; FloatMode: 240
; IeeeMode: 1
; LDSByteSize: 1056 bytes/workgroup (compile time only)
; SGPRBlocks: 0
; VGPRBlocks: 1
; NumSGPRsForWavesPerEU: 25
; NumVGPRsForWavesPerEU: 32
; NamedBarCnt: 0
; Occupancy: 16
; WaveLimiterHint : 0
; COMPUTE_PGM_RSRC2:SCRATCH_EN: 0
; COMPUTE_PGM_RSRC2:USER_SGPR: 2
; COMPUTE_PGM_RSRC2:TRAP_HANDLER: 0
; COMPUTE_PGM_RSRC2:TGID_X_EN: 1
; COMPUTE_PGM_RSRC2:TGID_Y_EN: 0
; COMPUTE_PGM_RSRC2:TGID_Z_EN: 0
; COMPUTE_PGM_RSRC2:TIDIG_COMP_CNT: 0
	.section	.text._ZN9rocsparseL44csr2gebsr_wavefront_per_row_multipass_kernelILi256ELi4ELi4ELi16EfEEv20rocsparse_direction_iiiiii21rocsparse_index_base_PKT3_PKiS7_S2_PS3_PiS9_,"axG",@progbits,_ZN9rocsparseL44csr2gebsr_wavefront_per_row_multipass_kernelILi256ELi4ELi4ELi16EfEEv20rocsparse_direction_iiiiii21rocsparse_index_base_PKT3_PKiS7_S2_PS3_PiS9_,comdat
	.globl	_ZN9rocsparseL44csr2gebsr_wavefront_per_row_multipass_kernelILi256ELi4ELi4ELi16EfEEv20rocsparse_direction_iiiiii21rocsparse_index_base_PKT3_PKiS7_S2_PS3_PiS9_ ; -- Begin function _ZN9rocsparseL44csr2gebsr_wavefront_per_row_multipass_kernelILi256ELi4ELi4ELi16EfEEv20rocsparse_direction_iiiiii21rocsparse_index_base_PKT3_PKiS7_S2_PS3_PiS9_
	.p2align	8
	.type	_ZN9rocsparseL44csr2gebsr_wavefront_per_row_multipass_kernelILi256ELi4ELi4ELi16EfEEv20rocsparse_direction_iiiiii21rocsparse_index_base_PKT3_PKiS7_S2_PS3_PiS9_,@function
_ZN9rocsparseL44csr2gebsr_wavefront_per_row_multipass_kernelILi256ELi4ELi4ELi16EfEEv20rocsparse_direction_iiiiii21rocsparse_index_base_PKT3_PKiS7_S2_PS3_PiS9_: ; @_ZN9rocsparseL44csr2gebsr_wavefront_per_row_multipass_kernelILi256ELi4ELi4ELi16EfEEv20rocsparse_direction_iiiiii21rocsparse_index_base_PKT3_PKiS7_S2_PS3_PiS9_
; %bb.0:
	s_clause 0x1
	s_load_b128 s[4:7], s[0:1], 0xc
	s_load_b64 s[12:13], s[0:1], 0x0
	s_bfe_u32 s2, ttmp6, 0x4000c
	s_and_b32 s3, ttmp6, 15
	s_add_co_i32 s2, s2, 1
	s_getreg_b32 s8, hwreg(HW_REG_IB_STS2, 6, 4)
	s_mul_i32 s2, ttmp9, s2
	v_dual_lshrrev_b32 v14, 4, v0 :: v_dual_mov_b32 v2, 0
	s_add_co_i32 s3, s3, s2
	s_cmp_eq_u32 s8, 0
	v_bfe_u32 v1, v0, 2, 2
	s_cselect_b32 s2, ttmp9, s3
	s_clause 0x1
	s_load_b32 s16, s[0:1], 0x1c
	s_load_b64 s[8:9], s[0:1], 0x28
	v_lshl_or_b32 v3, s2, 4, v14
	v_mov_b32_e32 v6, 0
	s_wait_kmcnt 0x0
	s_delay_alu instid0(VALU_DEP_2) | instskip(SKIP_1) | instid1(VALU_DEP_2)
	v_mad_u32 v4, v3, s6, v1
	v_cmp_gt_i32_e32 vcc_lo, s6, v1
	v_cmp_gt_i32_e64 s2, s13, v4
	s_and_b32 s2, vcc_lo, s2
	s_delay_alu instid0(SALU_CYCLE_1)
	s_and_saveexec_b32 s3, s2
	s_cbranch_execz .LBB28_2
; %bb.1:
	global_load_b32 v5, v4, s[8:9] scale_offset
	s_wait_loadcnt 0x0
	v_subrev_nc_u32_e32 v6, s16, v5
.LBB28_2:
	s_or_b32 exec_lo, exec_lo, s3
	v_mov_b32_e32 v15, 0
	s_and_saveexec_b32 s3, s2
	s_cbranch_execz .LBB28_4
; %bb.3:
	global_load_b32 v4, v4, s[8:9] offset:4 scale_offset
	s_wait_loadcnt 0x0
	v_subrev_nc_u32_e32 v15, s16, v4
.LBB28_4:
	s_or_b32 exec_lo, exec_lo, s3
	s_load_b32 s17, s[0:1], 0x38
	s_mov_b32 s3, exec_lo
	v_cmpx_gt_i32_e64 s4, v3
	s_cbranch_execz .LBB28_6
; %bb.5:
	s_load_b64 s[8:9], s[0:1], 0x48
	s_wait_kmcnt 0x0
	global_load_b32 v2, v3, s[8:9] scale_offset
	s_wait_loadcnt 0x0
	v_subrev_nc_u32_e32 v2, s17, v2
.LBB28_6:
	s_or_b32 exec_lo, exec_lo, s3
	s_cmp_lt_i32 s5, 1
	s_cbranch_scc1 .LBB28_24
; %bb.7:
	v_mbcnt_lo_u32_b32 v3, -1, 0
	v_lshlrev_b32_e32 v5, 4, v1
	v_and_b32_e32 v4, 0xf0, v0
	s_clause 0x3
	s_load_b64 s[2:3], s[0:1], 0x50
	s_load_b64 s[14:15], s[0:1], 0x40
	;; [unrolled: 1-line block ×4, first 2 shown]
	v_mul_lo_u32 v12, s7, v1
	v_xor_b32_e32 v7, 2, v3
	v_xor_b32_e32 v8, 1, v3
	v_lshl_or_b32 v16, v4, 2, v5
	s_mov_b32 s13, 0
	v_mov_b32_e32 v24, 1
	s_wait_xcnt 0x0
	v_cmp_gt_i32_e64 s0, 32, v7
	s_delay_alu instid0(VALU_DEP_1) | instskip(SKIP_2) | instid1(VALU_DEP_2)
	v_dual_cndmask_b32 v4, v3, v7, s0 :: v_dual_bitop2_b32 v0, 3, v0 bitop3:0x40
	v_lshlrev_b32_e32 v7, 2, v3
	v_cmp_gt_i32_e64 s0, 32, v8
	v_dual_lshlrev_b32 v10, 2, v0 :: v_dual_bitop2_b32 v19, 12, v7 bitop3:0x54
	s_delay_alu instid0(VALU_DEP_2) | instskip(SKIP_3) | instid1(VALU_DEP_4)
	v_cndmask_b32_e64 v5, v3, v8, s0
	v_cmp_gt_u32_e64 s0, s7, v0
	v_lshlrev_b32_e32 v17, 2, v4
	v_mul_lo_u32 v4, s6, v0
	v_dual_lshlrev_b32 v18, 2, v5 :: v_dual_bitop2_b32 v23, 60, v7 bitop3:0x54
	s_and_b32 s4, vcc_lo, s0
	s_cmp_lg_u32 s12, 0
	v_mov_b32_e32 v5, 0
	s_cselect_b32 s18, -1, 0
	s_abs_i32 s19, s7
	v_or_b32_e32 v20, v16, v10
	s_cvt_f32_u32 s0, s19
	s_mov_b32 s12, s6
	s_wait_kmcnt 0x0
	v_lshl_add_u64 v[8:9], v[4:5], 2, s[14:15]
	v_lshlrev_b32_e32 v4, 2, v1
	v_rcp_iflag_f32_e32 v11, s0
	v_dual_ashrrev_i32 v13, 31, v12 :: v_dual_mov_b32 v1, v5
	s_ashr_i32 s1, s7, 31
	s_delay_alu instid0(VALU_DEP_2) | instskip(SKIP_1) | instid1(VALU_DEP_3)
	v_add_nc_u64_e32 v[8:9], v[8:9], v[4:5]
	v_xor_b32_e32 v4, 8, v3
	v_lshl_add_u64 v[12:13], v[12:13], 2, s[14:15]
	s_delay_alu instid0(TRANS32_DEP_1)
	v_readfirstlane_b32 s6, v11
	v_mov_b32_e32 v11, v5
	s_sub_co_i32 s14, 0, s19
	v_cmp_gt_i32_e32 vcc_lo, 32, v4
	v_xor_b32_e32 v21, 4, v3
	s_mul_f32 s6, s6, 0x4f7ffffe
	v_add_nc_u64_e32 v[10:11], v[12:13], v[10:11]
	s_mov_b32 s0, s7
	v_cndmask_b32_e32 v4, v3, v4, vcc_lo
	v_cmp_gt_i32_e32 vcc_lo, 32, v21
	s_cvt_u32_f32 s6, s6
	s_delay_alu instid0(VALU_DEP_2) | instskip(NEXT) | instid1(SALU_CYCLE_2)
	v_dual_cndmask_b32 v3, v3, v21, vcc_lo :: v_dual_lshlrev_b32 v21, 2, v4
	s_mul_i32 s14, s14, s6
	s_delay_alu instid0(SALU_CYCLE_1) | instskip(NEXT) | instid1(VALU_DEP_1)
	s_mul_hi_u32 s20, s6, s14
	v_dual_mov_b32 v3, 0 :: v_dual_lshlrev_b32 v22, 2, v3
	s_mul_u64 s[14:15], s[0:1], s[12:13]
	s_add_co_i32 s12, s6, s20
	s_mov_b32 s6, s13
	s_branch .LBB28_10
.LBB28_8:                               ;   in Loop: Header=BB28_10 Depth=1
	s_wait_xcnt 0x0
	s_or_b32 exec_lo, exec_lo, s20
	v_mov_b32_e32 v4, 1
.LBB28_9:                               ;   in Loop: Header=BB28_10 Depth=1
	s_or_b32 exec_lo, exec_lo, s0
	s_wait_dscnt 0x0
	ds_bpermute_b32 v3, v21, v25
	s_wait_storecnt_dscnt 0x0
	v_dual_add_nc_u32 v2, v4, v2 :: v_dual_min_i32 v3, v3, v25
	ds_bpermute_b32 v7, v22, v3
	s_wait_dscnt 0x0
	v_min_i32_e32 v3, v7, v3
	ds_bpermute_b32 v7, v17, v3
	s_wait_dscnt 0x0
	v_min_i32_e32 v3, v7, v3
	ds_bpermute_b32 v7, v18, v3
	s_wait_dscnt 0x0
	v_min_i32_e32 v3, v7, v3
	ds_bpermute_b32 v3, v23, v3
	s_wait_dscnt 0x0
	v_cmp_le_i32_e32 vcc_lo, s5, v3
	s_or_b32 s6, vcc_lo, s6
	s_delay_alu instid0(SALU_CYCLE_1)
	s_and_not1_b32 exec_lo, exec_lo, s6
	s_cbranch_execz .LBB28_24
.LBB28_10:                              ; =>This Loop Header: Depth=1
                                        ;     Child Loop BB28_13 Depth 2
	v_dual_mov_b32 v25, s5 :: v_dual_add_nc_u32 v26, v6, v0
	v_mov_b32_e32 v28, v15
	s_mov_b32 s20, exec_lo
	ds_store_b8 v14, v5 offset:1024
	ds_store_b32 v20, v5
	s_wait_dscnt 0x0
	v_cmpx_lt_i32_e64 v26, v15
	s_cbranch_execz .LBB28_18
; %bb.11:                               ;   in Loop: Header=BB28_10 Depth=1
	v_dual_ashrrev_i32 v7, 31, v6 :: v_dual_mov_b32 v25, s5
	v_mul_lo_u32 v27, v3, s7
	v_mov_b32_e32 v28, v15
	s_mov_b32 s21, 0
	s_delay_alu instid0(VALU_DEP_3) | instskip(NEXT) | instid1(VALU_DEP_1)
	v_add_nc_u64_e32 v[6:7], v[0:1], v[6:7]
	v_lshlrev_b64_e32 v[12:13], 2, v[6:7]
	s_delay_alu instid0(VALU_DEP_1)
	v_add_nc_u64_e32 v[6:7], s[10:11], v[12:13]
	v_add_nc_u64_e32 v[12:13], s[8:9], v[12:13]
	s_branch .LBB28_13
.LBB28_12:                              ;   in Loop: Header=BB28_13 Depth=2
	s_wait_xcnt 0x0
	s_or_b32 exec_lo, exec_lo, s0
	v_add_nc_u32_e32 v26, 4, v26
	s_xor_b32 s22, vcc_lo, -1
	v_add_nc_u64_e32 v[6:7], 16, v[6:7]
	v_add_nc_u64_e32 v[12:13], 16, v[12:13]
	s_delay_alu instid0(VALU_DEP_3) | instskip(SKIP_1) | instid1(SALU_CYCLE_1)
	v_cmp_ge_i32_e64 s0, v26, v15
	s_or_b32 s0, s22, s0
	s_and_b32 s0, exec_lo, s0
	s_delay_alu instid0(SALU_CYCLE_1) | instskip(NEXT) | instid1(SALU_CYCLE_1)
	s_or_b32 s21, s0, s21
	s_and_not1_b32 exec_lo, exec_lo, s21
	s_cbranch_execz .LBB28_17
.LBB28_13:                              ;   Parent Loop BB28_10 Depth=1
                                        ; =>  This Inner Loop Header: Depth=2
	global_load_b32 v4, v[6:7], off
	s_wait_loadcnt 0x0
	v_subrev_nc_u32_e32 v29, s16, v4
	s_delay_alu instid0(VALU_DEP_1) | instskip(NEXT) | instid1(VALU_DEP_1)
	v_sub_nc_u32_e32 v4, 0, v29
	v_max_i32_e32 v4, v29, v4
	s_delay_alu instid0(VALU_DEP_1) | instskip(NEXT) | instid1(VALU_DEP_1)
	v_mul_u64_e32 v[30:31], s[12:13], v[4:5]
	v_mul_lo_u32 v30, v31, s19
	s_delay_alu instid0(VALU_DEP_1) | instskip(NEXT) | instid1(VALU_DEP_1)
	v_dual_sub_nc_u32 v4, v4, v30 :: v_dual_add_nc_u32 v30, 1, v31
	v_cmp_le_u32_e32 vcc_lo, s19, v4
	s_delay_alu instid0(VALU_DEP_2) | instskip(SKIP_1) | instid1(VALU_DEP_1)
	v_dual_cndmask_b32 v30, v31, v30 :: v_dual_ashrrev_i32 v31, 31, v29
	v_subrev_nc_u32_e32 v32, s19, v4
	v_dual_cndmask_b32 v4, v4, v32, vcc_lo :: v_dual_add_nc_u32 v32, 1, v30
	s_delay_alu instid0(VALU_DEP_1) | instskip(NEXT) | instid1(VALU_DEP_2)
	v_cmp_le_u32_e32 vcc_lo, s19, v4
	v_dual_cndmask_b32 v4, v30, v32, vcc_lo :: v_dual_bitop2_b32 v31, s1, v31 bitop3:0x14
	s_delay_alu instid0(VALU_DEP_1) | instskip(NEXT) | instid1(VALU_DEP_1)
	v_xor_b32_e32 v4, v4, v31
	v_sub_nc_u32_e32 v30, v4, v31
	v_mov_b32_e32 v4, v28
	s_delay_alu instid0(VALU_DEP_2) | instskip(SKIP_3) | instid1(SALU_CYCLE_1)
	v_cmp_ne_u32_e64 s0, v30, v3
	v_cmp_eq_u32_e32 vcc_lo, v30, v3
	s_wait_xcnt 0x0
	s_and_saveexec_b32 s22, s0
	s_xor_b32 s0, exec_lo, s22
; %bb.14:                               ;   in Loop: Header=BB28_13 Depth=2
	v_min_i32_e32 v25, v30, v25
                                        ; implicit-def: $vgpr29
                                        ; implicit-def: $vgpr4
; %bb.15:                               ;   in Loop: Header=BB28_13 Depth=2
	s_or_saveexec_b32 s0, s0
	v_mov_b32_e32 v28, v26
	s_xor_b32 exec_lo, exec_lo, s0
	s_cbranch_execz .LBB28_12
; %bb.16:                               ;   in Loop: Header=BB28_13 Depth=2
	global_load_b32 v30, v[12:13], off
	v_sub_nc_u32_e32 v28, v29, v27
	s_delay_alu instid0(VALU_DEP_1)
	v_lshl_add_u32 v29, v28, 2, v16
	v_mov_b32_e32 v28, v4
	ds_store_b8 v14, v24 offset:1024
	s_wait_loadcnt 0x0
	ds_store_b32 v29, v30
	s_branch .LBB28_12
.LBB28_17:                              ;   in Loop: Header=BB28_10 Depth=1
	s_or_b32 exec_lo, exec_lo, s21
.LBB28_18:                              ;   in Loop: Header=BB28_10 Depth=1
	s_delay_alu instid0(SALU_CYCLE_1)
	s_or_b32 exec_lo, exec_lo, s20
	ds_bpermute_b32 v4, v17, v28
	s_wait_dscnt 0x0
	ds_load_u8 v7, v14 offset:1024
	v_min_i32_e32 v4, v4, v28
	ds_bpermute_b32 v6, v18, v4
	s_wait_dscnt 0x0
	v_min_i32_e32 v4, v6, v4
	ds_bpermute_b32 v6, v19, v4
	v_and_b32_e32 v4, 1, v7
	s_delay_alu instid0(VALU_DEP_1)
	v_cmp_eq_u32_e32 vcc_lo, 1, v4
	v_mov_b32_e32 v4, 0
	s_and_saveexec_b32 s0, vcc_lo
	s_cbranch_execz .LBB28_9
; %bb.19:                               ;   in Loop: Header=BB28_10 Depth=1
	v_add_nc_u32_e32 v3, s17, v3
	global_store_b32 v2, v3, s[2:3] scale_offset
	s_wait_xcnt 0x0
	s_and_saveexec_b32 s20, s4
	s_cbranch_execz .LBB28_8
; %bb.20:                               ;   in Loop: Header=BB28_10 Depth=1
	v_ashrrev_i32_e32 v3, 31, v2
	s_and_b32 vcc_lo, exec_lo, s18
	s_delay_alu instid0(VALU_DEP_1)
	v_mul_u64_e32 v[12:13], s[14:15], v[2:3]
	ds_load_b32 v3, v20
	s_cbranch_vccz .LBB28_22
; %bb.21:                               ;   in Loop: Header=BB28_10 Depth=1
	v_lshl_add_u64 v[26:27], v[12:13], 2, v[8:9]
	s_wait_dscnt 0x0
	global_store_b32 v[26:27], v3, off
	s_cbranch_execnz .LBB28_8
	s_branch .LBB28_23
.LBB28_22:                              ;   in Loop: Header=BB28_10 Depth=1
.LBB28_23:                              ;   in Loop: Header=BB28_10 Depth=1
	v_lshl_add_u64 v[12:13], v[12:13], 2, v[10:11]
	s_wait_dscnt 0x0
	global_store_b32 v[12:13], v3, off
	s_branch .LBB28_8
.LBB28_24:
	s_endpgm
	.section	.rodata,"a",@progbits
	.p2align	6, 0x0
	.amdhsa_kernel _ZN9rocsparseL44csr2gebsr_wavefront_per_row_multipass_kernelILi256ELi4ELi4ELi16EfEEv20rocsparse_direction_iiiiii21rocsparse_index_base_PKT3_PKiS7_S2_PS3_PiS9_
		.amdhsa_group_segment_fixed_size 1040
		.amdhsa_private_segment_fixed_size 0
		.amdhsa_kernarg_size 88
		.amdhsa_user_sgpr_count 2
		.amdhsa_user_sgpr_dispatch_ptr 0
		.amdhsa_user_sgpr_queue_ptr 0
		.amdhsa_user_sgpr_kernarg_segment_ptr 1
		.amdhsa_user_sgpr_dispatch_id 0
		.amdhsa_user_sgpr_kernarg_preload_length 0
		.amdhsa_user_sgpr_kernarg_preload_offset 0
		.amdhsa_user_sgpr_private_segment_size 0
		.amdhsa_wavefront_size32 1
		.amdhsa_uses_dynamic_stack 0
		.amdhsa_enable_private_segment 0
		.amdhsa_system_sgpr_workgroup_id_x 1
		.amdhsa_system_sgpr_workgroup_id_y 0
		.amdhsa_system_sgpr_workgroup_id_z 0
		.amdhsa_system_sgpr_workgroup_info 0
		.amdhsa_system_vgpr_workitem_id 0
		.amdhsa_next_free_vgpr 33
		.amdhsa_next_free_sgpr 23
		.amdhsa_named_barrier_count 0
		.amdhsa_reserve_vcc 1
		.amdhsa_float_round_mode_32 0
		.amdhsa_float_round_mode_16_64 0
		.amdhsa_float_denorm_mode_32 3
		.amdhsa_float_denorm_mode_16_64 3
		.amdhsa_fp16_overflow 0
		.amdhsa_memory_ordered 1
		.amdhsa_forward_progress 1
		.amdhsa_inst_pref_size 11
		.amdhsa_round_robin_scheduling 0
		.amdhsa_exception_fp_ieee_invalid_op 0
		.amdhsa_exception_fp_denorm_src 0
		.amdhsa_exception_fp_ieee_div_zero 0
		.amdhsa_exception_fp_ieee_overflow 0
		.amdhsa_exception_fp_ieee_underflow 0
		.amdhsa_exception_fp_ieee_inexact 0
		.amdhsa_exception_int_div_zero 0
	.end_amdhsa_kernel
	.section	.text._ZN9rocsparseL44csr2gebsr_wavefront_per_row_multipass_kernelILi256ELi4ELi4ELi16EfEEv20rocsparse_direction_iiiiii21rocsparse_index_base_PKT3_PKiS7_S2_PS3_PiS9_,"axG",@progbits,_ZN9rocsparseL44csr2gebsr_wavefront_per_row_multipass_kernelILi256ELi4ELi4ELi16EfEEv20rocsparse_direction_iiiiii21rocsparse_index_base_PKT3_PKiS7_S2_PS3_PiS9_,comdat
.Lfunc_end28:
	.size	_ZN9rocsparseL44csr2gebsr_wavefront_per_row_multipass_kernelILi256ELi4ELi4ELi16EfEEv20rocsparse_direction_iiiiii21rocsparse_index_base_PKT3_PKiS7_S2_PS3_PiS9_, .Lfunc_end28-_ZN9rocsparseL44csr2gebsr_wavefront_per_row_multipass_kernelILi256ELi4ELi4ELi16EfEEv20rocsparse_direction_iiiiii21rocsparse_index_base_PKT3_PKiS7_S2_PS3_PiS9_
                                        ; -- End function
	.set _ZN9rocsparseL44csr2gebsr_wavefront_per_row_multipass_kernelILi256ELi4ELi4ELi16EfEEv20rocsparse_direction_iiiiii21rocsparse_index_base_PKT3_PKiS7_S2_PS3_PiS9_.num_vgpr, 33
	.set _ZN9rocsparseL44csr2gebsr_wavefront_per_row_multipass_kernelILi256ELi4ELi4ELi16EfEEv20rocsparse_direction_iiiiii21rocsparse_index_base_PKT3_PKiS7_S2_PS3_PiS9_.num_agpr, 0
	.set _ZN9rocsparseL44csr2gebsr_wavefront_per_row_multipass_kernelILi256ELi4ELi4ELi16EfEEv20rocsparse_direction_iiiiii21rocsparse_index_base_PKT3_PKiS7_S2_PS3_PiS9_.numbered_sgpr, 23
	.set _ZN9rocsparseL44csr2gebsr_wavefront_per_row_multipass_kernelILi256ELi4ELi4ELi16EfEEv20rocsparse_direction_iiiiii21rocsparse_index_base_PKT3_PKiS7_S2_PS3_PiS9_.num_named_barrier, 0
	.set _ZN9rocsparseL44csr2gebsr_wavefront_per_row_multipass_kernelILi256ELi4ELi4ELi16EfEEv20rocsparse_direction_iiiiii21rocsparse_index_base_PKT3_PKiS7_S2_PS3_PiS9_.private_seg_size, 0
	.set _ZN9rocsparseL44csr2gebsr_wavefront_per_row_multipass_kernelILi256ELi4ELi4ELi16EfEEv20rocsparse_direction_iiiiii21rocsparse_index_base_PKT3_PKiS7_S2_PS3_PiS9_.uses_vcc, 1
	.set _ZN9rocsparseL44csr2gebsr_wavefront_per_row_multipass_kernelILi256ELi4ELi4ELi16EfEEv20rocsparse_direction_iiiiii21rocsparse_index_base_PKT3_PKiS7_S2_PS3_PiS9_.uses_flat_scratch, 0
	.set _ZN9rocsparseL44csr2gebsr_wavefront_per_row_multipass_kernelILi256ELi4ELi4ELi16EfEEv20rocsparse_direction_iiiiii21rocsparse_index_base_PKT3_PKiS7_S2_PS3_PiS9_.has_dyn_sized_stack, 0
	.set _ZN9rocsparseL44csr2gebsr_wavefront_per_row_multipass_kernelILi256ELi4ELi4ELi16EfEEv20rocsparse_direction_iiiiii21rocsparse_index_base_PKT3_PKiS7_S2_PS3_PiS9_.has_recursion, 0
	.set _ZN9rocsparseL44csr2gebsr_wavefront_per_row_multipass_kernelILi256ELi4ELi4ELi16EfEEv20rocsparse_direction_iiiiii21rocsparse_index_base_PKT3_PKiS7_S2_PS3_PiS9_.has_indirect_call, 0
	.section	.AMDGPU.csdata,"",@progbits
; Kernel info:
; codeLenInByte = 1384
; TotalNumSgprs: 25
; NumVgprs: 33
; ScratchSize: 0
; MemoryBound: 0
; FloatMode: 240
; IeeeMode: 1
; LDSByteSize: 1040 bytes/workgroup (compile time only)
; SGPRBlocks: 0
; VGPRBlocks: 2
; NumSGPRsForWavesPerEU: 25
; NumVGPRsForWavesPerEU: 33
; NamedBarCnt: 0
; Occupancy: 16
; WaveLimiterHint : 0
; COMPUTE_PGM_RSRC2:SCRATCH_EN: 0
; COMPUTE_PGM_RSRC2:USER_SGPR: 2
; COMPUTE_PGM_RSRC2:TRAP_HANDLER: 0
; COMPUTE_PGM_RSRC2:TGID_X_EN: 1
; COMPUTE_PGM_RSRC2:TGID_Y_EN: 0
; COMPUTE_PGM_RSRC2:TGID_Z_EN: 0
; COMPUTE_PGM_RSRC2:TIDIG_COMP_CNT: 0
	.section	.text._ZN9rocsparseL44csr2gebsr_wavefront_per_row_multipass_kernelILi256ELi4ELi8ELi32EfEEv20rocsparse_direction_iiiiii21rocsparse_index_base_PKT3_PKiS7_S2_PS3_PiS9_,"axG",@progbits,_ZN9rocsparseL44csr2gebsr_wavefront_per_row_multipass_kernelILi256ELi4ELi8ELi32EfEEv20rocsparse_direction_iiiiii21rocsparse_index_base_PKT3_PKiS7_S2_PS3_PiS9_,comdat
	.globl	_ZN9rocsparseL44csr2gebsr_wavefront_per_row_multipass_kernelILi256ELi4ELi8ELi32EfEEv20rocsparse_direction_iiiiii21rocsparse_index_base_PKT3_PKiS7_S2_PS3_PiS9_ ; -- Begin function _ZN9rocsparseL44csr2gebsr_wavefront_per_row_multipass_kernelILi256ELi4ELi8ELi32EfEEv20rocsparse_direction_iiiiii21rocsparse_index_base_PKT3_PKiS7_S2_PS3_PiS9_
	.p2align	8
	.type	_ZN9rocsparseL44csr2gebsr_wavefront_per_row_multipass_kernelILi256ELi4ELi8ELi32EfEEv20rocsparse_direction_iiiiii21rocsparse_index_base_PKT3_PKiS7_S2_PS3_PiS9_,@function
_ZN9rocsparseL44csr2gebsr_wavefront_per_row_multipass_kernelILi256ELi4ELi8ELi32EfEEv20rocsparse_direction_iiiiii21rocsparse_index_base_PKT3_PKiS7_S2_PS3_PiS9_: ; @_ZN9rocsparseL44csr2gebsr_wavefront_per_row_multipass_kernelILi256ELi4ELi8ELi32EfEEv20rocsparse_direction_iiiiii21rocsparse_index_base_PKT3_PKiS7_S2_PS3_PiS9_
; %bb.0:
	s_clause 0x1
	s_load_b128 s[4:7], s[0:1], 0xc
	s_load_b64 s[12:13], s[0:1], 0x0
	s_bfe_u32 s2, ttmp6, 0x4000c
	s_and_b32 s3, ttmp6, 15
	s_add_co_i32 s2, s2, 1
	s_getreg_b32 s8, hwreg(HW_REG_IB_STS2, 6, 4)
	s_mul_i32 s2, ttmp9, s2
	v_dual_lshrrev_b32 v14, 5, v0 :: v_dual_mov_b32 v2, 0
	s_add_co_i32 s3, s3, s2
	s_cmp_eq_u32 s8, 0
	v_bfe_u32 v1, v0, 3, 2
	s_cselect_b32 s2, ttmp9, s3
	s_clause 0x1
	s_load_b32 s16, s[0:1], 0x1c
	s_load_b64 s[8:9], s[0:1], 0x28
	v_lshl_or_b32 v3, s2, 3, v14
	v_mov_b32_e32 v6, 0
	s_wait_kmcnt 0x0
	s_delay_alu instid0(VALU_DEP_2) | instskip(SKIP_1) | instid1(VALU_DEP_2)
	v_mad_u32 v4, v3, s6, v1
	v_cmp_gt_i32_e32 vcc_lo, s6, v1
	v_cmp_gt_i32_e64 s2, s13, v4
	s_and_b32 s2, vcc_lo, s2
	s_delay_alu instid0(SALU_CYCLE_1)
	s_and_saveexec_b32 s3, s2
	s_cbranch_execz .LBB29_2
; %bb.1:
	global_load_b32 v5, v4, s[8:9] scale_offset
	s_wait_loadcnt 0x0
	v_subrev_nc_u32_e32 v6, s16, v5
.LBB29_2:
	s_or_b32 exec_lo, exec_lo, s3
	v_mov_b32_e32 v15, 0
	s_and_saveexec_b32 s3, s2
	s_cbranch_execz .LBB29_4
; %bb.3:
	global_load_b32 v4, v4, s[8:9] offset:4 scale_offset
	s_wait_loadcnt 0x0
	v_subrev_nc_u32_e32 v15, s16, v4
.LBB29_4:
	s_or_b32 exec_lo, exec_lo, s3
	s_load_b32 s17, s[0:1], 0x38
	s_mov_b32 s3, exec_lo
	v_cmpx_gt_i32_e64 s4, v3
	s_cbranch_execz .LBB29_6
; %bb.5:
	s_load_b64 s[8:9], s[0:1], 0x48
	s_wait_kmcnt 0x0
	global_load_b32 v2, v3, s[8:9] scale_offset
	s_wait_loadcnt 0x0
	v_subrev_nc_u32_e32 v2, s17, v2
.LBB29_6:
	s_or_b32 exec_lo, exec_lo, s3
	s_cmp_lt_i32 s5, 1
	s_cbranch_scc1 .LBB29_24
; %bb.7:
	v_mbcnt_lo_u32_b32 v7, -1, 0
	v_lshlrev_b32_e32 v4, 5, v1
	v_and_b32_e32 v3, 0xe0, v0
	s_clause 0x3
	s_load_b64 s[2:3], s[0:1], 0x50
	s_load_b64 s[14:15], s[0:1], 0x40
	;; [unrolled: 1-line block ×4, first 2 shown]
	v_mul_lo_u32 v12, s7, v1
	v_xor_b32_e32 v5, 4, v7
	v_lshl_or_b32 v20, v7, 2, 28
	v_lshl_or_b32 v16, v3, 2, v4
	v_dual_mov_b32 v24, 0x7c :: v_dual_mov_b32 v25, 1
	s_wait_xcnt 0x0
	v_cmp_gt_i32_e64 s0, 32, v5
	v_and_b32_e32 v0, 7, v0
	s_mov_b32 s13, 0
	v_dual_cndmask_b32 v4, v7, v5, s0 :: v_dual_bitop2_b32 v8, 2, v7 bitop3:0x14
	s_delay_alu instid0(VALU_DEP_2) | instskip(SKIP_1) | instid1(VALU_DEP_3)
	v_lshlrev_b32_e32 v10, 2, v0
	v_ashrrev_i32_e32 v13, 31, v12
	v_lshlrev_b32_e32 v17, 2, v4
	s_delay_alu instid0(VALU_DEP_4)
	v_cmp_gt_i32_e64 s0, 32, v8
	v_xor_b32_e32 v3, 1, v7
	v_mul_lo_u32 v4, s6, v0
	v_or_b32_e32 v21, v16, v10
	s_wait_kmcnt 0x0
	v_lshl_add_u64 v[12:13], v[12:13], 2, s[14:15]
	v_cndmask_b32_e64 v5, v7, v8, s0
	v_cmp_gt_i32_e64 s0, 32, v3
	s_delay_alu instid0(VALU_DEP_1) | instskip(SKIP_1) | instid1(VALU_DEP_2)
	v_dual_lshlrev_b32 v18, 2, v5 :: v_dual_cndmask_b32 v3, v7, v3, s0
	v_cmp_gt_u32_e64 s0, s7, v0
	v_dual_mov_b32 v5, 0 :: v_dual_lshlrev_b32 v19, 2, v3
	s_and_b32 s4, vcc_lo, s0
	s_cmp_lg_u32 s12, 0
	s_delay_alu instid0(VALU_DEP_1)
	v_lshl_add_u64 v[8:9], v[4:5], 2, s[14:15]
	s_cselect_b32 s18, -1, 0
	s_abs_i32 s19, s7
	v_lshlrev_b32_e32 v4, 2, v1
	s_cvt_f32_u32 s0, s19
	v_mov_b32_e32 v1, v5
	s_mov_b32 s12, s6
	s_sub_co_i32 s14, 0, s19
	v_rcp_iflag_f32_e32 v3, s0
	v_add_nc_u64_e32 v[8:9], v[8:9], v[4:5]
	v_dual_mov_b32 v11, v5 :: v_dual_bitop2_b32 v4, 16, v7 bitop3:0x14
	s_ashr_i32 s1, s7, 31
	s_mov_b32 s0, s7
	s_delay_alu instid0(TRANS32_DEP_1)
	v_readfirstlane_b32 s6, v3
	v_xor_b32_e32 v3, 8, v7
	v_cmp_gt_i32_e32 vcc_lo, 32, v4
	v_add_nc_u64_e32 v[10:11], v[12:13], v[10:11]
	s_mul_f32 s6, s6, 0x4f7ffffe
	v_cndmask_b32_e32 v4, v7, v4, vcc_lo
	v_cmp_gt_i32_e32 vcc_lo, 32, v3
	s_delay_alu instid0(SALU_CYCLE_1) | instskip(SKIP_1) | instid1(SALU_CYCLE_2)
	s_cvt_u32_f32 s6, s6
	v_cndmask_b32_e32 v3, v7, v3, vcc_lo
	s_mul_i32 s14, s14, s6
	v_lshlrev_b32_e32 v22, 2, v4
	s_mul_hi_u32 s20, s6, s14
	s_mul_u64 s[14:15], s[0:1], s[12:13]
	v_dual_lshlrev_b32 v23, 2, v3 :: v_dual_mov_b32 v3, 0
	s_add_co_i32 s12, s6, s20
	s_mov_b32 s6, s13
	s_branch .LBB29_10
.LBB29_8:                               ;   in Loop: Header=BB29_10 Depth=1
	s_wait_xcnt 0x0
	s_or_b32 exec_lo, exec_lo, s20
	v_mov_b32_e32 v4, 1
.LBB29_9:                               ;   in Loop: Header=BB29_10 Depth=1
	s_or_b32 exec_lo, exec_lo, s0
	s_wait_dscnt 0x0
	ds_bpermute_b32 v3, v22, v26
	s_wait_storecnt_dscnt 0x0
	v_add_nc_u32_e32 v2, v4, v2
	v_min_i32_e32 v3, v3, v26
	ds_bpermute_b32 v7, v23, v3
	s_wait_dscnt 0x0
	v_min_i32_e32 v3, v7, v3
	ds_bpermute_b32 v7, v17, v3
	s_wait_dscnt 0x0
	;; [unrolled: 3-line block ×5, first 2 shown]
	v_cmp_le_i32_e32 vcc_lo, s5, v3
	s_or_b32 s6, vcc_lo, s6
	s_delay_alu instid0(SALU_CYCLE_1)
	s_and_not1_b32 exec_lo, exec_lo, s6
	s_cbranch_execz .LBB29_24
.LBB29_10:                              ; =>This Loop Header: Depth=1
                                        ;     Child Loop BB29_13 Depth 2
	v_dual_mov_b32 v26, s5 :: v_dual_add_nc_u32 v27, v6, v0
	v_mov_b32_e32 v29, v15
	s_mov_b32 s20, exec_lo
	ds_store_b8 v14, v5 offset:1024
	ds_store_b32 v21, v5
	s_wait_dscnt 0x0
	v_cmpx_lt_i32_e64 v27, v15
	s_cbranch_execz .LBB29_18
; %bb.11:                               ;   in Loop: Header=BB29_10 Depth=1
	v_dual_mov_b32 v26, s5 :: v_dual_ashrrev_i32 v7, 31, v6
	v_mul_lo_u32 v28, v3, s7
	v_mov_b32_e32 v29, v15
	s_mov_b32 s21, 0
	s_delay_alu instid0(VALU_DEP_3) | instskip(NEXT) | instid1(VALU_DEP_1)
	v_add_nc_u64_e32 v[6:7], v[0:1], v[6:7]
	v_lshlrev_b64_e32 v[12:13], 2, v[6:7]
	s_delay_alu instid0(VALU_DEP_1)
	v_add_nc_u64_e32 v[6:7], s[10:11], v[12:13]
	v_add_nc_u64_e32 v[12:13], s[8:9], v[12:13]
	s_branch .LBB29_13
.LBB29_12:                              ;   in Loop: Header=BB29_13 Depth=2
	s_wait_xcnt 0x0
	s_or_b32 exec_lo, exec_lo, s0
	v_add_nc_u32_e32 v27, 8, v27
	s_xor_b32 s22, vcc_lo, -1
	v_add_nc_u64_e32 v[6:7], 32, v[6:7]
	v_add_nc_u64_e32 v[12:13], 32, v[12:13]
	s_delay_alu instid0(VALU_DEP_3) | instskip(SKIP_1) | instid1(SALU_CYCLE_1)
	v_cmp_ge_i32_e64 s0, v27, v15
	s_or_b32 s0, s22, s0
	s_and_b32 s0, exec_lo, s0
	s_delay_alu instid0(SALU_CYCLE_1) | instskip(NEXT) | instid1(SALU_CYCLE_1)
	s_or_b32 s21, s0, s21
	s_and_not1_b32 exec_lo, exec_lo, s21
	s_cbranch_execz .LBB29_17
.LBB29_13:                              ;   Parent Loop BB29_10 Depth=1
                                        ; =>  This Inner Loop Header: Depth=2
	global_load_b32 v4, v[6:7], off
	s_wait_loadcnt 0x0
	v_subrev_nc_u32_e32 v30, s16, v4
	s_delay_alu instid0(VALU_DEP_1) | instskip(NEXT) | instid1(VALU_DEP_1)
	v_sub_nc_u32_e32 v4, 0, v30
	v_max_i32_e32 v4, v30, v4
	s_delay_alu instid0(VALU_DEP_1) | instskip(NEXT) | instid1(VALU_DEP_1)
	v_mul_u64_e32 v[32:33], s[12:13], v[4:5]
	v_mul_lo_u32 v31, v33, s19
	s_delay_alu instid0(VALU_DEP_1) | instskip(NEXT) | instid1(VALU_DEP_1)
	v_dual_sub_nc_u32 v4, v4, v31 :: v_dual_add_nc_u32 v31, 1, v33
	v_cmp_le_u32_e32 vcc_lo, s19, v4
	s_delay_alu instid0(VALU_DEP_2) | instskip(SKIP_1) | instid1(VALU_DEP_1)
	v_dual_cndmask_b32 v31, v33, v31, vcc_lo :: v_dual_ashrrev_i32 v33, 31, v30
	v_subrev_nc_u32_e32 v32, s19, v4
	v_dual_cndmask_b32 v4, v4, v32, vcc_lo :: v_dual_add_nc_u32 v32, 1, v31
	s_delay_alu instid0(VALU_DEP_1) | instskip(NEXT) | instid1(VALU_DEP_2)
	v_cmp_le_u32_e32 vcc_lo, s19, v4
	v_dual_cndmask_b32 v4, v31, v32, vcc_lo :: v_dual_bitop2_b32 v33, s1, v33 bitop3:0x14
	s_delay_alu instid0(VALU_DEP_1) | instskip(NEXT) | instid1(VALU_DEP_1)
	v_xor_b32_e32 v4, v4, v33
	v_dual_mov_b32 v4, v29 :: v_dual_sub_nc_u32 v31, v4, v33
	s_delay_alu instid0(VALU_DEP_1) | instskip(SKIP_3) | instid1(SALU_CYCLE_1)
	v_cmp_ne_u32_e64 s0, v31, v3
	v_cmp_eq_u32_e32 vcc_lo, v31, v3
	s_wait_xcnt 0x0
	s_and_saveexec_b32 s22, s0
	s_xor_b32 s0, exec_lo, s22
; %bb.14:                               ;   in Loop: Header=BB29_13 Depth=2
	v_min_i32_e32 v26, v31, v26
                                        ; implicit-def: $vgpr30
                                        ; implicit-def: $vgpr4
; %bb.15:                               ;   in Loop: Header=BB29_13 Depth=2
	s_or_saveexec_b32 s0, s0
	v_mov_b32_e32 v29, v27
	s_xor_b32 exec_lo, exec_lo, s0
	s_cbranch_execz .LBB29_12
; %bb.16:                               ;   in Loop: Header=BB29_13 Depth=2
	global_load_b32 v31, v[12:13], off
	v_sub_nc_u32_e32 v29, v30, v28
	s_delay_alu instid0(VALU_DEP_1)
	v_lshl_add_u32 v30, v29, 2, v16
	v_mov_b32_e32 v29, v4
	ds_store_b8 v14, v25 offset:1024
	s_wait_loadcnt 0x0
	ds_store_b32 v30, v31
	s_branch .LBB29_12
.LBB29_17:                              ;   in Loop: Header=BB29_10 Depth=1
	s_or_b32 exec_lo, exec_lo, s21
.LBB29_18:                              ;   in Loop: Header=BB29_10 Depth=1
	s_delay_alu instid0(SALU_CYCLE_1)
	s_or_b32 exec_lo, exec_lo, s20
	ds_bpermute_b32 v4, v17, v29
	s_wait_dscnt 0x0
	ds_load_u8 v7, v14 offset:1024
	v_min_i32_e32 v4, v4, v29
	ds_bpermute_b32 v6, v18, v4
	s_wait_dscnt 0x0
	v_min_i32_e32 v4, v6, v4
	ds_bpermute_b32 v6, v19, v4
	s_wait_dscnt 0x0
	v_min_i32_e32 v4, v6, v4
	ds_bpermute_b32 v6, v20, v4
	v_and_b32_e32 v4, 1, v7
	s_delay_alu instid0(VALU_DEP_1)
	v_cmp_eq_u32_e32 vcc_lo, 1, v4
	v_mov_b32_e32 v4, 0
	s_and_saveexec_b32 s0, vcc_lo
	s_cbranch_execz .LBB29_9
; %bb.19:                               ;   in Loop: Header=BB29_10 Depth=1
	v_add_nc_u32_e32 v3, s17, v3
	global_store_b32 v2, v3, s[2:3] scale_offset
	s_wait_xcnt 0x0
	s_and_saveexec_b32 s20, s4
	s_cbranch_execz .LBB29_8
; %bb.20:                               ;   in Loop: Header=BB29_10 Depth=1
	v_ashrrev_i32_e32 v3, 31, v2
	s_and_b32 vcc_lo, exec_lo, s18
	s_delay_alu instid0(VALU_DEP_1)
	v_mul_u64_e32 v[12:13], s[14:15], v[2:3]
	ds_load_b32 v3, v21
	s_cbranch_vccz .LBB29_22
; %bb.21:                               ;   in Loop: Header=BB29_10 Depth=1
	v_lshl_add_u64 v[28:29], v[12:13], 2, v[8:9]
	s_wait_dscnt 0x0
	global_store_b32 v[28:29], v3, off
	s_cbranch_execnz .LBB29_8
	s_branch .LBB29_23
.LBB29_22:                              ;   in Loop: Header=BB29_10 Depth=1
.LBB29_23:                              ;   in Loop: Header=BB29_10 Depth=1
	v_lshl_add_u64 v[12:13], v[12:13], 2, v[10:11]
	s_wait_dscnt 0x0
	global_store_b32 v[12:13], v3, off
	s_branch .LBB29_8
.LBB29_24:
	s_endpgm
	.section	.rodata,"a",@progbits
	.p2align	6, 0x0
	.amdhsa_kernel _ZN9rocsparseL44csr2gebsr_wavefront_per_row_multipass_kernelILi256ELi4ELi8ELi32EfEEv20rocsparse_direction_iiiiii21rocsparse_index_base_PKT3_PKiS7_S2_PS3_PiS9_
		.amdhsa_group_segment_fixed_size 1032
		.amdhsa_private_segment_fixed_size 0
		.amdhsa_kernarg_size 88
		.amdhsa_user_sgpr_count 2
		.amdhsa_user_sgpr_dispatch_ptr 0
		.amdhsa_user_sgpr_queue_ptr 0
		.amdhsa_user_sgpr_kernarg_segment_ptr 1
		.amdhsa_user_sgpr_dispatch_id 0
		.amdhsa_user_sgpr_kernarg_preload_length 0
		.amdhsa_user_sgpr_kernarg_preload_offset 0
		.amdhsa_user_sgpr_private_segment_size 0
		.amdhsa_wavefront_size32 1
		.amdhsa_uses_dynamic_stack 0
		.amdhsa_enable_private_segment 0
		.amdhsa_system_sgpr_workgroup_id_x 1
		.amdhsa_system_sgpr_workgroup_id_y 0
		.amdhsa_system_sgpr_workgroup_id_z 0
		.amdhsa_system_sgpr_workgroup_info 0
		.amdhsa_system_vgpr_workitem_id 0
		.amdhsa_next_free_vgpr 34
		.amdhsa_next_free_sgpr 23
		.amdhsa_named_barrier_count 0
		.amdhsa_reserve_vcc 1
		.amdhsa_float_round_mode_32 0
		.amdhsa_float_round_mode_16_64 0
		.amdhsa_float_denorm_mode_32 3
		.amdhsa_float_denorm_mode_16_64 3
		.amdhsa_fp16_overflow 0
		.amdhsa_memory_ordered 1
		.amdhsa_forward_progress 1
		.amdhsa_inst_pref_size 12
		.amdhsa_round_robin_scheduling 0
		.amdhsa_exception_fp_ieee_invalid_op 0
		.amdhsa_exception_fp_denorm_src 0
		.amdhsa_exception_fp_ieee_div_zero 0
		.amdhsa_exception_fp_ieee_overflow 0
		.amdhsa_exception_fp_ieee_underflow 0
		.amdhsa_exception_fp_ieee_inexact 0
		.amdhsa_exception_int_div_zero 0
	.end_amdhsa_kernel
	.section	.text._ZN9rocsparseL44csr2gebsr_wavefront_per_row_multipass_kernelILi256ELi4ELi8ELi32EfEEv20rocsparse_direction_iiiiii21rocsparse_index_base_PKT3_PKiS7_S2_PS3_PiS9_,"axG",@progbits,_ZN9rocsparseL44csr2gebsr_wavefront_per_row_multipass_kernelILi256ELi4ELi8ELi32EfEEv20rocsparse_direction_iiiiii21rocsparse_index_base_PKT3_PKiS7_S2_PS3_PiS9_,comdat
.Lfunc_end29:
	.size	_ZN9rocsparseL44csr2gebsr_wavefront_per_row_multipass_kernelILi256ELi4ELi8ELi32EfEEv20rocsparse_direction_iiiiii21rocsparse_index_base_PKT3_PKiS7_S2_PS3_PiS9_, .Lfunc_end29-_ZN9rocsparseL44csr2gebsr_wavefront_per_row_multipass_kernelILi256ELi4ELi8ELi32EfEEv20rocsparse_direction_iiiiii21rocsparse_index_base_PKT3_PKiS7_S2_PS3_PiS9_
                                        ; -- End function
	.set _ZN9rocsparseL44csr2gebsr_wavefront_per_row_multipass_kernelILi256ELi4ELi8ELi32EfEEv20rocsparse_direction_iiiiii21rocsparse_index_base_PKT3_PKiS7_S2_PS3_PiS9_.num_vgpr, 34
	.set _ZN9rocsparseL44csr2gebsr_wavefront_per_row_multipass_kernelILi256ELi4ELi8ELi32EfEEv20rocsparse_direction_iiiiii21rocsparse_index_base_PKT3_PKiS7_S2_PS3_PiS9_.num_agpr, 0
	.set _ZN9rocsparseL44csr2gebsr_wavefront_per_row_multipass_kernelILi256ELi4ELi8ELi32EfEEv20rocsparse_direction_iiiiii21rocsparse_index_base_PKT3_PKiS7_S2_PS3_PiS9_.numbered_sgpr, 23
	.set _ZN9rocsparseL44csr2gebsr_wavefront_per_row_multipass_kernelILi256ELi4ELi8ELi32EfEEv20rocsparse_direction_iiiiii21rocsparse_index_base_PKT3_PKiS7_S2_PS3_PiS9_.num_named_barrier, 0
	.set _ZN9rocsparseL44csr2gebsr_wavefront_per_row_multipass_kernelILi256ELi4ELi8ELi32EfEEv20rocsparse_direction_iiiiii21rocsparse_index_base_PKT3_PKiS7_S2_PS3_PiS9_.private_seg_size, 0
	.set _ZN9rocsparseL44csr2gebsr_wavefront_per_row_multipass_kernelILi256ELi4ELi8ELi32EfEEv20rocsparse_direction_iiiiii21rocsparse_index_base_PKT3_PKiS7_S2_PS3_PiS9_.uses_vcc, 1
	.set _ZN9rocsparseL44csr2gebsr_wavefront_per_row_multipass_kernelILi256ELi4ELi8ELi32EfEEv20rocsparse_direction_iiiiii21rocsparse_index_base_PKT3_PKiS7_S2_PS3_PiS9_.uses_flat_scratch, 0
	.set _ZN9rocsparseL44csr2gebsr_wavefront_per_row_multipass_kernelILi256ELi4ELi8ELi32EfEEv20rocsparse_direction_iiiiii21rocsparse_index_base_PKT3_PKiS7_S2_PS3_PiS9_.has_dyn_sized_stack, 0
	.set _ZN9rocsparseL44csr2gebsr_wavefront_per_row_multipass_kernelILi256ELi4ELi8ELi32EfEEv20rocsparse_direction_iiiiii21rocsparse_index_base_PKT3_PKiS7_S2_PS3_PiS9_.has_recursion, 0
	.set _ZN9rocsparseL44csr2gebsr_wavefront_per_row_multipass_kernelILi256ELi4ELi8ELi32EfEEv20rocsparse_direction_iiiiii21rocsparse_index_base_PKT3_PKiS7_S2_PS3_PiS9_.has_indirect_call, 0
	.section	.AMDGPU.csdata,"",@progbits
; Kernel info:
; codeLenInByte = 1436
; TotalNumSgprs: 25
; NumVgprs: 34
; ScratchSize: 0
; MemoryBound: 0
; FloatMode: 240
; IeeeMode: 1
; LDSByteSize: 1032 bytes/workgroup (compile time only)
; SGPRBlocks: 0
; VGPRBlocks: 2
; NumSGPRsForWavesPerEU: 25
; NumVGPRsForWavesPerEU: 34
; NamedBarCnt: 0
; Occupancy: 16
; WaveLimiterHint : 0
; COMPUTE_PGM_RSRC2:SCRATCH_EN: 0
; COMPUTE_PGM_RSRC2:USER_SGPR: 2
; COMPUTE_PGM_RSRC2:TRAP_HANDLER: 0
; COMPUTE_PGM_RSRC2:TGID_X_EN: 1
; COMPUTE_PGM_RSRC2:TGID_Y_EN: 0
; COMPUTE_PGM_RSRC2:TGID_Z_EN: 0
; COMPUTE_PGM_RSRC2:TIDIG_COMP_CNT: 0
	.section	.text._ZN9rocsparseL44csr2gebsr_wavefront_per_row_multipass_kernelILi256ELi4ELi16ELi64EfEEv20rocsparse_direction_iiiiii21rocsparse_index_base_PKT3_PKiS7_S2_PS3_PiS9_,"axG",@progbits,_ZN9rocsparseL44csr2gebsr_wavefront_per_row_multipass_kernelILi256ELi4ELi16ELi64EfEEv20rocsparse_direction_iiiiii21rocsparse_index_base_PKT3_PKiS7_S2_PS3_PiS9_,comdat
	.globl	_ZN9rocsparseL44csr2gebsr_wavefront_per_row_multipass_kernelILi256ELi4ELi16ELi64EfEEv20rocsparse_direction_iiiiii21rocsparse_index_base_PKT3_PKiS7_S2_PS3_PiS9_ ; -- Begin function _ZN9rocsparseL44csr2gebsr_wavefront_per_row_multipass_kernelILi256ELi4ELi16ELi64EfEEv20rocsparse_direction_iiiiii21rocsparse_index_base_PKT3_PKiS7_S2_PS3_PiS9_
	.p2align	8
	.type	_ZN9rocsparseL44csr2gebsr_wavefront_per_row_multipass_kernelILi256ELi4ELi16ELi64EfEEv20rocsparse_direction_iiiiii21rocsparse_index_base_PKT3_PKiS7_S2_PS3_PiS9_,@function
_ZN9rocsparseL44csr2gebsr_wavefront_per_row_multipass_kernelILi256ELi4ELi16ELi64EfEEv20rocsparse_direction_iiiiii21rocsparse_index_base_PKT3_PKiS7_S2_PS3_PiS9_: ; @_ZN9rocsparseL44csr2gebsr_wavefront_per_row_multipass_kernelILi256ELi4ELi16ELi64EfEEv20rocsparse_direction_iiiiii21rocsparse_index_base_PKT3_PKiS7_S2_PS3_PiS9_
; %bb.0:
	s_clause 0x1
	s_load_b128 s[4:7], s[0:1], 0xc
	s_load_b64 s[12:13], s[0:1], 0x0
	s_bfe_u32 s2, ttmp6, 0x4000c
	s_and_b32 s3, ttmp6, 15
	s_add_co_i32 s2, s2, 1
	s_getreg_b32 s8, hwreg(HW_REG_IB_STS2, 6, 4)
	s_mul_i32 s2, ttmp9, s2
	v_dual_lshrrev_b32 v14, 6, v0 :: v_dual_mov_b32 v2, 0
	s_add_co_i32 s3, s3, s2
	s_cmp_eq_u32 s8, 0
	v_bfe_u32 v1, v0, 4, 2
	s_cselect_b32 s2, ttmp9, s3
	s_clause 0x1
	s_load_b32 s16, s[0:1], 0x1c
	s_load_b64 s[8:9], s[0:1], 0x28
	v_lshl_or_b32 v3, s2, 2, v14
	v_mov_b32_e32 v6, 0
	s_wait_kmcnt 0x0
	s_delay_alu instid0(VALU_DEP_2) | instskip(SKIP_1) | instid1(VALU_DEP_2)
	v_mad_u32 v4, v3, s6, v1
	v_cmp_gt_i32_e32 vcc_lo, s6, v1
	v_cmp_gt_i32_e64 s2, s13, v4
	s_and_b32 s2, vcc_lo, s2
	s_delay_alu instid0(SALU_CYCLE_1)
	s_and_saveexec_b32 s3, s2
	s_cbranch_execz .LBB30_2
; %bb.1:
	global_load_b32 v5, v4, s[8:9] scale_offset
	s_wait_loadcnt 0x0
	v_subrev_nc_u32_e32 v6, s16, v5
.LBB30_2:
	s_or_b32 exec_lo, exec_lo, s3
	v_mov_b32_e32 v15, 0
	s_and_saveexec_b32 s3, s2
	s_cbranch_execz .LBB30_4
; %bb.3:
	global_load_b32 v4, v4, s[8:9] offset:4 scale_offset
	s_wait_loadcnt 0x0
	v_subrev_nc_u32_e32 v15, s16, v4
.LBB30_4:
	s_or_b32 exec_lo, exec_lo, s3
	s_load_b32 s17, s[0:1], 0x38
	s_mov_b32 s3, exec_lo
	v_cmpx_gt_i32_e64 s4, v3
	s_cbranch_execz .LBB30_6
; %bb.5:
	s_load_b64 s[8:9], s[0:1], 0x48
	s_wait_kmcnt 0x0
	global_load_b32 v2, v3, s[8:9] scale_offset
	s_wait_loadcnt 0x0
	v_subrev_nc_u32_e32 v2, s17, v2
.LBB30_6:
	s_or_b32 exec_lo, exec_lo, s3
	s_cmp_lt_i32 s5, 1
	s_cbranch_scc1 .LBB30_24
; %bb.7:
	v_and_b32_e32 v3, 0xc0, v0
	v_dual_lshlrev_b32 v4, 6, v1 :: v_dual_bitop2_b32 v0, 15, v0 bitop3:0x40
	v_mbcnt_lo_u32_b32 v7, -1, 0
	s_clause 0x3
	s_load_b64 s[2:3], s[0:1], 0x50
	s_load_b64 s[14:15], s[0:1], 0x40
	;; [unrolled: 1-line block ×4, first 2 shown]
	v_mul_lo_u32 v12, s7, v1
	v_lshl_or_b32 v16, v3, 2, v4
	v_dual_lshlrev_b32 v10, 2, v0 :: v_dual_bitop2_b32 v8, 1, v7 bitop3:0x14
	v_xor_b32_e32 v4, 2, v7
	v_xor_b32_e32 v5, 8, v7
	v_lshl_or_b32 v21, v7, 2, 60
	v_bfrev_b32_e32 v25, 0.5
	s_mov_b32 s13, 0
	v_mov_b32_e32 v26, 1
	s_wait_xcnt 0x0
	v_cmp_gt_i32_e64 s0, 32, v5
	s_delay_alu instid0(VALU_DEP_1) | instskip(NEXT) | instid1(VALU_DEP_1)
	v_dual_cndmask_b32 v5, v7, v5, s0 :: v_dual_bitop2_b32 v3, 4, v7 bitop3:0x14
	v_cmp_gt_i32_e64 s0, 32, v3
	s_delay_alu instid0(VALU_DEP_1) | instskip(SKIP_3) | instid1(VALU_DEP_3)
	v_dual_lshlrev_b32 v17, 2, v5 :: v_dual_cndmask_b32 v3, v7, v3, s0
	v_cmp_gt_i32_e64 s0, 32, v4
	v_dual_mov_b32 v5, 0 :: v_dual_bitop2_b32 v22, v16, v10 bitop3:0x54
	v_ashrrev_i32_e32 v13, 31, v12
	v_cndmask_b32_e64 v4, v7, v4, s0
	v_cmp_gt_i32_e64 s0, 32, v8
	s_delay_alu instid0(VALU_DEP_2) | instskip(NEXT) | instid1(VALU_DEP_2)
	v_dual_mov_b32 v11, v5 :: v_dual_lshlrev_b32 v19, 2, v4
	v_cndmask_b32_e64 v8, v7, v8, s0
	v_cmp_gt_u32_e64 s0, s7, v0
	v_mul_lo_u32 v4, s6, v0
	s_delay_alu instid0(VALU_DEP_3)
	v_dual_lshlrev_b32 v18, 2, v3 :: v_dual_lshlrev_b32 v20, 2, v8
	s_and_b32 s4, vcc_lo, s0
	s_cmp_lg_u32 s12, 0
	s_mov_b32 s12, s6
	s_cselect_b32 s18, -1, 0
	s_abs_i32 s19, s7
	s_ashr_i32 s1, s7, 31
	s_cvt_f32_u32 s0, s19
	s_wait_kmcnt 0x0
	s_delay_alu instid0(VALU_DEP_2) | instskip(SKIP_4) | instid1(VALU_DEP_2)
	v_lshl_add_u64 v[8:9], v[4:5], 2, s[14:15]
	v_dual_mov_b32 v1, v5 :: v_dual_lshlrev_b32 v4, 2, v1
	v_rcp_iflag_f32_e32 v3, s0
	v_lshl_add_u64 v[12:13], v[12:13], 2, s[14:15]
	s_sub_co_i32 s14, 0, s19
	v_add_nc_u64_e32 v[8:9], v[8:9], v[4:5]
	v_or_b32_e32 v4, 32, v7
	s_mov_b32 s0, s7
	v_add_nc_u64_e32 v[10:11], v[12:13], v[10:11]
	v_readfirstlane_b32 s6, v3
	s_delay_alu instid0(VALU_DEP_3) | instskip(SKIP_3) | instid1(VALU_DEP_2)
	v_cmp_gt_i32_e32 vcc_lo, 32, v4
	v_xor_b32_e32 v3, 16, v7
	s_mul_f32 s6, s6, 0x4f7ffffe
	v_cndmask_b32_e32 v4, v7, v4, vcc_lo
	v_cmp_gt_i32_e32 vcc_lo, 32, v3
	s_delay_alu instid0(SALU_CYCLE_1) | instskip(NEXT) | instid1(VALU_DEP_2)
	s_cvt_u32_f32 s6, s6
	v_dual_lshlrev_b32 v23, 2, v4 :: v_dual_cndmask_b32 v3, v7, v3, vcc_lo
	s_delay_alu instid0(SALU_CYCLE_2) | instskip(NEXT) | instid1(SALU_CYCLE_1)
	s_mul_i32 s14, s14, s6
	s_mul_hi_u32 s20, s6, s14
	s_mul_u64 s[14:15], s[0:1], s[12:13]
	s_delay_alu instid0(VALU_DEP_1)
	v_dual_mov_b32 v3, 0 :: v_dual_lshlrev_b32 v24, 2, v3
	s_add_co_i32 s12, s6, s20
	s_mov_b32 s6, s13
	s_branch .LBB30_10
.LBB30_8:                               ;   in Loop: Header=BB30_10 Depth=1
	s_wait_xcnt 0x0
	s_or_b32 exec_lo, exec_lo, s20
	v_mov_b32_e32 v4, 1
.LBB30_9:                               ;   in Loop: Header=BB30_10 Depth=1
	s_or_b32 exec_lo, exec_lo, s0
	s_wait_dscnt 0x0
	ds_bpermute_b32 v3, v23, v27
	s_wait_storecnt_dscnt 0x0
	v_dual_add_nc_u32 v2, v4, v2 :: v_dual_min_i32 v3, v3, v27
	ds_bpermute_b32 v7, v24, v3
	s_wait_dscnt 0x0
	v_min_i32_e32 v3, v7, v3
	ds_bpermute_b32 v7, v17, v3
	s_wait_dscnt 0x0
	v_min_i32_e32 v3, v7, v3
	;; [unrolled: 3-line block ×5, first 2 shown]
	ds_bpermute_b32 v3, v25, v3
	s_wait_dscnt 0x0
	v_cmp_le_i32_e32 vcc_lo, s5, v3
	s_or_b32 s6, vcc_lo, s6
	s_delay_alu instid0(SALU_CYCLE_1)
	s_and_not1_b32 exec_lo, exec_lo, s6
	s_cbranch_execz .LBB30_24
.LBB30_10:                              ; =>This Loop Header: Depth=1
                                        ;     Child Loop BB30_13 Depth 2
	v_dual_mov_b32 v27, s5 :: v_dual_add_nc_u32 v28, v6, v0
	v_mov_b32_e32 v30, v15
	s_mov_b32 s20, exec_lo
	ds_store_b8 v14, v5 offset:1024
	ds_store_b32 v22, v5
	s_wait_dscnt 0x0
	v_cmpx_lt_i32_e64 v28, v15
	s_cbranch_execz .LBB30_18
; %bb.11:                               ;   in Loop: Header=BB30_10 Depth=1
	v_dual_ashrrev_i32 v7, 31, v6 :: v_dual_mov_b32 v27, s5
	v_mul_lo_u32 v29, v3, s7
	v_mov_b32_e32 v30, v15
	s_mov_b32 s21, 0
	s_delay_alu instid0(VALU_DEP_3) | instskip(NEXT) | instid1(VALU_DEP_1)
	v_add_nc_u64_e32 v[6:7], v[0:1], v[6:7]
	v_lshlrev_b64_e32 v[12:13], 2, v[6:7]
	s_delay_alu instid0(VALU_DEP_1)
	v_add_nc_u64_e32 v[6:7], s[10:11], v[12:13]
	v_add_nc_u64_e32 v[12:13], s[8:9], v[12:13]
	s_branch .LBB30_13
.LBB30_12:                              ;   in Loop: Header=BB30_13 Depth=2
	s_wait_xcnt 0x0
	s_or_b32 exec_lo, exec_lo, s0
	v_add_nc_u32_e32 v28, 16, v28
	s_xor_b32 s22, vcc_lo, -1
	v_add_nc_u64_e32 v[6:7], 64, v[6:7]
	v_add_nc_u64_e32 v[12:13], 64, v[12:13]
	s_delay_alu instid0(VALU_DEP_3) | instskip(SKIP_1) | instid1(SALU_CYCLE_1)
	v_cmp_ge_i32_e64 s0, v28, v15
	s_or_b32 s0, s22, s0
	s_and_b32 s0, exec_lo, s0
	s_delay_alu instid0(SALU_CYCLE_1) | instskip(NEXT) | instid1(SALU_CYCLE_1)
	s_or_b32 s21, s0, s21
	s_and_not1_b32 exec_lo, exec_lo, s21
	s_cbranch_execz .LBB30_17
.LBB30_13:                              ;   Parent Loop BB30_10 Depth=1
                                        ; =>  This Inner Loop Header: Depth=2
	global_load_b32 v4, v[6:7], off
	s_wait_loadcnt 0x0
	v_subrev_nc_u32_e32 v31, s16, v4
	s_delay_alu instid0(VALU_DEP_1) | instskip(NEXT) | instid1(VALU_DEP_1)
	v_sub_nc_u32_e32 v4, 0, v31
	v_max_i32_e32 v4, v31, v4
	s_delay_alu instid0(VALU_DEP_1) | instskip(NEXT) | instid1(VALU_DEP_1)
	v_mul_u64_e32 v[32:33], s[12:13], v[4:5]
	v_mul_lo_u32 v32, v33, s19
	s_delay_alu instid0(VALU_DEP_1) | instskip(NEXT) | instid1(VALU_DEP_1)
	v_dual_sub_nc_u32 v4, v4, v32 :: v_dual_add_nc_u32 v32, 1, v33
	v_cmp_le_u32_e32 vcc_lo, s19, v4
	s_delay_alu instid0(VALU_DEP_2) | instskip(SKIP_1) | instid1(VALU_DEP_1)
	v_cndmask_b32_e32 v32, v33, v32, vcc_lo
	v_subrev_nc_u32_e32 v34, s19, v4
	v_dual_cndmask_b32 v4, v4, v34 :: v_dual_ashrrev_i32 v33, 31, v31
	s_delay_alu instid0(VALU_DEP_3) | instskip(NEXT) | instid1(VALU_DEP_2)
	v_add_nc_u32_e32 v34, 1, v32
	v_cmp_le_u32_e32 vcc_lo, s19, v4
	s_delay_alu instid0(VALU_DEP_2) | instskip(NEXT) | instid1(VALU_DEP_1)
	v_dual_cndmask_b32 v4, v32, v34, vcc_lo :: v_dual_bitop2_b32 v33, s1, v33 bitop3:0x14
	v_xor_b32_e32 v4, v4, v33
	s_delay_alu instid0(VALU_DEP_1) | instskip(NEXT) | instid1(VALU_DEP_1)
	v_dual_sub_nc_u32 v32, v4, v33 :: v_dual_mov_b32 v4, v30
	v_cmp_ne_u32_e64 s0, v32, v3
	v_cmp_eq_u32_e32 vcc_lo, v32, v3
	s_wait_xcnt 0x0
	s_and_saveexec_b32 s22, s0
	s_delay_alu instid0(SALU_CYCLE_1)
	s_xor_b32 s0, exec_lo, s22
; %bb.14:                               ;   in Loop: Header=BB30_13 Depth=2
	v_min_i32_e32 v27, v32, v27
                                        ; implicit-def: $vgpr31
                                        ; implicit-def: $vgpr4
; %bb.15:                               ;   in Loop: Header=BB30_13 Depth=2
	s_or_saveexec_b32 s0, s0
	v_mov_b32_e32 v30, v28
	s_xor_b32 exec_lo, exec_lo, s0
	s_cbranch_execz .LBB30_12
; %bb.16:                               ;   in Loop: Header=BB30_13 Depth=2
	global_load_b32 v32, v[12:13], off
	v_sub_nc_u32_e32 v30, v31, v29
	s_delay_alu instid0(VALU_DEP_1)
	v_lshl_add_u32 v31, v30, 2, v16
	v_mov_b32_e32 v30, v4
	ds_store_b8 v14, v26 offset:1024
	s_wait_loadcnt 0x0
	ds_store_b32 v31, v32
	s_branch .LBB30_12
.LBB30_17:                              ;   in Loop: Header=BB30_10 Depth=1
	s_or_b32 exec_lo, exec_lo, s21
.LBB30_18:                              ;   in Loop: Header=BB30_10 Depth=1
	s_delay_alu instid0(SALU_CYCLE_1)
	s_or_b32 exec_lo, exec_lo, s20
	ds_bpermute_b32 v4, v17, v30
	s_wait_dscnt 0x0
	ds_load_u8 v7, v14 offset:1024
	v_min_i32_e32 v4, v4, v30
	ds_bpermute_b32 v6, v18, v4
	s_wait_dscnt 0x0
	v_min_i32_e32 v4, v6, v4
	ds_bpermute_b32 v6, v19, v4
	s_wait_dscnt 0x0
	;; [unrolled: 3-line block ×3, first 2 shown]
	v_min_i32_e32 v4, v6, v4
	ds_bpermute_b32 v6, v21, v4
	v_and_b32_e32 v4, 1, v7
	s_delay_alu instid0(VALU_DEP_1)
	v_cmp_eq_u32_e32 vcc_lo, 1, v4
	v_mov_b32_e32 v4, 0
	s_and_saveexec_b32 s0, vcc_lo
	s_cbranch_execz .LBB30_9
; %bb.19:                               ;   in Loop: Header=BB30_10 Depth=1
	v_add_nc_u32_e32 v3, s17, v3
	global_store_b32 v2, v3, s[2:3] scale_offset
	s_wait_xcnt 0x0
	s_and_saveexec_b32 s20, s4
	s_cbranch_execz .LBB30_8
; %bb.20:                               ;   in Loop: Header=BB30_10 Depth=1
	v_ashrrev_i32_e32 v3, 31, v2
	s_and_b32 vcc_lo, exec_lo, s18
	s_delay_alu instid0(VALU_DEP_1)
	v_mul_u64_e32 v[12:13], s[14:15], v[2:3]
	ds_load_b32 v3, v22
	s_cbranch_vccz .LBB30_22
; %bb.21:                               ;   in Loop: Header=BB30_10 Depth=1
	v_lshl_add_u64 v[28:29], v[12:13], 2, v[8:9]
	s_wait_dscnt 0x0
	global_store_b32 v[28:29], v3, off
	s_cbranch_execnz .LBB30_8
	s_branch .LBB30_23
.LBB30_22:                              ;   in Loop: Header=BB30_10 Depth=1
.LBB30_23:                              ;   in Loop: Header=BB30_10 Depth=1
	v_lshl_add_u64 v[12:13], v[12:13], 2, v[10:11]
	s_wait_dscnt 0x0
	global_store_b32 v[12:13], v3, off
	s_branch .LBB30_8
.LBB30_24:
	s_endpgm
	.section	.rodata,"a",@progbits
	.p2align	6, 0x0
	.amdhsa_kernel _ZN9rocsparseL44csr2gebsr_wavefront_per_row_multipass_kernelILi256ELi4ELi16ELi64EfEEv20rocsparse_direction_iiiiii21rocsparse_index_base_PKT3_PKiS7_S2_PS3_PiS9_
		.amdhsa_group_segment_fixed_size 1028
		.amdhsa_private_segment_fixed_size 0
		.amdhsa_kernarg_size 88
		.amdhsa_user_sgpr_count 2
		.amdhsa_user_sgpr_dispatch_ptr 0
		.amdhsa_user_sgpr_queue_ptr 0
		.amdhsa_user_sgpr_kernarg_segment_ptr 1
		.amdhsa_user_sgpr_dispatch_id 0
		.amdhsa_user_sgpr_kernarg_preload_length 0
		.amdhsa_user_sgpr_kernarg_preload_offset 0
		.amdhsa_user_sgpr_private_segment_size 0
		.amdhsa_wavefront_size32 1
		.amdhsa_uses_dynamic_stack 0
		.amdhsa_enable_private_segment 0
		.amdhsa_system_sgpr_workgroup_id_x 1
		.amdhsa_system_sgpr_workgroup_id_y 0
		.amdhsa_system_sgpr_workgroup_id_z 0
		.amdhsa_system_sgpr_workgroup_info 0
		.amdhsa_system_vgpr_workitem_id 0
		.amdhsa_next_free_vgpr 35
		.amdhsa_next_free_sgpr 23
		.amdhsa_named_barrier_count 0
		.amdhsa_reserve_vcc 1
		.amdhsa_float_round_mode_32 0
		.amdhsa_float_round_mode_16_64 0
		.amdhsa_float_denorm_mode_32 3
		.amdhsa_float_denorm_mode_16_64 3
		.amdhsa_fp16_overflow 0
		.amdhsa_memory_ordered 1
		.amdhsa_forward_progress 1
		.amdhsa_inst_pref_size 12
		.amdhsa_round_robin_scheduling 0
		.amdhsa_exception_fp_ieee_invalid_op 0
		.amdhsa_exception_fp_denorm_src 0
		.amdhsa_exception_fp_ieee_div_zero 0
		.amdhsa_exception_fp_ieee_overflow 0
		.amdhsa_exception_fp_ieee_underflow 0
		.amdhsa_exception_fp_ieee_inexact 0
		.amdhsa_exception_int_div_zero 0
	.end_amdhsa_kernel
	.section	.text._ZN9rocsparseL44csr2gebsr_wavefront_per_row_multipass_kernelILi256ELi4ELi16ELi64EfEEv20rocsparse_direction_iiiiii21rocsparse_index_base_PKT3_PKiS7_S2_PS3_PiS9_,"axG",@progbits,_ZN9rocsparseL44csr2gebsr_wavefront_per_row_multipass_kernelILi256ELi4ELi16ELi64EfEEv20rocsparse_direction_iiiiii21rocsparse_index_base_PKT3_PKiS7_S2_PS3_PiS9_,comdat
.Lfunc_end30:
	.size	_ZN9rocsparseL44csr2gebsr_wavefront_per_row_multipass_kernelILi256ELi4ELi16ELi64EfEEv20rocsparse_direction_iiiiii21rocsparse_index_base_PKT3_PKiS7_S2_PS3_PiS9_, .Lfunc_end30-_ZN9rocsparseL44csr2gebsr_wavefront_per_row_multipass_kernelILi256ELi4ELi16ELi64EfEEv20rocsparse_direction_iiiiii21rocsparse_index_base_PKT3_PKiS7_S2_PS3_PiS9_
                                        ; -- End function
	.set _ZN9rocsparseL44csr2gebsr_wavefront_per_row_multipass_kernelILi256ELi4ELi16ELi64EfEEv20rocsparse_direction_iiiiii21rocsparse_index_base_PKT3_PKiS7_S2_PS3_PiS9_.num_vgpr, 35
	.set _ZN9rocsparseL44csr2gebsr_wavefront_per_row_multipass_kernelILi256ELi4ELi16ELi64EfEEv20rocsparse_direction_iiiiii21rocsparse_index_base_PKT3_PKiS7_S2_PS3_PiS9_.num_agpr, 0
	.set _ZN9rocsparseL44csr2gebsr_wavefront_per_row_multipass_kernelILi256ELi4ELi16ELi64EfEEv20rocsparse_direction_iiiiii21rocsparse_index_base_PKT3_PKiS7_S2_PS3_PiS9_.numbered_sgpr, 23
	.set _ZN9rocsparseL44csr2gebsr_wavefront_per_row_multipass_kernelILi256ELi4ELi16ELi64EfEEv20rocsparse_direction_iiiiii21rocsparse_index_base_PKT3_PKiS7_S2_PS3_PiS9_.num_named_barrier, 0
	.set _ZN9rocsparseL44csr2gebsr_wavefront_per_row_multipass_kernelILi256ELi4ELi16ELi64EfEEv20rocsparse_direction_iiiiii21rocsparse_index_base_PKT3_PKiS7_S2_PS3_PiS9_.private_seg_size, 0
	.set _ZN9rocsparseL44csr2gebsr_wavefront_per_row_multipass_kernelILi256ELi4ELi16ELi64EfEEv20rocsparse_direction_iiiiii21rocsparse_index_base_PKT3_PKiS7_S2_PS3_PiS9_.uses_vcc, 1
	.set _ZN9rocsparseL44csr2gebsr_wavefront_per_row_multipass_kernelILi256ELi4ELi16ELi64EfEEv20rocsparse_direction_iiiiii21rocsparse_index_base_PKT3_PKiS7_S2_PS3_PiS9_.uses_flat_scratch, 0
	.set _ZN9rocsparseL44csr2gebsr_wavefront_per_row_multipass_kernelILi256ELi4ELi16ELi64EfEEv20rocsparse_direction_iiiiii21rocsparse_index_base_PKT3_PKiS7_S2_PS3_PiS9_.has_dyn_sized_stack, 0
	.set _ZN9rocsparseL44csr2gebsr_wavefront_per_row_multipass_kernelILi256ELi4ELi16ELi64EfEEv20rocsparse_direction_iiiiii21rocsparse_index_base_PKT3_PKiS7_S2_PS3_PiS9_.has_recursion, 0
	.set _ZN9rocsparseL44csr2gebsr_wavefront_per_row_multipass_kernelILi256ELi4ELi16ELi64EfEEv20rocsparse_direction_iiiiii21rocsparse_index_base_PKT3_PKiS7_S2_PS3_PiS9_.has_indirect_call, 0
	.section	.AMDGPU.csdata,"",@progbits
; Kernel info:
; codeLenInByte = 1520
; TotalNumSgprs: 25
; NumVgprs: 35
; ScratchSize: 0
; MemoryBound: 0
; FloatMode: 240
; IeeeMode: 1
; LDSByteSize: 1028 bytes/workgroup (compile time only)
; SGPRBlocks: 0
; VGPRBlocks: 2
; NumSGPRsForWavesPerEU: 25
; NumVGPRsForWavesPerEU: 35
; NamedBarCnt: 0
; Occupancy: 16
; WaveLimiterHint : 0
; COMPUTE_PGM_RSRC2:SCRATCH_EN: 0
; COMPUTE_PGM_RSRC2:USER_SGPR: 2
; COMPUTE_PGM_RSRC2:TRAP_HANDLER: 0
; COMPUTE_PGM_RSRC2:TGID_X_EN: 1
; COMPUTE_PGM_RSRC2:TGID_Y_EN: 0
; COMPUTE_PGM_RSRC2:TGID_Z_EN: 0
; COMPUTE_PGM_RSRC2:TIDIG_COMP_CNT: 0
	.section	.text._ZN9rocsparseL44csr2gebsr_wavefront_per_row_multipass_kernelILi256ELi4ELi16ELi32EfEEv20rocsparse_direction_iiiiii21rocsparse_index_base_PKT3_PKiS7_S2_PS3_PiS9_,"axG",@progbits,_ZN9rocsparseL44csr2gebsr_wavefront_per_row_multipass_kernelILi256ELi4ELi16ELi32EfEEv20rocsparse_direction_iiiiii21rocsparse_index_base_PKT3_PKiS7_S2_PS3_PiS9_,comdat
	.globl	_ZN9rocsparseL44csr2gebsr_wavefront_per_row_multipass_kernelILi256ELi4ELi16ELi32EfEEv20rocsparse_direction_iiiiii21rocsparse_index_base_PKT3_PKiS7_S2_PS3_PiS9_ ; -- Begin function _ZN9rocsparseL44csr2gebsr_wavefront_per_row_multipass_kernelILi256ELi4ELi16ELi32EfEEv20rocsparse_direction_iiiiii21rocsparse_index_base_PKT3_PKiS7_S2_PS3_PiS9_
	.p2align	8
	.type	_ZN9rocsparseL44csr2gebsr_wavefront_per_row_multipass_kernelILi256ELi4ELi16ELi32EfEEv20rocsparse_direction_iiiiii21rocsparse_index_base_PKT3_PKiS7_S2_PS3_PiS9_,@function
_ZN9rocsparseL44csr2gebsr_wavefront_per_row_multipass_kernelILi256ELi4ELi16ELi32EfEEv20rocsparse_direction_iiiiii21rocsparse_index_base_PKT3_PKiS7_S2_PS3_PiS9_: ; @_ZN9rocsparseL44csr2gebsr_wavefront_per_row_multipass_kernelILi256ELi4ELi16ELi32EfEEv20rocsparse_direction_iiiiii21rocsparse_index_base_PKT3_PKiS7_S2_PS3_PiS9_
; %bb.0:
	s_clause 0x1
	s_load_b128 s[4:7], s[0:1], 0xc
	s_load_b64 s[12:13], s[0:1], 0x0
	s_bfe_u32 s2, ttmp6, 0x4000c
	s_and_b32 s3, ttmp6, 15
	s_add_co_i32 s2, s2, 1
	s_getreg_b32 s8, hwreg(HW_REG_IB_STS2, 6, 4)
	s_mul_i32 s2, ttmp9, s2
	v_dual_lshrrev_b32 v20, 5, v0 :: v_dual_mov_b32 v2, 0
	s_add_co_i32 s3, s3, s2
	s_cmp_eq_u32 s8, 0
	v_bfe_u32 v1, v0, 3, 2
	s_cselect_b32 s2, ttmp9, s3
	s_clause 0x1
	s_load_b32 s18, s[0:1], 0x1c
	s_load_b64 s[8:9], s[0:1], 0x28
	v_lshl_or_b32 v3, s2, 3, v20
	v_mov_b32_e32 v8, 0
	s_wait_kmcnt 0x0
	s_delay_alu instid0(VALU_DEP_2) | instskip(SKIP_1) | instid1(VALU_DEP_2)
	v_mad_u32 v4, v3, s6, v1
	v_cmp_gt_i32_e32 vcc_lo, s6, v1
	v_cmp_gt_i32_e64 s2, s13, v4
	s_and_b32 s2, vcc_lo, s2
	s_delay_alu instid0(SALU_CYCLE_1)
	s_and_saveexec_b32 s3, s2
	s_cbranch_execz .LBB31_2
; %bb.1:
	global_load_b32 v5, v4, s[8:9] scale_offset
	s_wait_loadcnt 0x0
	v_subrev_nc_u32_e32 v8, s18, v5
.LBB31_2:
	s_or_b32 exec_lo, exec_lo, s3
	v_mov_b32_e32 v21, 0
	s_and_saveexec_b32 s3, s2
	s_cbranch_execz .LBB31_4
; %bb.3:
	global_load_b32 v4, v4, s[8:9] offset:4 scale_offset
	s_wait_loadcnt 0x0
	v_subrev_nc_u32_e32 v21, s18, v4
.LBB31_4:
	s_or_b32 exec_lo, exec_lo, s3
	s_load_b32 s19, s[0:1], 0x38
	s_mov_b32 s3, exec_lo
	v_cmpx_gt_i32_e64 s4, v3
	s_cbranch_execz .LBB31_6
; %bb.5:
	s_load_b64 s[8:9], s[0:1], 0x48
	s_wait_kmcnt 0x0
	global_load_b32 v2, v3, s[8:9] scale_offset
	s_wait_loadcnt 0x0
	v_subrev_nc_u32_e32 v2, s19, v2
.LBB31_6:
	s_or_b32 exec_lo, exec_lo, s3
	s_cmp_lt_i32 s5, 1
	s_cbranch_scc1 .LBB31_29
; %bb.7:
	v_mbcnt_lo_u32_b32 v3, -1, 0
	s_clause 0x3
	s_load_b64 s[2:3], s[0:1], 0x50
	s_load_b64 s[20:21], s[0:1], 0x40
	;; [unrolled: 1-line block ×4, first 2 shown]
	v_mul_lo_u32 v10, s7, v1
	s_cmp_lg_u32 s12, 0
	s_mov_b32 s13, 0
	v_dual_lshlrev_b32 v6, 6, v1 :: v_dual_bitop2_b32 v4, 4, v3 bitop3:0x14
	s_cselect_b32 s4, -1, 0
	s_mov_b32 s12, s6
	s_ashr_i32 s15, s7, 31
	s_wait_xcnt 0x0
	v_cmp_gt_i32_e64 s0, 32, v4
	v_xor_b32_e32 v5, 2, v3
	s_mov_b32 s14, s7
	v_lshl_or_b32 v22, v20, 8, v6
	s_mul_u64 s[16:17], s[14:15], s[12:13]
	v_dual_cndmask_b32 v4, v3, v4, s0 :: v_dual_bitop2_b32 v7, 1, v3 bitop3:0x14
	v_cmp_gt_i32_e64 s0, 32, v5
	v_and_b32_e32 v0, 7, v0
	s_abs_i32 s14, s7
	v_dual_lshlrev_b32 v23, 2, v4 :: v_dual_lshlrev_b32 v4, 2, v1
	v_cndmask_b32_e64 v5, v3, v5, s0
	v_cmp_gt_i32_e64 s0, 32, v7
	v_lshl_or_b32 v26, v3, 2, 28
	v_dual_mov_b32 v30, 0x7c :: v_dual_mov_b32 v31, 1
	s_delay_alu instid0(VALU_DEP_3) | instskip(SKIP_3) | instid1(VALU_DEP_3)
	v_dual_lshlrev_b32 v24, 2, v5 :: v_dual_cndmask_b32 v7, v3, v7, s0
	v_dual_mov_b32 v5, 0 :: v_dual_lshlrev_b32 v12, 2, v0
	s_cvt_f32_u32 s0, s14
	v_xor_b32_e32 v9, 8, v3
	v_lshlrev_b32_e32 v25, 2, v7
	s_wait_kmcnt 0x0
	v_add_nc_u64_e32 v[6:7], s[20:21], v[4:5]
	v_dual_mov_b32 v1, v5 :: v_dual_bitop2_b32 v4, 16, v3 bitop3:0x14
	v_dual_ashrrev_i32 v11, 31, v10 :: v_dual_bitop2_b32 v27, v22, v12 bitop3:0x54
	v_rcp_iflag_f32_e32 v14, s0
	v_mov_b32_e32 v13, v5
	s_delay_alu instid0(VALU_DEP_3) | instskip(SKIP_2) | instid1(VALU_DEP_3)
	v_cmp_gt_i32_e64 s0, 32, v4
	v_mov_b32_e32 v33, 0
	v_lshl_add_u64 v[10:11], v[10:11], 2, s[20:21]
	v_dual_mov_b32 v15, v5 :: v_dual_cndmask_b32 v4, v3, v4, s0
	v_cmp_gt_i32_e64 s0, 32, v9
	s_delay_alu instid0(VALU_DEP_3) | instskip(SKIP_1) | instid1(VALU_DEP_3)
	v_add_nc_u64_e32 v[10:11], v[10:11], v[12:13]
	v_mul_lo_u32 v12, v0, s6
	v_cndmask_b32_e64 v3, v3, v9, s0
	v_readfirstlane_b32 s0, v14
	s_delay_alu instid0(VALU_DEP_2)
	v_dual_lshlrev_b32 v28, 2, v4 :: v_dual_lshlrev_b32 v29, 2, v3
	s_mul_f32 s12, s0, 0x4f7ffffe
	v_or_b32_e32 v3, 8, v0
	v_cmp_gt_u32_e64 s0, s7, v0
	v_lshl_add_u32 v14, s6, 3, v12
	s_cvt_u32_f32 s12, s12
	s_sub_co_i32 s6, 0, s14
	v_cmp_gt_u32_e64 s1, s7, v3
	s_delay_alu instid0(SALU_CYCLE_1)
	s_mul_i32 s20, s6, s12
	s_and_b32 s6, s0, vcc_lo
	s_mul_hi_u32 s0, s12, s20
	s_and_b32 s1, vcc_lo, s1
	s_add_co_i32 s12, s12, s0
	s_mov_b32 s20, s13
	s_branch .LBB31_10
.LBB31_8:                               ;   in Loop: Header=BB31_10 Depth=1
	s_wait_xcnt 0x0
	s_or_b32 exec_lo, exec_lo, s21
	s_wait_dscnt 0x0
	v_mov_b32_e32 v3, 1
.LBB31_9:                               ;   in Loop: Header=BB31_10 Depth=1
	s_or_b32 exec_lo, exec_lo, s0
	ds_bpermute_b32 v4, v28, v32
	s_wait_storecnt_dscnt 0x0
	v_dual_add_nc_u32 v2, v3, v2 :: v_dual_min_i32 v4, v4, v32
	ds_bpermute_b32 v9, v29, v4
	s_wait_dscnt 0x0
	v_min_i32_e32 v4, v9, v4
	ds_bpermute_b32 v9, v23, v4
	s_wait_dscnt 0x0
	v_min_i32_e32 v4, v9, v4
	ds_bpermute_b32 v9, v24, v4
	s_wait_dscnt 0x0
	v_min_i32_e32 v4, v9, v4
	ds_bpermute_b32 v9, v25, v4
	s_wait_dscnt 0x0
	v_min_i32_e32 v4, v9, v4
	ds_bpermute_b32 v33, v30, v4
	s_wait_dscnt 0x0
	v_cmp_le_i32_e32 vcc_lo, s5, v33
	s_or_b32 s20, vcc_lo, s20
	s_delay_alu instid0(SALU_CYCLE_1)
	s_and_not1_b32 exec_lo, exec_lo, s20
	s_cbranch_execz .LBB31_29
.LBB31_10:                              ; =>This Loop Header: Depth=1
                                        ;     Child Loop BB31_13 Depth 2
	v_dual_mov_b32 v32, s5 :: v_dual_add_nc_u32 v3, v8, v0
	v_mov_b32_e32 v19, v21
	s_mov_b32 s21, exec_lo
	ds_store_b8 v20, v5 offset:2048
	ds_store_2addr_b32 v27, v5, v5 offset1:8
	s_wait_dscnt 0x0
	v_cmpx_lt_i32_e64 v3, v21
	s_cbranch_execz .LBB31_18
; %bb.11:                               ;   in Loop: Header=BB31_10 Depth=1
	v_dual_mov_b32 v32, s5 :: v_dual_ashrrev_i32 v9, 31, v8
	v_mul_lo_u32 v18, v33, s7
	v_mov_b32_e32 v19, v21
	s_mov_b32 s22, 0
	s_delay_alu instid0(VALU_DEP_3) | instskip(NEXT) | instid1(VALU_DEP_1)
	v_add_nc_u64_e32 v[8:9], v[0:1], v[8:9]
	v_lshlrev_b64_e32 v[16:17], 2, v[8:9]
	s_delay_alu instid0(VALU_DEP_1)
	v_add_nc_u64_e32 v[8:9], s[10:11], v[16:17]
	v_add_nc_u64_e32 v[16:17], s[8:9], v[16:17]
	s_branch .LBB31_13
.LBB31_12:                              ;   in Loop: Header=BB31_13 Depth=2
	s_wait_xcnt 0x0
	s_or_b32 exec_lo, exec_lo, s0
	v_add_nc_u32_e32 v3, 8, v3
	s_xor_b32 s23, vcc_lo, -1
	v_add_nc_u64_e32 v[8:9], 32, v[8:9]
	v_add_nc_u64_e32 v[16:17], 32, v[16:17]
	s_delay_alu instid0(VALU_DEP_3) | instskip(SKIP_1) | instid1(SALU_CYCLE_1)
	v_cmp_ge_i32_e64 s0, v3, v21
	s_or_b32 s0, s23, s0
	s_and_b32 s0, exec_lo, s0
	s_delay_alu instid0(SALU_CYCLE_1) | instskip(NEXT) | instid1(SALU_CYCLE_1)
	s_or_b32 s22, s0, s22
	s_and_not1_b32 exec_lo, exec_lo, s22
	s_cbranch_execz .LBB31_17
.LBB31_13:                              ;   Parent Loop BB31_10 Depth=1
                                        ; =>  This Inner Loop Header: Depth=2
	global_load_b32 v4, v[8:9], off
	s_wait_loadcnt 0x0
	v_subrev_nc_u32_e32 v34, s18, v4
	s_delay_alu instid0(VALU_DEP_1) | instskip(NEXT) | instid1(VALU_DEP_1)
	v_sub_nc_u32_e32 v4, 0, v34
	v_max_i32_e32 v4, v34, v4
	s_delay_alu instid0(VALU_DEP_1) | instskip(NEXT) | instid1(VALU_DEP_1)
	v_mul_u64_e32 v[36:37], s[12:13], v[4:5]
	v_mul_lo_u32 v35, v37, s14
	s_delay_alu instid0(VALU_DEP_1) | instskip(NEXT) | instid1(VALU_DEP_1)
	v_dual_sub_nc_u32 v4, v4, v35 :: v_dual_add_nc_u32 v35, 1, v37
	v_cmp_le_u32_e32 vcc_lo, s14, v4
	s_delay_alu instid0(VALU_DEP_2) | instskip(SKIP_1) | instid1(VALU_DEP_1)
	v_dual_cndmask_b32 v35, v37, v35, vcc_lo :: v_dual_ashrrev_i32 v37, 31, v34
	v_subrev_nc_u32_e32 v36, s14, v4
	v_dual_cndmask_b32 v4, v4, v36, vcc_lo :: v_dual_add_nc_u32 v36, 1, v35
	s_delay_alu instid0(VALU_DEP_1) | instskip(NEXT) | instid1(VALU_DEP_2)
	v_cmp_le_u32_e32 vcc_lo, s14, v4
	v_dual_cndmask_b32 v4, v35, v36, vcc_lo :: v_dual_bitop2_b32 v37, s15, v37 bitop3:0x14
	s_delay_alu instid0(VALU_DEP_1) | instskip(NEXT) | instid1(VALU_DEP_1)
	v_xor_b32_e32 v4, v4, v37
	v_dual_mov_b32 v4, v19 :: v_dual_sub_nc_u32 v35, v4, v37
	s_delay_alu instid0(VALU_DEP_1) | instskip(SKIP_3) | instid1(SALU_CYCLE_1)
	v_cmp_ne_u32_e64 s0, v35, v33
	v_cmp_eq_u32_e32 vcc_lo, v35, v33
	s_wait_xcnt 0x0
	s_and_saveexec_b32 s23, s0
	s_xor_b32 s0, exec_lo, s23
; %bb.14:                               ;   in Loop: Header=BB31_13 Depth=2
	v_min_i32_e32 v32, v35, v32
                                        ; implicit-def: $vgpr34
                                        ; implicit-def: $vgpr4
; %bb.15:                               ;   in Loop: Header=BB31_13 Depth=2
	s_or_saveexec_b32 s0, s0
	v_mov_b32_e32 v19, v3
	s_xor_b32 exec_lo, exec_lo, s0
	s_cbranch_execz .LBB31_12
; %bb.16:                               ;   in Loop: Header=BB31_13 Depth=2
	global_load_b32 v35, v[16:17], off
	v_sub_nc_u32_e32 v19, v34, v18
	s_delay_alu instid0(VALU_DEP_1)
	v_lshl_add_u32 v34, v19, 2, v22
	v_mov_b32_e32 v19, v4
	ds_store_b8 v20, v31 offset:2048
	s_wait_loadcnt 0x0
	ds_store_b32 v34, v35
	s_branch .LBB31_12
.LBB31_17:                              ;   in Loop: Header=BB31_10 Depth=1
	s_or_b32 exec_lo, exec_lo, s22
.LBB31_18:                              ;   in Loop: Header=BB31_10 Depth=1
	s_delay_alu instid0(SALU_CYCLE_1)
	s_or_b32 exec_lo, exec_lo, s21
	ds_bpermute_b32 v3, v23, v19
	s_wait_dscnt 0x0
	ds_load_u8 v9, v20 offset:2048
	v_min_i32_e32 v3, v3, v19
	ds_bpermute_b32 v4, v24, v3
	s_wait_dscnt 0x0
	v_min_i32_e32 v3, v4, v3
	ds_bpermute_b32 v4, v25, v3
	s_wait_dscnt 0x0
	v_min_i32_e32 v3, v4, v3
	ds_bpermute_b32 v8, v26, v3
	v_and_b32_e32 v3, 1, v9
	s_delay_alu instid0(VALU_DEP_1)
	v_cmp_eq_u32_e32 vcc_lo, 1, v3
	v_mov_b32_e32 v3, 0
	s_and_saveexec_b32 s0, vcc_lo
	s_cbranch_execz .LBB31_9
; %bb.19:                               ;   in Loop: Header=BB31_10 Depth=1
	v_ashrrev_i32_e32 v3, 31, v2
	s_delay_alu instid0(VALU_DEP_1) | instskip(SKIP_3) | instid1(VALU_DEP_1)
	v_mul_u64_e32 v[16:17], s[16:17], v[2:3]
	v_add_nc_u32_e32 v3, s19, v33
	global_store_b32 v2, v3, s[2:3] scale_offset
	v_lshlrev_b64_e32 v[16:17], 2, v[16:17]
	v_add_nc_u64_e32 v[18:19], v[6:7], v[16:17]
	v_add_nc_u64_e32 v[16:17], v[10:11], v[16:17]
	s_wait_xcnt 0x0
	s_and_saveexec_b32 s21, s6
	s_cbranch_execz .LBB31_23
; %bb.20:                               ;   in Loop: Header=BB31_10 Depth=1
	ds_load_b32 v3, v27
	s_and_b32 vcc_lo, exec_lo, s4
	s_cbranch_vccz .LBB31_26
; %bb.21:                               ;   in Loop: Header=BB31_10 Depth=1
	v_lshl_add_u64 v[34:35], v[12:13], 2, v[18:19]
	s_wait_dscnt 0x0
	global_store_b32 v[34:35], v3, off
	s_cbranch_execnz .LBB31_23
.LBB31_22:                              ;   in Loop: Header=BB31_10 Depth=1
	s_wait_dscnt 0x0
	global_store_b32 v[16:17], v3, off
.LBB31_23:                              ;   in Loop: Header=BB31_10 Depth=1
	s_wait_xcnt 0x0
	s_or_b32 exec_lo, exec_lo, s21
	s_and_saveexec_b32 s21, s1
	s_cbranch_execz .LBB31_8
; %bb.24:                               ;   in Loop: Header=BB31_10 Depth=1
	s_and_not1_b32 vcc_lo, exec_lo, s4
	s_cbranch_vccnz .LBB31_27
; %bb.25:                               ;   in Loop: Header=BB31_10 Depth=1
	s_wait_dscnt 0x0
	ds_load_b32 v3, v27 offset:32
	v_lshl_add_u64 v[18:19], v[14:15], 2, v[18:19]
	s_wait_dscnt 0x0
	global_store_b32 v[18:19], v3, off
	s_cbranch_execnz .LBB31_8
	s_branch .LBB31_28
.LBB31_26:                              ;   in Loop: Header=BB31_10 Depth=1
	s_branch .LBB31_22
.LBB31_27:                              ;   in Loop: Header=BB31_10 Depth=1
.LBB31_28:                              ;   in Loop: Header=BB31_10 Depth=1
	s_wait_dscnt 0x0
	s_wait_xcnt 0x0
	ds_load_b32 v3, v27 offset:32
	s_wait_dscnt 0x0
	global_store_b32 v[16:17], v3, off offset:32
	s_branch .LBB31_8
.LBB31_29:
	s_endpgm
	.section	.rodata,"a",@progbits
	.p2align	6, 0x0
	.amdhsa_kernel _ZN9rocsparseL44csr2gebsr_wavefront_per_row_multipass_kernelILi256ELi4ELi16ELi32EfEEv20rocsparse_direction_iiiiii21rocsparse_index_base_PKT3_PKiS7_S2_PS3_PiS9_
		.amdhsa_group_segment_fixed_size 2056
		.amdhsa_private_segment_fixed_size 0
		.amdhsa_kernarg_size 88
		.amdhsa_user_sgpr_count 2
		.amdhsa_user_sgpr_dispatch_ptr 0
		.amdhsa_user_sgpr_queue_ptr 0
		.amdhsa_user_sgpr_kernarg_segment_ptr 1
		.amdhsa_user_sgpr_dispatch_id 0
		.amdhsa_user_sgpr_kernarg_preload_length 0
		.amdhsa_user_sgpr_kernarg_preload_offset 0
		.amdhsa_user_sgpr_private_segment_size 0
		.amdhsa_wavefront_size32 1
		.amdhsa_uses_dynamic_stack 0
		.amdhsa_enable_private_segment 0
		.amdhsa_system_sgpr_workgroup_id_x 1
		.amdhsa_system_sgpr_workgroup_id_y 0
		.amdhsa_system_sgpr_workgroup_id_z 0
		.amdhsa_system_sgpr_workgroup_info 0
		.amdhsa_system_vgpr_workitem_id 0
		.amdhsa_next_free_vgpr 38
		.amdhsa_next_free_sgpr 24
		.amdhsa_named_barrier_count 0
		.amdhsa_reserve_vcc 1
		.amdhsa_float_round_mode_32 0
		.amdhsa_float_round_mode_16_64 0
		.amdhsa_float_denorm_mode_32 3
		.amdhsa_float_denorm_mode_16_64 3
		.amdhsa_fp16_overflow 0
		.amdhsa_memory_ordered 1
		.amdhsa_forward_progress 1
		.amdhsa_inst_pref_size 13
		.amdhsa_round_robin_scheduling 0
		.amdhsa_exception_fp_ieee_invalid_op 0
		.amdhsa_exception_fp_denorm_src 0
		.amdhsa_exception_fp_ieee_div_zero 0
		.amdhsa_exception_fp_ieee_overflow 0
		.amdhsa_exception_fp_ieee_underflow 0
		.amdhsa_exception_fp_ieee_inexact 0
		.amdhsa_exception_int_div_zero 0
	.end_amdhsa_kernel
	.section	.text._ZN9rocsparseL44csr2gebsr_wavefront_per_row_multipass_kernelILi256ELi4ELi16ELi32EfEEv20rocsparse_direction_iiiiii21rocsparse_index_base_PKT3_PKiS7_S2_PS3_PiS9_,"axG",@progbits,_ZN9rocsparseL44csr2gebsr_wavefront_per_row_multipass_kernelILi256ELi4ELi16ELi32EfEEv20rocsparse_direction_iiiiii21rocsparse_index_base_PKT3_PKiS7_S2_PS3_PiS9_,comdat
.Lfunc_end31:
	.size	_ZN9rocsparseL44csr2gebsr_wavefront_per_row_multipass_kernelILi256ELi4ELi16ELi32EfEEv20rocsparse_direction_iiiiii21rocsparse_index_base_PKT3_PKiS7_S2_PS3_PiS9_, .Lfunc_end31-_ZN9rocsparseL44csr2gebsr_wavefront_per_row_multipass_kernelILi256ELi4ELi16ELi32EfEEv20rocsparse_direction_iiiiii21rocsparse_index_base_PKT3_PKiS7_S2_PS3_PiS9_
                                        ; -- End function
	.set _ZN9rocsparseL44csr2gebsr_wavefront_per_row_multipass_kernelILi256ELi4ELi16ELi32EfEEv20rocsparse_direction_iiiiii21rocsparse_index_base_PKT3_PKiS7_S2_PS3_PiS9_.num_vgpr, 38
	.set _ZN9rocsparseL44csr2gebsr_wavefront_per_row_multipass_kernelILi256ELi4ELi16ELi32EfEEv20rocsparse_direction_iiiiii21rocsparse_index_base_PKT3_PKiS7_S2_PS3_PiS9_.num_agpr, 0
	.set _ZN9rocsparseL44csr2gebsr_wavefront_per_row_multipass_kernelILi256ELi4ELi16ELi32EfEEv20rocsparse_direction_iiiiii21rocsparse_index_base_PKT3_PKiS7_S2_PS3_PiS9_.numbered_sgpr, 24
	.set _ZN9rocsparseL44csr2gebsr_wavefront_per_row_multipass_kernelILi256ELi4ELi16ELi32EfEEv20rocsparse_direction_iiiiii21rocsparse_index_base_PKT3_PKiS7_S2_PS3_PiS9_.num_named_barrier, 0
	.set _ZN9rocsparseL44csr2gebsr_wavefront_per_row_multipass_kernelILi256ELi4ELi16ELi32EfEEv20rocsparse_direction_iiiiii21rocsparse_index_base_PKT3_PKiS7_S2_PS3_PiS9_.private_seg_size, 0
	.set _ZN9rocsparseL44csr2gebsr_wavefront_per_row_multipass_kernelILi256ELi4ELi16ELi32EfEEv20rocsparse_direction_iiiiii21rocsparse_index_base_PKT3_PKiS7_S2_PS3_PiS9_.uses_vcc, 1
	.set _ZN9rocsparseL44csr2gebsr_wavefront_per_row_multipass_kernelILi256ELi4ELi16ELi32EfEEv20rocsparse_direction_iiiiii21rocsparse_index_base_PKT3_PKiS7_S2_PS3_PiS9_.uses_flat_scratch, 0
	.set _ZN9rocsparseL44csr2gebsr_wavefront_per_row_multipass_kernelILi256ELi4ELi16ELi32EfEEv20rocsparse_direction_iiiiii21rocsparse_index_base_PKT3_PKiS7_S2_PS3_PiS9_.has_dyn_sized_stack, 0
	.set _ZN9rocsparseL44csr2gebsr_wavefront_per_row_multipass_kernelILi256ELi4ELi16ELi32EfEEv20rocsparse_direction_iiiiii21rocsparse_index_base_PKT3_PKiS7_S2_PS3_PiS9_.has_recursion, 0
	.set _ZN9rocsparseL44csr2gebsr_wavefront_per_row_multipass_kernelILi256ELi4ELi16ELi32EfEEv20rocsparse_direction_iiiiii21rocsparse_index_base_PKT3_PKiS7_S2_PS3_PiS9_.has_indirect_call, 0
	.section	.AMDGPU.csdata,"",@progbits
; Kernel info:
; codeLenInByte = 1576
; TotalNumSgprs: 26
; NumVgprs: 38
; ScratchSize: 0
; MemoryBound: 0
; FloatMode: 240
; IeeeMode: 1
; LDSByteSize: 2056 bytes/workgroup (compile time only)
; SGPRBlocks: 0
; VGPRBlocks: 2
; NumSGPRsForWavesPerEU: 26
; NumVGPRsForWavesPerEU: 38
; NamedBarCnt: 0
; Occupancy: 16
; WaveLimiterHint : 0
; COMPUTE_PGM_RSRC2:SCRATCH_EN: 0
; COMPUTE_PGM_RSRC2:USER_SGPR: 2
; COMPUTE_PGM_RSRC2:TRAP_HANDLER: 0
; COMPUTE_PGM_RSRC2:TGID_X_EN: 1
; COMPUTE_PGM_RSRC2:TGID_Y_EN: 0
; COMPUTE_PGM_RSRC2:TGID_Z_EN: 0
; COMPUTE_PGM_RSRC2:TIDIG_COMP_CNT: 0
	.section	.text._ZN9rocsparseL44csr2gebsr_wavefront_per_row_multipass_kernelILi256ELi4ELi32ELi64EfEEv20rocsparse_direction_iiiiii21rocsparse_index_base_PKT3_PKiS7_S2_PS3_PiS9_,"axG",@progbits,_ZN9rocsparseL44csr2gebsr_wavefront_per_row_multipass_kernelILi256ELi4ELi32ELi64EfEEv20rocsparse_direction_iiiiii21rocsparse_index_base_PKT3_PKiS7_S2_PS3_PiS9_,comdat
	.globl	_ZN9rocsparseL44csr2gebsr_wavefront_per_row_multipass_kernelILi256ELi4ELi32ELi64EfEEv20rocsparse_direction_iiiiii21rocsparse_index_base_PKT3_PKiS7_S2_PS3_PiS9_ ; -- Begin function _ZN9rocsparseL44csr2gebsr_wavefront_per_row_multipass_kernelILi256ELi4ELi32ELi64EfEEv20rocsparse_direction_iiiiii21rocsparse_index_base_PKT3_PKiS7_S2_PS3_PiS9_
	.p2align	8
	.type	_ZN9rocsparseL44csr2gebsr_wavefront_per_row_multipass_kernelILi256ELi4ELi32ELi64EfEEv20rocsparse_direction_iiiiii21rocsparse_index_base_PKT3_PKiS7_S2_PS3_PiS9_,@function
_ZN9rocsparseL44csr2gebsr_wavefront_per_row_multipass_kernelILi256ELi4ELi32ELi64EfEEv20rocsparse_direction_iiiiii21rocsparse_index_base_PKT3_PKiS7_S2_PS3_PiS9_: ; @_ZN9rocsparseL44csr2gebsr_wavefront_per_row_multipass_kernelILi256ELi4ELi32ELi64EfEEv20rocsparse_direction_iiiiii21rocsparse_index_base_PKT3_PKiS7_S2_PS3_PiS9_
; %bb.0:
	s_clause 0x1
	s_load_b128 s[4:7], s[0:1], 0xc
	s_load_b64 s[12:13], s[0:1], 0x0
	s_bfe_u32 s2, ttmp6, 0x4000c
	s_and_b32 s3, ttmp6, 15
	s_add_co_i32 s2, s2, 1
	s_getreg_b32 s8, hwreg(HW_REG_IB_STS2, 6, 4)
	s_mul_i32 s2, ttmp9, s2
	v_dual_lshrrev_b32 v20, 6, v0 :: v_dual_mov_b32 v2, 0
	s_add_co_i32 s3, s3, s2
	s_cmp_eq_u32 s8, 0
	v_bfe_u32 v1, v0, 4, 2
	s_cselect_b32 s2, ttmp9, s3
	s_clause 0x1
	s_load_b32 s18, s[0:1], 0x1c
	s_load_b64 s[8:9], s[0:1], 0x28
	v_lshl_or_b32 v3, s2, 2, v20
	v_mov_b32_e32 v8, 0
	s_wait_kmcnt 0x0
	s_delay_alu instid0(VALU_DEP_2) | instskip(SKIP_1) | instid1(VALU_DEP_2)
	v_mad_u32 v4, v3, s6, v1
	v_cmp_gt_i32_e32 vcc_lo, s6, v1
	v_cmp_gt_i32_e64 s2, s13, v4
	s_and_b32 s2, vcc_lo, s2
	s_delay_alu instid0(SALU_CYCLE_1)
	s_and_saveexec_b32 s3, s2
	s_cbranch_execz .LBB32_2
; %bb.1:
	global_load_b32 v5, v4, s[8:9] scale_offset
	s_wait_loadcnt 0x0
	v_subrev_nc_u32_e32 v8, s18, v5
.LBB32_2:
	s_or_b32 exec_lo, exec_lo, s3
	v_mov_b32_e32 v21, 0
	s_and_saveexec_b32 s3, s2
	s_cbranch_execz .LBB32_4
; %bb.3:
	global_load_b32 v4, v4, s[8:9] offset:4 scale_offset
	s_wait_loadcnt 0x0
	v_subrev_nc_u32_e32 v21, s18, v4
.LBB32_4:
	s_or_b32 exec_lo, exec_lo, s3
	s_load_b32 s19, s[0:1], 0x38
	s_mov_b32 s3, exec_lo
	v_cmpx_gt_i32_e64 s4, v3
	s_cbranch_execz .LBB32_6
; %bb.5:
	s_load_b64 s[8:9], s[0:1], 0x48
	s_wait_kmcnt 0x0
	global_load_b32 v2, v3, s[8:9] scale_offset
	s_wait_loadcnt 0x0
	v_subrev_nc_u32_e32 v2, s19, v2
.LBB32_6:
	s_or_b32 exec_lo, exec_lo, s3
	s_cmp_lt_i32 s5, 1
	s_cbranch_scc1 .LBB32_29
; %bb.7:
	v_dual_lshlrev_b32 v3, 7, v1 :: v_dual_bitop2_b32 v0, 15, v0 bitop3:0x40
	v_mbcnt_lo_u32_b32 v9, -1, 0
	s_clause 0x3
	s_load_b64 s[2:3], s[0:1], 0x50
	s_load_b64 s[20:21], s[0:1], 0x40
	;; [unrolled: 1-line block ×4, first 2 shown]
	v_mul_lo_u32 v10, s7, v1
	v_lshl_or_b32 v22, v20, 9, v3
	s_cmp_lg_u32 s12, 0
	v_xor_b32_e32 v3, 4, v9
	v_dual_lshlrev_b32 v12, 2, v0 :: v_dual_bitop2_b32 v4, 8, v9 bitop3:0x14
	s_mov_b32 s13, 0
	s_cselect_b32 s4, -1, 0
	s_mov_b32 s12, s6
	s_wait_xcnt 0x0
	v_cmp_gt_i32_e64 s0, 32, v4
	s_ashr_i32 s15, s7, 31
	s_mov_b32 s14, s7
	v_lshl_or_b32 v27, v9, 2, 60
	s_mul_u64 s[16:17], s[14:15], s[12:13]
	v_dual_cndmask_b32 v4, v9, v4, s0 :: v_dual_bitop2_b32 v6, 1, v9 bitop3:0x14
	v_cmp_gt_i32_e64 s0, 32, v3
	s_abs_i32 s14, s7
	v_bfrev_b32_e32 v31, 0.5
	v_dual_lshlrev_b32 v23, 2, v4 :: v_dual_bitop2_b32 v5, 2, v9 bitop3:0x14
	v_dual_cndmask_b32 v3, v9, v3, s0 :: v_dual_lshlrev_b32 v4, 2, v1
	v_dual_mov_b32 v34, 0 :: v_dual_bitop2_b32 v28, v22, v12 bitop3:0x54
	s_delay_alu instid0(VALU_DEP_3) | instskip(NEXT) | instid1(VALU_DEP_3)
	v_cmp_gt_i32_e64 s0, 32, v5
	v_dual_lshlrev_b32 v24, 2, v3 :: v_dual_mov_b32 v32, 1
	s_delay_alu instid0(VALU_DEP_2) | instskip(SKIP_1) | instid1(VALU_DEP_1)
	v_cndmask_b32_e64 v5, v9, v5, s0
	v_cmp_gt_i32_e64 s0, 32, v6
	v_dual_cndmask_b32 v6, v9, v6, s0 :: v_dual_lshlrev_b32 v25, 2, v5
	v_dual_mov_b32 v5, 0 :: v_dual_bitop2_b32 v3, 32, v9 bitop3:0x54
	s_cvt_f32_u32 s0, s14
	s_delay_alu instid0(VALU_DEP_2) | instskip(NEXT) | instid1(VALU_DEP_2)
	v_lshlrev_b32_e32 v26, 2, v6
	v_dual_ashrrev_i32 v11, 31, v10 :: v_dual_mov_b32 v1, v5
	s_wait_kmcnt 0x0
	v_add_nc_u64_e32 v[6:7], s[20:21], v[4:5]
	v_mov_b32_e32 v13, v5
	v_rcp_iflag_f32_e32 v14, s0
	v_cmp_gt_i32_e64 s0, 32, v3
	v_xor_b32_e32 v4, 16, v9
	v_lshl_add_u64 v[10:11], v[10:11], 2, s[20:21]
	v_mov_b32_e32 v15, v5
	s_delay_alu instid0(VALU_DEP_4) | instskip(NEXT) | instid1(VALU_DEP_4)
	v_cndmask_b32_e64 v3, v9, v3, s0
	v_cmp_gt_i32_e64 s0, 32, v4
	s_delay_alu instid0(VALU_DEP_4) | instskip(SKIP_1) | instid1(VALU_DEP_3)
	v_add_nc_u64_e32 v[10:11], v[10:11], v[12:13]
	v_mul_lo_u32 v12, v0, s6
	v_dual_lshlrev_b32 v29, 2, v3 :: v_dual_cndmask_b32 v4, v9, v4, s0
	v_readfirstlane_b32 s0, v14
	v_or_b32_e32 v3, 16, v0
	s_delay_alu instid0(VALU_DEP_3)
	v_lshlrev_b32_e32 v30, 2, v4
	s_mul_f32 s12, s0, 0x4f7ffffe
	v_cmp_gt_u32_e64 s0, s7, v0
	v_lshl_add_u32 v14, s6, 4, v12
	s_sub_co_i32 s6, 0, s14
	s_cvt_u32_f32 s12, s12
	v_cmp_gt_u32_e64 s1, s7, v3
	s_delay_alu instid0(SALU_CYCLE_2)
	s_mul_i32 s20, s6, s12
	s_and_b32 s6, s0, vcc_lo
	s_mul_hi_u32 s0, s12, s20
	s_and_b32 s1, vcc_lo, s1
	s_add_co_i32 s12, s12, s0
	s_mov_b32 s20, s13
	s_branch .LBB32_10
.LBB32_8:                               ;   in Loop: Header=BB32_10 Depth=1
	s_wait_xcnt 0x0
	s_or_b32 exec_lo, exec_lo, s21
	s_wait_dscnt 0x0
	v_mov_b32_e32 v3, 1
.LBB32_9:                               ;   in Loop: Header=BB32_10 Depth=1
	s_or_b32 exec_lo, exec_lo, s0
	ds_bpermute_b32 v4, v29, v33
	s_wait_storecnt_dscnt 0x0
	v_dual_add_nc_u32 v2, v3, v2 :: v_dual_min_i32 v4, v4, v33
	ds_bpermute_b32 v9, v30, v4
	s_wait_dscnt 0x0
	v_min_i32_e32 v4, v9, v4
	ds_bpermute_b32 v9, v23, v4
	s_wait_dscnt 0x0
	v_min_i32_e32 v4, v9, v4
	;; [unrolled: 3-line block ×5, first 2 shown]
	ds_bpermute_b32 v34, v31, v4
	s_wait_dscnt 0x0
	v_cmp_le_i32_e32 vcc_lo, s5, v34
	s_or_b32 s20, vcc_lo, s20
	s_delay_alu instid0(SALU_CYCLE_1)
	s_and_not1_b32 exec_lo, exec_lo, s20
	s_cbranch_execz .LBB32_29
.LBB32_10:                              ; =>This Loop Header: Depth=1
                                        ;     Child Loop BB32_13 Depth 2
	v_dual_add_nc_u32 v3, v8, v0 :: v_dual_mov_b32 v33, s5
	v_mov_b32_e32 v19, v21
	s_mov_b32 s21, exec_lo
	ds_store_b8 v20, v5 offset:2048
	ds_store_2addr_b32 v28, v5, v5 offset1:16
	s_wait_dscnt 0x0
	v_cmpx_lt_i32_e64 v3, v21
	s_cbranch_execz .LBB32_18
; %bb.11:                               ;   in Loop: Header=BB32_10 Depth=1
	v_dual_ashrrev_i32 v9, 31, v8 :: v_dual_mov_b32 v33, s5
	v_mul_lo_u32 v18, v34, s7
	v_mov_b32_e32 v19, v21
	s_mov_b32 s22, 0
	s_delay_alu instid0(VALU_DEP_3) | instskip(NEXT) | instid1(VALU_DEP_1)
	v_add_nc_u64_e32 v[8:9], v[0:1], v[8:9]
	v_lshlrev_b64_e32 v[16:17], 2, v[8:9]
	s_delay_alu instid0(VALU_DEP_1)
	v_add_nc_u64_e32 v[8:9], s[10:11], v[16:17]
	v_add_nc_u64_e32 v[16:17], s[8:9], v[16:17]
	s_branch .LBB32_13
.LBB32_12:                              ;   in Loop: Header=BB32_13 Depth=2
	s_wait_xcnt 0x0
	s_or_b32 exec_lo, exec_lo, s0
	v_add_nc_u32_e32 v3, 16, v3
	s_xor_b32 s23, vcc_lo, -1
	v_add_nc_u64_e32 v[8:9], 64, v[8:9]
	v_add_nc_u64_e32 v[16:17], 64, v[16:17]
	s_delay_alu instid0(VALU_DEP_3) | instskip(SKIP_1) | instid1(SALU_CYCLE_1)
	v_cmp_ge_i32_e64 s0, v3, v21
	s_or_b32 s0, s23, s0
	s_and_b32 s0, exec_lo, s0
	s_delay_alu instid0(SALU_CYCLE_1) | instskip(NEXT) | instid1(SALU_CYCLE_1)
	s_or_b32 s22, s0, s22
	s_and_not1_b32 exec_lo, exec_lo, s22
	s_cbranch_execz .LBB32_17
.LBB32_13:                              ;   Parent Loop BB32_10 Depth=1
                                        ; =>  This Inner Loop Header: Depth=2
	global_load_b32 v4, v[8:9], off
	s_wait_loadcnt 0x0
	v_subrev_nc_u32_e32 v35, s18, v4
	s_delay_alu instid0(VALU_DEP_1) | instskip(NEXT) | instid1(VALU_DEP_1)
	v_sub_nc_u32_e32 v4, 0, v35
	v_max_i32_e32 v4, v35, v4
	s_delay_alu instid0(VALU_DEP_1) | instskip(NEXT) | instid1(VALU_DEP_1)
	v_mul_u64_e32 v[36:37], s[12:13], v[4:5]
	v_mul_lo_u32 v36, v37, s14
	s_delay_alu instid0(VALU_DEP_1) | instskip(NEXT) | instid1(VALU_DEP_1)
	v_dual_sub_nc_u32 v4, v4, v36 :: v_dual_add_nc_u32 v36, 1, v37
	v_cmp_le_u32_e32 vcc_lo, s14, v4
	s_delay_alu instid0(VALU_DEP_2) | instskip(SKIP_1) | instid1(VALU_DEP_1)
	v_cndmask_b32_e32 v36, v37, v36, vcc_lo
	v_subrev_nc_u32_e32 v38, s14, v4
	v_dual_cndmask_b32 v4, v4, v38 :: v_dual_ashrrev_i32 v37, 31, v35
	s_delay_alu instid0(VALU_DEP_3) | instskip(NEXT) | instid1(VALU_DEP_2)
	v_add_nc_u32_e32 v38, 1, v36
	v_cmp_le_u32_e32 vcc_lo, s14, v4
	s_delay_alu instid0(VALU_DEP_2) | instskip(NEXT) | instid1(VALU_DEP_1)
	v_dual_cndmask_b32 v4, v36, v38, vcc_lo :: v_dual_bitop2_b32 v37, s15, v37 bitop3:0x14
	v_xor_b32_e32 v4, v4, v37
	s_delay_alu instid0(VALU_DEP_1) | instskip(NEXT) | instid1(VALU_DEP_1)
	v_dual_sub_nc_u32 v36, v4, v37 :: v_dual_mov_b32 v4, v19
	v_cmp_ne_u32_e64 s0, v36, v34
	v_cmp_eq_u32_e32 vcc_lo, v36, v34
	s_wait_xcnt 0x0
	s_and_saveexec_b32 s23, s0
	s_delay_alu instid0(SALU_CYCLE_1)
	s_xor_b32 s0, exec_lo, s23
; %bb.14:                               ;   in Loop: Header=BB32_13 Depth=2
	v_min_i32_e32 v33, v36, v33
                                        ; implicit-def: $vgpr35
                                        ; implicit-def: $vgpr4
; %bb.15:                               ;   in Loop: Header=BB32_13 Depth=2
	s_or_saveexec_b32 s0, s0
	v_mov_b32_e32 v19, v3
	s_xor_b32 exec_lo, exec_lo, s0
	s_cbranch_execz .LBB32_12
; %bb.16:                               ;   in Loop: Header=BB32_13 Depth=2
	global_load_b32 v36, v[16:17], off
	v_sub_nc_u32_e32 v19, v35, v18
	s_delay_alu instid0(VALU_DEP_1)
	v_lshl_add_u32 v35, v19, 2, v22
	v_mov_b32_e32 v19, v4
	ds_store_b8 v20, v32 offset:2048
	s_wait_loadcnt 0x0
	ds_store_b32 v35, v36
	s_branch .LBB32_12
.LBB32_17:                              ;   in Loop: Header=BB32_10 Depth=1
	s_or_b32 exec_lo, exec_lo, s22
.LBB32_18:                              ;   in Loop: Header=BB32_10 Depth=1
	s_delay_alu instid0(SALU_CYCLE_1)
	s_or_b32 exec_lo, exec_lo, s21
	ds_bpermute_b32 v3, v23, v19
	s_wait_dscnt 0x0
	ds_load_u8 v9, v20 offset:2048
	v_min_i32_e32 v3, v3, v19
	ds_bpermute_b32 v4, v24, v3
	s_wait_dscnt 0x0
	v_min_i32_e32 v3, v4, v3
	ds_bpermute_b32 v4, v25, v3
	s_wait_dscnt 0x0
	;; [unrolled: 3-line block ×3, first 2 shown]
	v_min_i32_e32 v3, v4, v3
	ds_bpermute_b32 v8, v27, v3
	v_and_b32_e32 v3, 1, v9
	s_delay_alu instid0(VALU_DEP_1)
	v_cmp_eq_u32_e32 vcc_lo, 1, v3
	v_mov_b32_e32 v3, 0
	s_and_saveexec_b32 s0, vcc_lo
	s_cbranch_execz .LBB32_9
; %bb.19:                               ;   in Loop: Header=BB32_10 Depth=1
	v_ashrrev_i32_e32 v3, 31, v2
	s_delay_alu instid0(VALU_DEP_1) | instskip(SKIP_3) | instid1(VALU_DEP_1)
	v_mul_u64_e32 v[16:17], s[16:17], v[2:3]
	v_add_nc_u32_e32 v3, s19, v34
	global_store_b32 v2, v3, s[2:3] scale_offset
	v_lshlrev_b64_e32 v[16:17], 2, v[16:17]
	v_add_nc_u64_e32 v[18:19], v[6:7], v[16:17]
	v_add_nc_u64_e32 v[16:17], v[10:11], v[16:17]
	s_wait_xcnt 0x0
	s_and_saveexec_b32 s21, s6
	s_cbranch_execz .LBB32_23
; %bb.20:                               ;   in Loop: Header=BB32_10 Depth=1
	ds_load_b32 v3, v28
	s_and_b32 vcc_lo, exec_lo, s4
	s_cbranch_vccz .LBB32_26
; %bb.21:                               ;   in Loop: Header=BB32_10 Depth=1
	v_lshl_add_u64 v[34:35], v[12:13], 2, v[18:19]
	s_wait_dscnt 0x0
	global_store_b32 v[34:35], v3, off
	s_cbranch_execnz .LBB32_23
.LBB32_22:                              ;   in Loop: Header=BB32_10 Depth=1
	s_wait_dscnt 0x0
	global_store_b32 v[16:17], v3, off
.LBB32_23:                              ;   in Loop: Header=BB32_10 Depth=1
	s_wait_xcnt 0x0
	s_or_b32 exec_lo, exec_lo, s21
	s_and_saveexec_b32 s21, s1
	s_cbranch_execz .LBB32_8
; %bb.24:                               ;   in Loop: Header=BB32_10 Depth=1
	s_and_not1_b32 vcc_lo, exec_lo, s4
	s_cbranch_vccnz .LBB32_27
; %bb.25:                               ;   in Loop: Header=BB32_10 Depth=1
	s_wait_dscnt 0x0
	ds_load_b32 v3, v28 offset:64
	v_lshl_add_u64 v[18:19], v[14:15], 2, v[18:19]
	s_wait_dscnt 0x0
	global_store_b32 v[18:19], v3, off
	s_cbranch_execnz .LBB32_8
	s_branch .LBB32_28
.LBB32_26:                              ;   in Loop: Header=BB32_10 Depth=1
	s_branch .LBB32_22
.LBB32_27:                              ;   in Loop: Header=BB32_10 Depth=1
.LBB32_28:                              ;   in Loop: Header=BB32_10 Depth=1
	s_wait_dscnt 0x0
	s_wait_xcnt 0x0
	ds_load_b32 v3, v28 offset:64
	s_wait_dscnt 0x0
	global_store_b32 v[16:17], v3, off offset:64
	s_branch .LBB32_8
.LBB32_29:
	s_endpgm
	.section	.rodata,"a",@progbits
	.p2align	6, 0x0
	.amdhsa_kernel _ZN9rocsparseL44csr2gebsr_wavefront_per_row_multipass_kernelILi256ELi4ELi32ELi64EfEEv20rocsparse_direction_iiiiii21rocsparse_index_base_PKT3_PKiS7_S2_PS3_PiS9_
		.amdhsa_group_segment_fixed_size 2052
		.amdhsa_private_segment_fixed_size 0
		.amdhsa_kernarg_size 88
		.amdhsa_user_sgpr_count 2
		.amdhsa_user_sgpr_dispatch_ptr 0
		.amdhsa_user_sgpr_queue_ptr 0
		.amdhsa_user_sgpr_kernarg_segment_ptr 1
		.amdhsa_user_sgpr_dispatch_id 0
		.amdhsa_user_sgpr_kernarg_preload_length 0
		.amdhsa_user_sgpr_kernarg_preload_offset 0
		.amdhsa_user_sgpr_private_segment_size 0
		.amdhsa_wavefront_size32 1
		.amdhsa_uses_dynamic_stack 0
		.amdhsa_enable_private_segment 0
		.amdhsa_system_sgpr_workgroup_id_x 1
		.amdhsa_system_sgpr_workgroup_id_y 0
		.amdhsa_system_sgpr_workgroup_id_z 0
		.amdhsa_system_sgpr_workgroup_info 0
		.amdhsa_system_vgpr_workitem_id 0
		.amdhsa_next_free_vgpr 39
		.amdhsa_next_free_sgpr 24
		.amdhsa_named_barrier_count 0
		.amdhsa_reserve_vcc 1
		.amdhsa_float_round_mode_32 0
		.amdhsa_float_round_mode_16_64 0
		.amdhsa_float_denorm_mode_32 3
		.amdhsa_float_denorm_mode_16_64 3
		.amdhsa_fp16_overflow 0
		.amdhsa_memory_ordered 1
		.amdhsa_forward_progress 1
		.amdhsa_inst_pref_size 13
		.amdhsa_round_robin_scheduling 0
		.amdhsa_exception_fp_ieee_invalid_op 0
		.amdhsa_exception_fp_denorm_src 0
		.amdhsa_exception_fp_ieee_div_zero 0
		.amdhsa_exception_fp_ieee_overflow 0
		.amdhsa_exception_fp_ieee_underflow 0
		.amdhsa_exception_fp_ieee_inexact 0
		.amdhsa_exception_int_div_zero 0
	.end_amdhsa_kernel
	.section	.text._ZN9rocsparseL44csr2gebsr_wavefront_per_row_multipass_kernelILi256ELi4ELi32ELi64EfEEv20rocsparse_direction_iiiiii21rocsparse_index_base_PKT3_PKiS7_S2_PS3_PiS9_,"axG",@progbits,_ZN9rocsparseL44csr2gebsr_wavefront_per_row_multipass_kernelILi256ELi4ELi32ELi64EfEEv20rocsparse_direction_iiiiii21rocsparse_index_base_PKT3_PKiS7_S2_PS3_PiS9_,comdat
.Lfunc_end32:
	.size	_ZN9rocsparseL44csr2gebsr_wavefront_per_row_multipass_kernelILi256ELi4ELi32ELi64EfEEv20rocsparse_direction_iiiiii21rocsparse_index_base_PKT3_PKiS7_S2_PS3_PiS9_, .Lfunc_end32-_ZN9rocsparseL44csr2gebsr_wavefront_per_row_multipass_kernelILi256ELi4ELi32ELi64EfEEv20rocsparse_direction_iiiiii21rocsparse_index_base_PKT3_PKiS7_S2_PS3_PiS9_
                                        ; -- End function
	.set _ZN9rocsparseL44csr2gebsr_wavefront_per_row_multipass_kernelILi256ELi4ELi32ELi64EfEEv20rocsparse_direction_iiiiii21rocsparse_index_base_PKT3_PKiS7_S2_PS3_PiS9_.num_vgpr, 39
	.set _ZN9rocsparseL44csr2gebsr_wavefront_per_row_multipass_kernelILi256ELi4ELi32ELi64EfEEv20rocsparse_direction_iiiiii21rocsparse_index_base_PKT3_PKiS7_S2_PS3_PiS9_.num_agpr, 0
	.set _ZN9rocsparseL44csr2gebsr_wavefront_per_row_multipass_kernelILi256ELi4ELi32ELi64EfEEv20rocsparse_direction_iiiiii21rocsparse_index_base_PKT3_PKiS7_S2_PS3_PiS9_.numbered_sgpr, 24
	.set _ZN9rocsparseL44csr2gebsr_wavefront_per_row_multipass_kernelILi256ELi4ELi32ELi64EfEEv20rocsparse_direction_iiiiii21rocsparse_index_base_PKT3_PKiS7_S2_PS3_PiS9_.num_named_barrier, 0
	.set _ZN9rocsparseL44csr2gebsr_wavefront_per_row_multipass_kernelILi256ELi4ELi32ELi64EfEEv20rocsparse_direction_iiiiii21rocsparse_index_base_PKT3_PKiS7_S2_PS3_PiS9_.private_seg_size, 0
	.set _ZN9rocsparseL44csr2gebsr_wavefront_per_row_multipass_kernelILi256ELi4ELi32ELi64EfEEv20rocsparse_direction_iiiiii21rocsparse_index_base_PKT3_PKiS7_S2_PS3_PiS9_.uses_vcc, 1
	.set _ZN9rocsparseL44csr2gebsr_wavefront_per_row_multipass_kernelILi256ELi4ELi32ELi64EfEEv20rocsparse_direction_iiiiii21rocsparse_index_base_PKT3_PKiS7_S2_PS3_PiS9_.uses_flat_scratch, 0
	.set _ZN9rocsparseL44csr2gebsr_wavefront_per_row_multipass_kernelILi256ELi4ELi32ELi64EfEEv20rocsparse_direction_iiiiii21rocsparse_index_base_PKT3_PKiS7_S2_PS3_PiS9_.has_dyn_sized_stack, 0
	.set _ZN9rocsparseL44csr2gebsr_wavefront_per_row_multipass_kernelILi256ELi4ELi32ELi64EfEEv20rocsparse_direction_iiiiii21rocsparse_index_base_PKT3_PKiS7_S2_PS3_PiS9_.has_recursion, 0
	.set _ZN9rocsparseL44csr2gebsr_wavefront_per_row_multipass_kernelILi256ELi4ELi32ELi64EfEEv20rocsparse_direction_iiiiii21rocsparse_index_base_PKT3_PKiS7_S2_PS3_PiS9_.has_indirect_call, 0
	.section	.AMDGPU.csdata,"",@progbits
; Kernel info:
; codeLenInByte = 1652
; TotalNumSgprs: 26
; NumVgprs: 39
; ScratchSize: 0
; MemoryBound: 0
; FloatMode: 240
; IeeeMode: 1
; LDSByteSize: 2052 bytes/workgroup (compile time only)
; SGPRBlocks: 0
; VGPRBlocks: 2
; NumSGPRsForWavesPerEU: 26
; NumVGPRsForWavesPerEU: 39
; NamedBarCnt: 0
; Occupancy: 16
; WaveLimiterHint : 0
; COMPUTE_PGM_RSRC2:SCRATCH_EN: 0
; COMPUTE_PGM_RSRC2:USER_SGPR: 2
; COMPUTE_PGM_RSRC2:TRAP_HANDLER: 0
; COMPUTE_PGM_RSRC2:TGID_X_EN: 1
; COMPUTE_PGM_RSRC2:TGID_Y_EN: 0
; COMPUTE_PGM_RSRC2:TGID_Z_EN: 0
; COMPUTE_PGM_RSRC2:TIDIG_COMP_CNT: 0
	.section	.text._ZN9rocsparseL44csr2gebsr_wavefront_per_row_multipass_kernelILi256ELi4ELi32ELi32EfEEv20rocsparse_direction_iiiiii21rocsparse_index_base_PKT3_PKiS7_S2_PS3_PiS9_,"axG",@progbits,_ZN9rocsparseL44csr2gebsr_wavefront_per_row_multipass_kernelILi256ELi4ELi32ELi32EfEEv20rocsparse_direction_iiiiii21rocsparse_index_base_PKT3_PKiS7_S2_PS3_PiS9_,comdat
	.globl	_ZN9rocsparseL44csr2gebsr_wavefront_per_row_multipass_kernelILi256ELi4ELi32ELi32EfEEv20rocsparse_direction_iiiiii21rocsparse_index_base_PKT3_PKiS7_S2_PS3_PiS9_ ; -- Begin function _ZN9rocsparseL44csr2gebsr_wavefront_per_row_multipass_kernelILi256ELi4ELi32ELi32EfEEv20rocsparse_direction_iiiiii21rocsparse_index_base_PKT3_PKiS7_S2_PS3_PiS9_
	.p2align	8
	.type	_ZN9rocsparseL44csr2gebsr_wavefront_per_row_multipass_kernelILi256ELi4ELi32ELi32EfEEv20rocsparse_direction_iiiiii21rocsparse_index_base_PKT3_PKiS7_S2_PS3_PiS9_,@function
_ZN9rocsparseL44csr2gebsr_wavefront_per_row_multipass_kernelILi256ELi4ELi32ELi32EfEEv20rocsparse_direction_iiiiii21rocsparse_index_base_PKT3_PKiS7_S2_PS3_PiS9_: ; @_ZN9rocsparseL44csr2gebsr_wavefront_per_row_multipass_kernelILi256ELi4ELi32ELi32EfEEv20rocsparse_direction_iiiiii21rocsparse_index_base_PKT3_PKiS7_S2_PS3_PiS9_
; %bb.0:
	s_clause 0x1
	s_load_b128 s[4:7], s[0:1], 0xc
	s_load_b64 s[14:15], s[0:1], 0x0
	s_bfe_u32 s2, ttmp6, 0x4000c
	s_and_b32 s3, ttmp6, 15
	s_add_co_i32 s2, s2, 1
	s_getreg_b32 s8, hwreg(HW_REG_IB_STS2, 6, 4)
	s_mul_i32 s2, ttmp9, s2
	v_dual_lshrrev_b32 v24, 5, v0 :: v_dual_mov_b32 v2, 0
	s_add_co_i32 s3, s3, s2
	s_cmp_eq_u32 s8, 0
	v_bfe_u32 v1, v0, 3, 2
	s_cselect_b32 s2, ttmp9, s3
	s_clause 0x1
	s_load_b32 s20, s[0:1], 0x1c
	s_load_b64 s[8:9], s[0:1], 0x28
	v_lshl_or_b32 v3, s2, 3, v24
	v_mov_b32_e32 v10, 0
	s_wait_kmcnt 0x0
	s_delay_alu instid0(VALU_DEP_2) | instskip(SKIP_1) | instid1(VALU_DEP_2)
	v_mad_u32 v4, v3, s6, v1
	v_cmp_gt_i32_e32 vcc_lo, s6, v1
	v_cmp_gt_i32_e64 s2, s15, v4
	s_and_b32 s2, vcc_lo, s2
	s_delay_alu instid0(SALU_CYCLE_1)
	s_and_saveexec_b32 s3, s2
	s_cbranch_execz .LBB33_2
; %bb.1:
	global_load_b32 v5, v4, s[8:9] scale_offset
	s_wait_loadcnt 0x0
	v_subrev_nc_u32_e32 v10, s20, v5
.LBB33_2:
	s_or_b32 exec_lo, exec_lo, s3
	v_mov_b32_e32 v25, 0
	s_and_saveexec_b32 s3, s2
	s_cbranch_execz .LBB33_4
; %bb.3:
	global_load_b32 v4, v4, s[8:9] offset:4 scale_offset
	s_wait_loadcnt 0x0
	v_subrev_nc_u32_e32 v25, s20, v4
.LBB33_4:
	s_or_b32 exec_lo, exec_lo, s3
	s_load_b32 s21, s[0:1], 0x38
	s_mov_b32 s3, exec_lo
	v_cmpx_gt_i32_e64 s4, v3
	s_cbranch_execz .LBB33_6
; %bb.5:
	s_load_b64 s[8:9], s[0:1], 0x48
	s_wait_kmcnt 0x0
	global_load_b32 v2, v3, s[8:9] scale_offset
	s_wait_loadcnt 0x0
	v_subrev_nc_u32_e32 v2, s21, v2
.LBB33_6:
	s_or_b32 exec_lo, exec_lo, s3
	s_cmp_lt_i32 s5, 1
	s_cbranch_scc1 .LBB33_39
; %bb.7:
	v_mbcnt_lo_u32_b32 v11, -1, 0
	v_lshlrev_b32_e32 v3, 7, v1
	s_clause 0x3
	s_load_b64 s[8:9], s[0:1], 0x50
	s_load_b64 s[2:3], s[0:1], 0x40
	;; [unrolled: 1-line block ×4, first 2 shown]
	v_mul_lo_u32 v8, s7, v1
	s_cmp_lg_u32 s14, 0
	v_xor_b32_e32 v4, 4, v11
	v_lshl_or_b32 v26, v24, 9, v3
	s_mov_b32 s15, 0
	s_cselect_b32 s4, -1, 0
	s_mov_b32 s14, s6
	s_wait_xcnt 0x0
	v_cmp_gt_i32_e64 s0, 32, v4
	v_xor_b32_e32 v5, 2, v11
	s_ashr_i32 s17, s7, 31
	s_mov_b32 s16, s7
	v_ashrrev_i32_e32 v9, 31, v8
	v_dual_cndmask_b32 v4, v11, v4, s0 :: v_dual_bitop2_b32 v3, 1, v11 bitop3:0x14
	v_cmp_gt_i32_e64 s0, 32, v5
	v_and_b32_e32 v0, 7, v0
	s_mul_u64 s[18:19], s[16:17], s[14:15]
	v_dual_lshlrev_b32 v27, 2, v4 :: v_dual_lshlrev_b32 v4, 2, v1
	v_cndmask_b32_e64 v5, v11, v5, s0
	v_cmp_gt_i32_e64 s0, 32, v3
	v_xor_b32_e32 v1, 16, v11
	s_wait_kmcnt 0x0
	v_lshl_add_u64 v[8:9], v[8:9], 2, s[2:3]
	s_abs_i32 s16, s7
	v_dual_lshlrev_b32 v28, 2, v5 :: v_dual_cndmask_b32 v3, v11, v3, s0
	v_dual_mov_b32 v5, 0 :: v_dual_lshlrev_b32 v12, 2, v0
	v_cmp_gt_i32_e64 s0, 32, v1
	s_cvt_f32_u32 s1, s16
	v_lshlrev_b32_e32 v29, 2, v3
	v_xor_b32_e32 v3, 8, v11
	v_dual_mov_b32 v13, v5 :: v_dual_bitop2_b32 v31, v26, v12 bitop3:0x54
	v_add_nc_u64_e32 v[6:7], s[2:3], v[4:5]
	v_cndmask_b32_e64 v4, v11, v1, s0
	s_delay_alu instid0(VALU_DEP_4)
	v_cmp_gt_i32_e64 s0, 32, v3
	v_mov_b32_e32 v1, v5
	v_add_nc_u64_e32 v[8:9], v[8:9], v[12:13]
	v_mul_lo_u32 v12, v0, s6
	s_lshl_b32 s6, s6, 3
	v_dual_cndmask_b32 v3, v11, v3, s0 :: v_dual_lshlrev_b32 v32, 2, v4
	v_rcp_iflag_f32_e32 v4, s1
	v_cmp_gt_u32_e64 s0, s7, v0
	s_delay_alu instid0(VALU_DEP_2) | instskip(SKIP_3) | instid1(TRANS32_DEP_1)
	v_dual_mov_b32 v35, 1 :: v_dual_lshlrev_b32 v33, 2, v3
	v_lshl_or_b32 v30, v11, 2, 28
	v_dual_mov_b32 v17, v5 :: v_dual_mov_b32 v34, 0x7c
	v_mov_b32_e32 v15, v5
	v_readfirstlane_b32 s3, v4
	v_add_nc_u32_e32 v14, s6, v12
	v_or_b32_e32 v3, 8, v0
	v_dual_mov_b32 v19, v5 :: v_dual_bitop2_b32 v4, 24, v0 bitop3:0x54
	s_mul_f32 s14, s3, 0x4f7ffffe
	s_delay_alu instid0(VALU_DEP_3) | instskip(NEXT) | instid1(VALU_DEP_3)
	v_add_nc_u32_e32 v16, s6, v14
	v_cmp_gt_u32_e64 s1, s7, v3
	v_or_b32_e32 v3, 16, v0
	s_cvt_u32_f32 s14, s14
	v_cmp_gt_u32_e64 s3, s7, v4
	v_dual_mov_b32 v37, 0 :: v_dual_add_nc_u32 v18, s6, v16
	s_and_b32 s6, s0, vcc_lo
	s_sub_co_i32 s0, 0, s16
	v_cmp_gt_u32_e64 s2, s7, v3
	s_mul_i32 s0, s0, s14
	s_and_b32 s1, vcc_lo, s1
	s_mul_hi_u32 s0, s14, s0
	s_and_b32 s3, vcc_lo, s3
	s_and_b32 s2, vcc_lo, s2
	s_add_co_i32 s14, s14, s0
	s_mov_b32 s22, s15
	s_branch .LBB33_10
.LBB33_8:                               ;   in Loop: Header=BB33_10 Depth=1
	s_wait_xcnt 0x0
	s_or_b32 exec_lo, exec_lo, s23
	s_wait_dscnt 0x0
	v_mov_b32_e32 v3, 1
.LBB33_9:                               ;   in Loop: Header=BB33_10 Depth=1
	s_or_b32 exec_lo, exec_lo, s0
	ds_bpermute_b32 v4, v32, v36
	s_wait_storecnt_dscnt 0x0
	v_dual_add_nc_u32 v2, v3, v2 :: v_dual_min_i32 v4, v4, v36
	ds_bpermute_b32 v11, v33, v4
	s_wait_dscnt 0x0
	v_min_i32_e32 v4, v11, v4
	ds_bpermute_b32 v11, v27, v4
	s_wait_dscnt 0x0
	v_min_i32_e32 v4, v11, v4
	;; [unrolled: 3-line block ×4, first 2 shown]
	ds_bpermute_b32 v37, v34, v4
	s_wait_dscnt 0x0
	v_cmp_le_i32_e32 vcc_lo, s5, v37
	s_or_b32 s22, vcc_lo, s22
	s_delay_alu instid0(SALU_CYCLE_1)
	s_and_not1_b32 exec_lo, exec_lo, s22
	s_cbranch_execz .LBB33_39
.LBB33_10:                              ; =>This Loop Header: Depth=1
                                        ;     Child Loop BB33_13 Depth 2
	v_dual_mov_b32 v36, s5 :: v_dual_add_nc_u32 v3, v10, v0
	v_mov_b32_e32 v23, v25
	s_mov_b32 s23, exec_lo
	ds_store_b8 v24, v5 offset:4096
	ds_store_2addr_b32 v31, v5, v5 offset1:8
	ds_store_2addr_b32 v31, v5, v5 offset0:16 offset1:24
	s_wait_dscnt 0x0
	v_cmpx_lt_i32_e64 v3, v25
	s_cbranch_execz .LBB33_18
; %bb.11:                               ;   in Loop: Header=BB33_10 Depth=1
	v_dual_mov_b32 v36, s5 :: v_dual_ashrrev_i32 v11, 31, v10
	v_mul_lo_u32 v22, v37, s7
	v_mov_b32_e32 v23, v25
	s_mov_b32 s24, 0
	s_delay_alu instid0(VALU_DEP_3) | instskip(NEXT) | instid1(VALU_DEP_1)
	v_add_nc_u64_e32 v[10:11], v[0:1], v[10:11]
	v_lshlrev_b64_e32 v[20:21], 2, v[10:11]
	s_delay_alu instid0(VALU_DEP_1)
	v_add_nc_u64_e32 v[10:11], s[12:13], v[20:21]
	v_add_nc_u64_e32 v[20:21], s[10:11], v[20:21]
	s_branch .LBB33_13
.LBB33_12:                              ;   in Loop: Header=BB33_13 Depth=2
	s_wait_xcnt 0x0
	s_or_b32 exec_lo, exec_lo, s0
	v_add_nc_u32_e32 v3, 8, v3
	s_xor_b32 s25, vcc_lo, -1
	v_add_nc_u64_e32 v[10:11], 32, v[10:11]
	v_add_nc_u64_e32 v[20:21], 32, v[20:21]
	s_delay_alu instid0(VALU_DEP_3) | instskip(SKIP_1) | instid1(SALU_CYCLE_1)
	v_cmp_ge_i32_e64 s0, v3, v25
	s_or_b32 s0, s25, s0
	s_and_b32 s0, exec_lo, s0
	s_delay_alu instid0(SALU_CYCLE_1) | instskip(NEXT) | instid1(SALU_CYCLE_1)
	s_or_b32 s24, s0, s24
	s_and_not1_b32 exec_lo, exec_lo, s24
	s_cbranch_execz .LBB33_17
.LBB33_13:                              ;   Parent Loop BB33_10 Depth=1
                                        ; =>  This Inner Loop Header: Depth=2
	global_load_b32 v4, v[10:11], off
	s_wait_loadcnt 0x0
	v_subrev_nc_u32_e32 v38, s20, v4
	s_delay_alu instid0(VALU_DEP_1) | instskip(NEXT) | instid1(VALU_DEP_1)
	v_sub_nc_u32_e32 v4, 0, v38
	v_max_i32_e32 v4, v38, v4
	s_delay_alu instid0(VALU_DEP_1) | instskip(NEXT) | instid1(VALU_DEP_1)
	v_mul_u64_e32 v[40:41], s[14:15], v[4:5]
	v_mul_lo_u32 v39, v41, s16
	s_delay_alu instid0(VALU_DEP_1) | instskip(NEXT) | instid1(VALU_DEP_1)
	v_dual_sub_nc_u32 v4, v4, v39 :: v_dual_add_nc_u32 v39, 1, v41
	v_cmp_le_u32_e32 vcc_lo, s16, v4
	s_delay_alu instid0(VALU_DEP_2) | instskip(SKIP_1) | instid1(VALU_DEP_1)
	v_dual_cndmask_b32 v39, v41, v39, vcc_lo :: v_dual_ashrrev_i32 v41, 31, v38
	v_subrev_nc_u32_e32 v40, s16, v4
	v_dual_cndmask_b32 v4, v4, v40, vcc_lo :: v_dual_add_nc_u32 v40, 1, v39
	s_delay_alu instid0(VALU_DEP_1) | instskip(NEXT) | instid1(VALU_DEP_2)
	v_cmp_le_u32_e32 vcc_lo, s16, v4
	v_dual_cndmask_b32 v4, v39, v40, vcc_lo :: v_dual_bitop2_b32 v41, s17, v41 bitop3:0x14
	s_delay_alu instid0(VALU_DEP_1) | instskip(NEXT) | instid1(VALU_DEP_1)
	v_xor_b32_e32 v4, v4, v41
	v_dual_mov_b32 v4, v23 :: v_dual_sub_nc_u32 v39, v4, v41
	s_delay_alu instid0(VALU_DEP_1) | instskip(SKIP_3) | instid1(SALU_CYCLE_1)
	v_cmp_ne_u32_e64 s0, v39, v37
	v_cmp_eq_u32_e32 vcc_lo, v39, v37
	s_wait_xcnt 0x0
	s_and_saveexec_b32 s25, s0
	s_xor_b32 s0, exec_lo, s25
; %bb.14:                               ;   in Loop: Header=BB33_13 Depth=2
	v_min_i32_e32 v36, v39, v36
                                        ; implicit-def: $vgpr38
                                        ; implicit-def: $vgpr4
; %bb.15:                               ;   in Loop: Header=BB33_13 Depth=2
	s_or_saveexec_b32 s0, s0
	v_mov_b32_e32 v23, v3
	s_xor_b32 exec_lo, exec_lo, s0
	s_cbranch_execz .LBB33_12
; %bb.16:                               ;   in Loop: Header=BB33_13 Depth=2
	global_load_b32 v39, v[20:21], off
	v_sub_nc_u32_e32 v23, v38, v22
	s_delay_alu instid0(VALU_DEP_1)
	v_lshl_add_u32 v38, v23, 2, v26
	v_mov_b32_e32 v23, v4
	ds_store_b8 v24, v35 offset:4096
	s_wait_loadcnt 0x0
	ds_store_b32 v38, v39
	s_branch .LBB33_12
.LBB33_17:                              ;   in Loop: Header=BB33_10 Depth=1
	s_or_b32 exec_lo, exec_lo, s24
.LBB33_18:                              ;   in Loop: Header=BB33_10 Depth=1
	s_delay_alu instid0(SALU_CYCLE_1)
	s_or_b32 exec_lo, exec_lo, s23
	ds_bpermute_b32 v3, v27, v23
	s_wait_dscnt 0x0
	ds_load_u8 v11, v24 offset:4096
	v_min_i32_e32 v3, v3, v23
	ds_bpermute_b32 v4, v28, v3
	s_wait_dscnt 0x0
	v_min_i32_e32 v3, v4, v3
	ds_bpermute_b32 v4, v29, v3
	s_wait_dscnt 0x0
	v_min_i32_e32 v3, v4, v3
	ds_bpermute_b32 v10, v30, v3
	v_and_b32_e32 v3, 1, v11
	s_delay_alu instid0(VALU_DEP_1)
	v_cmp_eq_u32_e32 vcc_lo, 1, v3
	v_mov_b32_e32 v3, 0
	s_and_saveexec_b32 s0, vcc_lo
	s_cbranch_execz .LBB33_9
; %bb.19:                               ;   in Loop: Header=BB33_10 Depth=1
	v_ashrrev_i32_e32 v3, 31, v2
	s_delay_alu instid0(VALU_DEP_1) | instskip(SKIP_3) | instid1(VALU_DEP_1)
	v_mul_u64_e32 v[20:21], s[18:19], v[2:3]
	v_add_nc_u32_e32 v3, s21, v37
	global_store_b32 v2, v3, s[8:9] scale_offset
	v_lshlrev_b64_e32 v[20:21], 2, v[20:21]
	v_add_nc_u64_e32 v[22:23], v[6:7], v[20:21]
	v_add_nc_u64_e32 v[20:21], v[8:9], v[20:21]
	s_wait_xcnt 0x0
	s_and_saveexec_b32 s23, s6
	s_cbranch_execz .LBB33_23
; %bb.20:                               ;   in Loop: Header=BB33_10 Depth=1
	ds_load_b32 v3, v31
	s_and_b32 vcc_lo, exec_lo, s4
	s_cbranch_vccz .LBB33_34
; %bb.21:                               ;   in Loop: Header=BB33_10 Depth=1
	v_lshl_add_u64 v[38:39], v[12:13], 2, v[22:23]
	s_wait_dscnt 0x0
	global_store_b32 v[38:39], v3, off
	s_cbranch_execnz .LBB33_23
.LBB33_22:                              ;   in Loop: Header=BB33_10 Depth=1
	s_wait_dscnt 0x0
	global_store_b32 v[20:21], v3, off
.LBB33_23:                              ;   in Loop: Header=BB33_10 Depth=1
	s_wait_xcnt 0x0
	s_or_b32 exec_lo, exec_lo, s23
	s_and_saveexec_b32 s23, s1
	s_cbranch_execz .LBB33_27
; %bb.24:                               ;   in Loop: Header=BB33_10 Depth=1
	s_and_not1_b32 vcc_lo, exec_lo, s4
	s_cbranch_vccnz .LBB33_35
; %bb.25:                               ;   in Loop: Header=BB33_10 Depth=1
	s_wait_dscnt 0x0
	ds_load_b32 v3, v31 offset:32
	v_lshl_add_u64 v[38:39], v[14:15], 2, v[22:23]
	s_wait_dscnt 0x0
	global_store_b32 v[38:39], v3, off
	s_cbranch_execnz .LBB33_27
.LBB33_26:                              ;   in Loop: Header=BB33_10 Depth=1
	s_wait_dscnt 0x0
	s_wait_xcnt 0x0
	ds_load_b32 v3, v31 offset:32
	s_wait_dscnt 0x0
	global_store_b32 v[20:21], v3, off offset:32
.LBB33_27:                              ;   in Loop: Header=BB33_10 Depth=1
	s_wait_xcnt 0x0
	s_or_b32 exec_lo, exec_lo, s23
	s_and_saveexec_b32 s23, s2
	s_cbranch_execz .LBB33_31
; %bb.28:                               ;   in Loop: Header=BB33_10 Depth=1
	s_and_not1_b32 vcc_lo, exec_lo, s4
	s_cbranch_vccnz .LBB33_36
; %bb.29:                               ;   in Loop: Header=BB33_10 Depth=1
	s_wait_dscnt 0x0
	ds_load_b32 v3, v31 offset:64
	v_lshl_add_u64 v[38:39], v[16:17], 2, v[22:23]
	s_wait_dscnt 0x0
	global_store_b32 v[38:39], v3, off
	s_cbranch_execnz .LBB33_31
.LBB33_30:                              ;   in Loop: Header=BB33_10 Depth=1
	s_wait_dscnt 0x0
	s_wait_xcnt 0x0
	ds_load_b32 v3, v31 offset:64
	s_wait_dscnt 0x0
	global_store_b32 v[20:21], v3, off offset:64
.LBB33_31:                              ;   in Loop: Header=BB33_10 Depth=1
	s_wait_xcnt 0x0
	s_or_b32 exec_lo, exec_lo, s23
	s_and_saveexec_b32 s23, s3
	s_cbranch_execz .LBB33_8
; %bb.32:                               ;   in Loop: Header=BB33_10 Depth=1
	s_and_not1_b32 vcc_lo, exec_lo, s4
	s_cbranch_vccnz .LBB33_37
; %bb.33:                               ;   in Loop: Header=BB33_10 Depth=1
	s_wait_dscnt 0x0
	ds_load_b32 v3, v31 offset:96
	v_lshl_add_u64 v[22:23], v[18:19], 2, v[22:23]
	s_wait_dscnt 0x0
	global_store_b32 v[22:23], v3, off
	s_cbranch_execnz .LBB33_8
	s_branch .LBB33_38
.LBB33_34:                              ;   in Loop: Header=BB33_10 Depth=1
	s_branch .LBB33_22
.LBB33_35:                              ;   in Loop: Header=BB33_10 Depth=1
	s_branch .LBB33_26
.LBB33_36:                              ;   in Loop: Header=BB33_10 Depth=1
	s_branch .LBB33_30
.LBB33_37:                              ;   in Loop: Header=BB33_10 Depth=1
.LBB33_38:                              ;   in Loop: Header=BB33_10 Depth=1
	s_wait_dscnt 0x0
	s_wait_xcnt 0x0
	ds_load_b32 v3, v31 offset:96
	s_wait_dscnt 0x0
	global_store_b32 v[20:21], v3, off offset:96
	s_branch .LBB33_8
.LBB33_39:
	s_endpgm
	.section	.rodata,"a",@progbits
	.p2align	6, 0x0
	.amdhsa_kernel _ZN9rocsparseL44csr2gebsr_wavefront_per_row_multipass_kernelILi256ELi4ELi32ELi32EfEEv20rocsparse_direction_iiiiii21rocsparse_index_base_PKT3_PKiS7_S2_PS3_PiS9_
		.amdhsa_group_segment_fixed_size 4104
		.amdhsa_private_segment_fixed_size 0
		.amdhsa_kernarg_size 88
		.amdhsa_user_sgpr_count 2
		.amdhsa_user_sgpr_dispatch_ptr 0
		.amdhsa_user_sgpr_queue_ptr 0
		.amdhsa_user_sgpr_kernarg_segment_ptr 1
		.amdhsa_user_sgpr_dispatch_id 0
		.amdhsa_user_sgpr_kernarg_preload_length 0
		.amdhsa_user_sgpr_kernarg_preload_offset 0
		.amdhsa_user_sgpr_private_segment_size 0
		.amdhsa_wavefront_size32 1
		.amdhsa_uses_dynamic_stack 0
		.amdhsa_enable_private_segment 0
		.amdhsa_system_sgpr_workgroup_id_x 1
		.amdhsa_system_sgpr_workgroup_id_y 0
		.amdhsa_system_sgpr_workgroup_id_z 0
		.amdhsa_system_sgpr_workgroup_info 0
		.amdhsa_system_vgpr_workitem_id 0
		.amdhsa_next_free_vgpr 42
		.amdhsa_next_free_sgpr 26
		.amdhsa_named_barrier_count 0
		.amdhsa_reserve_vcc 1
		.amdhsa_float_round_mode_32 0
		.amdhsa_float_round_mode_16_64 0
		.amdhsa_float_denorm_mode_32 3
		.amdhsa_float_denorm_mode_16_64 3
		.amdhsa_fp16_overflow 0
		.amdhsa_memory_ordered 1
		.amdhsa_forward_progress 1
		.amdhsa_inst_pref_size 15
		.amdhsa_round_robin_scheduling 0
		.amdhsa_exception_fp_ieee_invalid_op 0
		.amdhsa_exception_fp_denorm_src 0
		.amdhsa_exception_fp_ieee_div_zero 0
		.amdhsa_exception_fp_ieee_overflow 0
		.amdhsa_exception_fp_ieee_underflow 0
		.amdhsa_exception_fp_ieee_inexact 0
		.amdhsa_exception_int_div_zero 0
	.end_amdhsa_kernel
	.section	.text._ZN9rocsparseL44csr2gebsr_wavefront_per_row_multipass_kernelILi256ELi4ELi32ELi32EfEEv20rocsparse_direction_iiiiii21rocsparse_index_base_PKT3_PKiS7_S2_PS3_PiS9_,"axG",@progbits,_ZN9rocsparseL44csr2gebsr_wavefront_per_row_multipass_kernelILi256ELi4ELi32ELi32EfEEv20rocsparse_direction_iiiiii21rocsparse_index_base_PKT3_PKiS7_S2_PS3_PiS9_,comdat
.Lfunc_end33:
	.size	_ZN9rocsparseL44csr2gebsr_wavefront_per_row_multipass_kernelILi256ELi4ELi32ELi32EfEEv20rocsparse_direction_iiiiii21rocsparse_index_base_PKT3_PKiS7_S2_PS3_PiS9_, .Lfunc_end33-_ZN9rocsparseL44csr2gebsr_wavefront_per_row_multipass_kernelILi256ELi4ELi32ELi32EfEEv20rocsparse_direction_iiiiii21rocsparse_index_base_PKT3_PKiS7_S2_PS3_PiS9_
                                        ; -- End function
	.set _ZN9rocsparseL44csr2gebsr_wavefront_per_row_multipass_kernelILi256ELi4ELi32ELi32EfEEv20rocsparse_direction_iiiiii21rocsparse_index_base_PKT3_PKiS7_S2_PS3_PiS9_.num_vgpr, 42
	.set _ZN9rocsparseL44csr2gebsr_wavefront_per_row_multipass_kernelILi256ELi4ELi32ELi32EfEEv20rocsparse_direction_iiiiii21rocsparse_index_base_PKT3_PKiS7_S2_PS3_PiS9_.num_agpr, 0
	.set _ZN9rocsparseL44csr2gebsr_wavefront_per_row_multipass_kernelILi256ELi4ELi32ELi32EfEEv20rocsparse_direction_iiiiii21rocsparse_index_base_PKT3_PKiS7_S2_PS3_PiS9_.numbered_sgpr, 26
	.set _ZN9rocsparseL44csr2gebsr_wavefront_per_row_multipass_kernelILi256ELi4ELi32ELi32EfEEv20rocsparse_direction_iiiiii21rocsparse_index_base_PKT3_PKiS7_S2_PS3_PiS9_.num_named_barrier, 0
	.set _ZN9rocsparseL44csr2gebsr_wavefront_per_row_multipass_kernelILi256ELi4ELi32ELi32EfEEv20rocsparse_direction_iiiiii21rocsparse_index_base_PKT3_PKiS7_S2_PS3_PiS9_.private_seg_size, 0
	.set _ZN9rocsparseL44csr2gebsr_wavefront_per_row_multipass_kernelILi256ELi4ELi32ELi32EfEEv20rocsparse_direction_iiiiii21rocsparse_index_base_PKT3_PKiS7_S2_PS3_PiS9_.uses_vcc, 1
	.set _ZN9rocsparseL44csr2gebsr_wavefront_per_row_multipass_kernelILi256ELi4ELi32ELi32EfEEv20rocsparse_direction_iiiiii21rocsparse_index_base_PKT3_PKiS7_S2_PS3_PiS9_.uses_flat_scratch, 0
	.set _ZN9rocsparseL44csr2gebsr_wavefront_per_row_multipass_kernelILi256ELi4ELi32ELi32EfEEv20rocsparse_direction_iiiiii21rocsparse_index_base_PKT3_PKiS7_S2_PS3_PiS9_.has_dyn_sized_stack, 0
	.set _ZN9rocsparseL44csr2gebsr_wavefront_per_row_multipass_kernelILi256ELi4ELi32ELi32EfEEv20rocsparse_direction_iiiiii21rocsparse_index_base_PKT3_PKiS7_S2_PS3_PiS9_.has_recursion, 0
	.set _ZN9rocsparseL44csr2gebsr_wavefront_per_row_multipass_kernelILi256ELi4ELi32ELi32EfEEv20rocsparse_direction_iiiiii21rocsparse_index_base_PKT3_PKiS7_S2_PS3_PiS9_.has_indirect_call, 0
	.section	.AMDGPU.csdata,"",@progbits
; Kernel info:
; codeLenInByte = 1820
; TotalNumSgprs: 28
; NumVgprs: 42
; ScratchSize: 0
; MemoryBound: 0
; FloatMode: 240
; IeeeMode: 1
; LDSByteSize: 4104 bytes/workgroup (compile time only)
; SGPRBlocks: 0
; VGPRBlocks: 2
; NumSGPRsForWavesPerEU: 28
; NumVGPRsForWavesPerEU: 42
; NamedBarCnt: 0
; Occupancy: 16
; WaveLimiterHint : 0
; COMPUTE_PGM_RSRC2:SCRATCH_EN: 0
; COMPUTE_PGM_RSRC2:USER_SGPR: 2
; COMPUTE_PGM_RSRC2:TRAP_HANDLER: 0
; COMPUTE_PGM_RSRC2:TGID_X_EN: 1
; COMPUTE_PGM_RSRC2:TGID_Y_EN: 0
; COMPUTE_PGM_RSRC2:TGID_Z_EN: 0
; COMPUTE_PGM_RSRC2:TIDIG_COMP_CNT: 0
	.section	.text._ZN9rocsparseL44csr2gebsr_wavefront_per_row_multipass_kernelILi256ELi4ELi64ELi64EfEEv20rocsparse_direction_iiiiii21rocsparse_index_base_PKT3_PKiS7_S2_PS3_PiS9_,"axG",@progbits,_ZN9rocsparseL44csr2gebsr_wavefront_per_row_multipass_kernelILi256ELi4ELi64ELi64EfEEv20rocsparse_direction_iiiiii21rocsparse_index_base_PKT3_PKiS7_S2_PS3_PiS9_,comdat
	.globl	_ZN9rocsparseL44csr2gebsr_wavefront_per_row_multipass_kernelILi256ELi4ELi64ELi64EfEEv20rocsparse_direction_iiiiii21rocsparse_index_base_PKT3_PKiS7_S2_PS3_PiS9_ ; -- Begin function _ZN9rocsparseL44csr2gebsr_wavefront_per_row_multipass_kernelILi256ELi4ELi64ELi64EfEEv20rocsparse_direction_iiiiii21rocsparse_index_base_PKT3_PKiS7_S2_PS3_PiS9_
	.p2align	8
	.type	_ZN9rocsparseL44csr2gebsr_wavefront_per_row_multipass_kernelILi256ELi4ELi64ELi64EfEEv20rocsparse_direction_iiiiii21rocsparse_index_base_PKT3_PKiS7_S2_PS3_PiS9_,@function
_ZN9rocsparseL44csr2gebsr_wavefront_per_row_multipass_kernelILi256ELi4ELi64ELi64EfEEv20rocsparse_direction_iiiiii21rocsparse_index_base_PKT3_PKiS7_S2_PS3_PiS9_: ; @_ZN9rocsparseL44csr2gebsr_wavefront_per_row_multipass_kernelILi256ELi4ELi64ELi64EfEEv20rocsparse_direction_iiiiii21rocsparse_index_base_PKT3_PKiS7_S2_PS3_PiS9_
; %bb.0:
	s_clause 0x1
	s_load_b128 s[4:7], s[0:1], 0xc
	s_load_b64 s[14:15], s[0:1], 0x0
	s_bfe_u32 s2, ttmp6, 0x4000c
	s_and_b32 s3, ttmp6, 15
	s_add_co_i32 s2, s2, 1
	s_getreg_b32 s8, hwreg(HW_REG_IB_STS2, 6, 4)
	s_mul_i32 s2, ttmp9, s2
	v_dual_lshrrev_b32 v24, 6, v0 :: v_dual_mov_b32 v2, 0
	s_add_co_i32 s3, s3, s2
	s_cmp_eq_u32 s8, 0
	v_bfe_u32 v1, v0, 4, 2
	s_cselect_b32 s2, ttmp9, s3
	s_clause 0x1
	s_load_b32 s20, s[0:1], 0x1c
	s_load_b64 s[8:9], s[0:1], 0x28
	v_lshl_or_b32 v3, s2, 2, v24
	v_mov_b32_e32 v8, 0
	s_wait_kmcnt 0x0
	s_delay_alu instid0(VALU_DEP_2) | instskip(SKIP_1) | instid1(VALU_DEP_2)
	v_mad_u32 v4, v3, s6, v1
	v_cmp_gt_i32_e32 vcc_lo, s6, v1
	v_cmp_gt_i32_e64 s2, s15, v4
	s_and_b32 s2, vcc_lo, s2
	s_delay_alu instid0(SALU_CYCLE_1)
	s_and_saveexec_b32 s3, s2
	s_cbranch_execz .LBB34_2
; %bb.1:
	global_load_b32 v5, v4, s[8:9] scale_offset
	s_wait_loadcnt 0x0
	v_subrev_nc_u32_e32 v8, s20, v5
.LBB34_2:
	s_or_b32 exec_lo, exec_lo, s3
	v_mov_b32_e32 v25, 0
	s_and_saveexec_b32 s3, s2
	s_cbranch_execz .LBB34_4
; %bb.3:
	global_load_b32 v4, v4, s[8:9] offset:4 scale_offset
	s_wait_loadcnt 0x0
	v_subrev_nc_u32_e32 v25, s20, v4
.LBB34_4:
	s_or_b32 exec_lo, exec_lo, s3
	s_load_b32 s21, s[0:1], 0x38
	s_mov_b32 s3, exec_lo
	v_cmpx_gt_i32_e64 s4, v3
	s_cbranch_execz .LBB34_6
; %bb.5:
	s_load_b64 s[8:9], s[0:1], 0x48
	s_wait_kmcnt 0x0
	global_load_b32 v2, v3, s[8:9] scale_offset
	s_wait_loadcnt 0x0
	v_subrev_nc_u32_e32 v2, s21, v2
.LBB34_6:
	s_or_b32 exec_lo, exec_lo, s3
	s_cmp_lt_i32 s5, 1
	s_cbranch_scc1 .LBB34_39
; %bb.7:
	v_dual_lshlrev_b32 v3, 8, v1 :: v_dual_bitop2_b32 v0, 15, v0 bitop3:0x40
	v_mbcnt_lo_u32_b32 v9, -1, 0
	s_clause 0x3
	s_load_b64 s[8:9], s[0:1], 0x50
	s_load_b64 s[2:3], s[0:1], 0x40
	;; [unrolled: 1-line block ×4, first 2 shown]
	v_mul_lo_u32 v10, s7, v1
	v_lshl_or_b32 v26, v24, 10, v3
	v_dual_lshlrev_b32 v12, 2, v0 :: v_dual_bitop2_b32 v3, 4, v9 bitop3:0x14
	v_xor_b32_e32 v4, 8, v9
	s_cmp_lg_u32 s14, 0
	s_mov_b32 s15, 0
	s_cselect_b32 s4, -1, 0
	s_mov_b32 s14, s6
	s_wait_xcnt 0x0
	v_cmp_gt_i32_e64 s0, 32, v4
	s_ashr_i32 s17, s7, 31
	s_mov_b32 s16, s7
	v_lshl_or_b32 v31, v9, 2, 60
	s_mul_u64 s[18:19], s[16:17], s[14:15]
	v_dual_cndmask_b32 v4, v9, v4, s0 :: v_dual_bitop2_b32 v6, 1, v9 bitop3:0x14
	v_cmp_gt_i32_e64 s0, 32, v3
	s_abs_i32 s16, s7
	v_bfrev_b32_e32 v35, 0.5
	v_dual_lshlrev_b32 v27, 2, v4 :: v_dual_bitop2_b32 v5, 2, v9 bitop3:0x14
	v_dual_cndmask_b32 v3, v9, v3, s0 :: v_dual_lshlrev_b32 v4, 2, v1
	s_cvt_f32_u32 s1, s16
	s_mov_b32 s22, s15
	s_delay_alu instid0(VALU_DEP_2) | instskip(NEXT) | instid1(VALU_DEP_2)
	v_cmp_gt_i32_e64 s0, 32, v5
	v_dual_lshlrev_b32 v28, 2, v3 :: v_dual_ashrrev_i32 v11, 31, v10
	v_dual_mov_b32 v36, 1 :: v_dual_mov_b32 v38, 0
	s_delay_alu instid0(VALU_DEP_3) | instskip(SKIP_3) | instid1(VALU_DEP_2)
	v_cndmask_b32_e64 v5, v9, v5, s0
	v_cmp_gt_i32_e64 s0, 32, v6
	s_wait_kmcnt 0x0
	v_lshl_add_u64 v[10:11], v[10:11], 2, s[2:3]
	v_dual_cndmask_b32 v6, v9, v6, s0 :: v_dual_lshlrev_b32 v29, 2, v5
	v_dual_mov_b32 v5, 0 :: v_dual_bitop2_b32 v3, 16, v9 bitop3:0x14
	s_delay_alu instid0(VALU_DEP_2) | instskip(NEXT) | instid1(VALU_DEP_2)
	v_dual_lshlrev_b32 v30, 2, v6 :: v_dual_bitop2_b32 v1, 32, v9 bitop3:0x54
	v_dual_mov_b32 v13, v5 :: v_dual_bitop2_b32 v32, v26, v12 bitop3:0x54
	v_add_nc_u64_e32 v[6:7], s[2:3], v[4:5]
	s_delay_alu instid0(VALU_DEP_3) | instskip(SKIP_1) | instid1(VALU_DEP_4)
	v_cmp_gt_i32_e64 s0, 32, v1
	v_dual_mov_b32 v17, v5 :: v_dual_mov_b32 v19, v5
	v_add_nc_u64_e32 v[10:11], v[10:11], v[12:13]
	v_mul_lo_u32 v12, v0, s6
	s_delay_alu instid0(VALU_DEP_4)
	v_cndmask_b32_e64 v4, v9, v1, s0
	v_mov_b32_e32 v1, v5
	v_cmp_gt_i32_e64 s0, 32, v3
	s_lshl_b32 s6, s6, 4
	v_mov_b32_e32 v15, v5
	v_cndmask_b32_e64 v3, v9, v3, s0
	v_cmp_gt_u32_e64 s0, s7, v0
	s_delay_alu instid0(VALU_DEP_2) | instskip(SKIP_2) | instid1(VALU_DEP_2)
	v_dual_add_nc_u32 v14, s6, v12 :: v_dual_lshlrev_b32 v34, 2, v3
	v_lshlrev_b32_e32 v33, 2, v4
	v_rcp_iflag_f32_e32 v4, s1
	v_dual_add_nc_u32 v16, s6, v14 :: v_dual_bitop2_b32 v3, 16, v0 bitop3:0x54
	s_delay_alu instid0(VALU_DEP_1) | instskip(NEXT) | instid1(TRANS32_DEP_1)
	v_cmp_gt_u32_e64 s1, s7, v3
	v_readfirstlane_b32 s3, v4
	v_or_b32_e32 v3, 32, v0
	v_or_b32_e32 v4, 48, v0
	v_add_nc_u32_e32 v18, s6, v16
	s_and_b32 s6, s0, vcc_lo
	s_mul_f32 s14, s3, 0x4f7ffffe
	s_sub_co_i32 s0, 0, s16
	v_cmp_gt_u32_e64 s2, s7, v3
	v_cmp_gt_u32_e64 s3, s7, v4
	s_cvt_u32_f32 s14, s14
	s_and_b32 s1, vcc_lo, s1
	s_and_b32 s2, vcc_lo, s2
	s_delay_alu instid0(SALU_CYCLE_1) | instskip(SKIP_2) | instid1(SALU_CYCLE_1)
	s_mul_i32 s0, s0, s14
	s_and_b32 s3, vcc_lo, s3
	s_mul_hi_u32 s0, s14, s0
	s_add_co_i32 s14, s14, s0
	s_branch .LBB34_10
.LBB34_8:                               ;   in Loop: Header=BB34_10 Depth=1
	s_wait_xcnt 0x0
	s_or_b32 exec_lo, exec_lo, s23
	s_wait_dscnt 0x0
	v_mov_b32_e32 v3, 1
.LBB34_9:                               ;   in Loop: Header=BB34_10 Depth=1
	s_or_b32 exec_lo, exec_lo, s0
	ds_bpermute_b32 v4, v33, v37
	s_wait_storecnt_dscnt 0x0
	v_dual_add_nc_u32 v2, v3, v2 :: v_dual_min_i32 v4, v4, v37
	ds_bpermute_b32 v9, v34, v4
	s_wait_dscnt 0x0
	v_min_i32_e32 v4, v9, v4
	ds_bpermute_b32 v9, v27, v4
	s_wait_dscnt 0x0
	v_min_i32_e32 v4, v9, v4
	ds_bpermute_b32 v9, v28, v4
	s_wait_dscnt 0x0
	v_min_i32_e32 v4, v9, v4
	ds_bpermute_b32 v9, v29, v4
	s_wait_dscnt 0x0
	v_min_i32_e32 v4, v9, v4
	ds_bpermute_b32 v9, v30, v4
	s_wait_dscnt 0x0
	v_min_i32_e32 v4, v9, v4
	ds_bpermute_b32 v38, v35, v4
	s_wait_dscnt 0x0
	v_cmp_le_i32_e32 vcc_lo, s5, v38
	s_or_b32 s22, vcc_lo, s22
	s_delay_alu instid0(SALU_CYCLE_1)
	s_and_not1_b32 exec_lo, exec_lo, s22
	s_cbranch_execz .LBB34_39
.LBB34_10:                              ; =>This Loop Header: Depth=1
                                        ;     Child Loop BB34_13 Depth 2
	v_dual_add_nc_u32 v3, v8, v0 :: v_dual_mov_b32 v37, s5
	v_mov_b32_e32 v23, v25
	s_mov_b32 s23, exec_lo
	ds_store_b8 v24, v5 offset:4096
	ds_store_2addr_b32 v32, v5, v5 offset1:16
	ds_store_2addr_b32 v32, v5, v5 offset0:32 offset1:48
	s_wait_dscnt 0x0
	v_cmpx_lt_i32_e64 v3, v25
	s_cbranch_execz .LBB34_18
; %bb.11:                               ;   in Loop: Header=BB34_10 Depth=1
	v_dual_ashrrev_i32 v9, 31, v8 :: v_dual_mov_b32 v37, s5
	v_mul_lo_u32 v22, v38, s7
	v_mov_b32_e32 v23, v25
	s_mov_b32 s24, 0
	s_delay_alu instid0(VALU_DEP_3) | instskip(NEXT) | instid1(VALU_DEP_1)
	v_add_nc_u64_e32 v[8:9], v[0:1], v[8:9]
	v_lshlrev_b64_e32 v[20:21], 2, v[8:9]
	s_delay_alu instid0(VALU_DEP_1)
	v_add_nc_u64_e32 v[8:9], s[12:13], v[20:21]
	v_add_nc_u64_e32 v[20:21], s[10:11], v[20:21]
	s_branch .LBB34_13
.LBB34_12:                              ;   in Loop: Header=BB34_13 Depth=2
	s_wait_xcnt 0x0
	s_or_b32 exec_lo, exec_lo, s0
	v_add_nc_u32_e32 v3, 16, v3
	s_xor_b32 s25, vcc_lo, -1
	v_add_nc_u64_e32 v[8:9], 64, v[8:9]
	v_add_nc_u64_e32 v[20:21], 64, v[20:21]
	s_delay_alu instid0(VALU_DEP_3) | instskip(SKIP_1) | instid1(SALU_CYCLE_1)
	v_cmp_ge_i32_e64 s0, v3, v25
	s_or_b32 s0, s25, s0
	s_and_b32 s0, exec_lo, s0
	s_delay_alu instid0(SALU_CYCLE_1) | instskip(NEXT) | instid1(SALU_CYCLE_1)
	s_or_b32 s24, s0, s24
	s_and_not1_b32 exec_lo, exec_lo, s24
	s_cbranch_execz .LBB34_17
.LBB34_13:                              ;   Parent Loop BB34_10 Depth=1
                                        ; =>  This Inner Loop Header: Depth=2
	global_load_b32 v4, v[8:9], off
	s_wait_loadcnt 0x0
	v_subrev_nc_u32_e32 v39, s20, v4
	s_delay_alu instid0(VALU_DEP_1) | instskip(NEXT) | instid1(VALU_DEP_1)
	v_sub_nc_u32_e32 v4, 0, v39
	v_max_i32_e32 v4, v39, v4
	s_delay_alu instid0(VALU_DEP_1) | instskip(NEXT) | instid1(VALU_DEP_1)
	v_mul_u64_e32 v[40:41], s[14:15], v[4:5]
	v_mul_lo_u32 v40, v41, s16
	s_delay_alu instid0(VALU_DEP_1) | instskip(NEXT) | instid1(VALU_DEP_1)
	v_dual_sub_nc_u32 v4, v4, v40 :: v_dual_add_nc_u32 v40, 1, v41
	v_cmp_le_u32_e32 vcc_lo, s16, v4
	s_delay_alu instid0(VALU_DEP_2) | instskip(SKIP_1) | instid1(VALU_DEP_1)
	v_cndmask_b32_e32 v40, v41, v40, vcc_lo
	v_subrev_nc_u32_e32 v42, s16, v4
	v_dual_cndmask_b32 v4, v4, v42 :: v_dual_ashrrev_i32 v41, 31, v39
	s_delay_alu instid0(VALU_DEP_3) | instskip(NEXT) | instid1(VALU_DEP_2)
	v_add_nc_u32_e32 v42, 1, v40
	v_cmp_le_u32_e32 vcc_lo, s16, v4
	s_delay_alu instid0(VALU_DEP_2) | instskip(NEXT) | instid1(VALU_DEP_1)
	v_dual_cndmask_b32 v4, v40, v42, vcc_lo :: v_dual_bitop2_b32 v41, s17, v41 bitop3:0x14
	v_xor_b32_e32 v4, v4, v41
	s_delay_alu instid0(VALU_DEP_1) | instskip(NEXT) | instid1(VALU_DEP_1)
	v_dual_sub_nc_u32 v40, v4, v41 :: v_dual_mov_b32 v4, v23
	v_cmp_ne_u32_e64 s0, v40, v38
	v_cmp_eq_u32_e32 vcc_lo, v40, v38
	s_wait_xcnt 0x0
	s_and_saveexec_b32 s25, s0
	s_delay_alu instid0(SALU_CYCLE_1)
	s_xor_b32 s0, exec_lo, s25
; %bb.14:                               ;   in Loop: Header=BB34_13 Depth=2
	v_min_i32_e32 v37, v40, v37
                                        ; implicit-def: $vgpr39
                                        ; implicit-def: $vgpr4
; %bb.15:                               ;   in Loop: Header=BB34_13 Depth=2
	s_or_saveexec_b32 s0, s0
	v_mov_b32_e32 v23, v3
	s_xor_b32 exec_lo, exec_lo, s0
	s_cbranch_execz .LBB34_12
; %bb.16:                               ;   in Loop: Header=BB34_13 Depth=2
	global_load_b32 v40, v[20:21], off
	v_sub_nc_u32_e32 v23, v39, v22
	s_delay_alu instid0(VALU_DEP_1)
	v_lshl_add_u32 v39, v23, 2, v26
	v_mov_b32_e32 v23, v4
	ds_store_b8 v24, v36 offset:4096
	s_wait_loadcnt 0x0
	ds_store_b32 v39, v40
	s_branch .LBB34_12
.LBB34_17:                              ;   in Loop: Header=BB34_10 Depth=1
	s_or_b32 exec_lo, exec_lo, s24
.LBB34_18:                              ;   in Loop: Header=BB34_10 Depth=1
	s_delay_alu instid0(SALU_CYCLE_1)
	s_or_b32 exec_lo, exec_lo, s23
	ds_bpermute_b32 v3, v27, v23
	s_wait_dscnt 0x0
	ds_load_u8 v9, v24 offset:4096
	v_min_i32_e32 v3, v3, v23
	ds_bpermute_b32 v4, v28, v3
	s_wait_dscnt 0x0
	v_min_i32_e32 v3, v4, v3
	ds_bpermute_b32 v4, v29, v3
	s_wait_dscnt 0x0
	;; [unrolled: 3-line block ×3, first 2 shown]
	v_min_i32_e32 v3, v4, v3
	ds_bpermute_b32 v8, v31, v3
	v_and_b32_e32 v3, 1, v9
	s_delay_alu instid0(VALU_DEP_1)
	v_cmp_eq_u32_e32 vcc_lo, 1, v3
	v_mov_b32_e32 v3, 0
	s_and_saveexec_b32 s0, vcc_lo
	s_cbranch_execz .LBB34_9
; %bb.19:                               ;   in Loop: Header=BB34_10 Depth=1
	v_ashrrev_i32_e32 v3, 31, v2
	s_delay_alu instid0(VALU_DEP_1) | instskip(SKIP_3) | instid1(VALU_DEP_1)
	v_mul_u64_e32 v[20:21], s[18:19], v[2:3]
	v_add_nc_u32_e32 v3, s21, v38
	global_store_b32 v2, v3, s[8:9] scale_offset
	v_lshlrev_b64_e32 v[20:21], 2, v[20:21]
	v_add_nc_u64_e32 v[22:23], v[6:7], v[20:21]
	v_add_nc_u64_e32 v[20:21], v[10:11], v[20:21]
	s_wait_xcnt 0x0
	s_and_saveexec_b32 s23, s6
	s_cbranch_execz .LBB34_23
; %bb.20:                               ;   in Loop: Header=BB34_10 Depth=1
	ds_load_b32 v3, v32
	s_and_b32 vcc_lo, exec_lo, s4
	s_cbranch_vccz .LBB34_34
; %bb.21:                               ;   in Loop: Header=BB34_10 Depth=1
	v_lshl_add_u64 v[38:39], v[12:13], 2, v[22:23]
	s_wait_dscnt 0x0
	global_store_b32 v[38:39], v3, off
	s_cbranch_execnz .LBB34_23
.LBB34_22:                              ;   in Loop: Header=BB34_10 Depth=1
	s_wait_dscnt 0x0
	global_store_b32 v[20:21], v3, off
.LBB34_23:                              ;   in Loop: Header=BB34_10 Depth=1
	s_wait_xcnt 0x0
	s_or_b32 exec_lo, exec_lo, s23
	s_and_saveexec_b32 s23, s1
	s_cbranch_execz .LBB34_27
; %bb.24:                               ;   in Loop: Header=BB34_10 Depth=1
	s_and_not1_b32 vcc_lo, exec_lo, s4
	s_cbranch_vccnz .LBB34_35
; %bb.25:                               ;   in Loop: Header=BB34_10 Depth=1
	s_wait_dscnt 0x0
	ds_load_b32 v3, v32 offset:64
	v_lshl_add_u64 v[38:39], v[14:15], 2, v[22:23]
	s_wait_dscnt 0x0
	global_store_b32 v[38:39], v3, off
	s_cbranch_execnz .LBB34_27
.LBB34_26:                              ;   in Loop: Header=BB34_10 Depth=1
	s_wait_dscnt 0x0
	s_wait_xcnt 0x0
	ds_load_b32 v3, v32 offset:64
	s_wait_dscnt 0x0
	global_store_b32 v[20:21], v3, off offset:64
.LBB34_27:                              ;   in Loop: Header=BB34_10 Depth=1
	s_wait_xcnt 0x0
	s_or_b32 exec_lo, exec_lo, s23
	s_and_saveexec_b32 s23, s2
	s_cbranch_execz .LBB34_31
; %bb.28:                               ;   in Loop: Header=BB34_10 Depth=1
	s_and_not1_b32 vcc_lo, exec_lo, s4
	s_cbranch_vccnz .LBB34_36
; %bb.29:                               ;   in Loop: Header=BB34_10 Depth=1
	s_wait_dscnt 0x0
	ds_load_b32 v3, v32 offset:128
	v_lshl_add_u64 v[38:39], v[16:17], 2, v[22:23]
	s_wait_dscnt 0x0
	global_store_b32 v[38:39], v3, off
	s_cbranch_execnz .LBB34_31
.LBB34_30:                              ;   in Loop: Header=BB34_10 Depth=1
	s_wait_dscnt 0x0
	s_wait_xcnt 0x0
	ds_load_b32 v3, v32 offset:128
	s_wait_dscnt 0x0
	global_store_b32 v[20:21], v3, off offset:128
.LBB34_31:                              ;   in Loop: Header=BB34_10 Depth=1
	s_wait_xcnt 0x0
	s_or_b32 exec_lo, exec_lo, s23
	s_and_saveexec_b32 s23, s3
	s_cbranch_execz .LBB34_8
; %bb.32:                               ;   in Loop: Header=BB34_10 Depth=1
	s_and_not1_b32 vcc_lo, exec_lo, s4
	s_cbranch_vccnz .LBB34_37
; %bb.33:                               ;   in Loop: Header=BB34_10 Depth=1
	s_wait_dscnt 0x0
	ds_load_b32 v3, v32 offset:192
	v_lshl_add_u64 v[22:23], v[18:19], 2, v[22:23]
	s_wait_dscnt 0x0
	global_store_b32 v[22:23], v3, off
	s_cbranch_execnz .LBB34_8
	s_branch .LBB34_38
.LBB34_34:                              ;   in Loop: Header=BB34_10 Depth=1
	s_branch .LBB34_22
.LBB34_35:                              ;   in Loop: Header=BB34_10 Depth=1
	s_branch .LBB34_26
.LBB34_36:                              ;   in Loop: Header=BB34_10 Depth=1
	s_branch .LBB34_30
.LBB34_37:                              ;   in Loop: Header=BB34_10 Depth=1
.LBB34_38:                              ;   in Loop: Header=BB34_10 Depth=1
	s_wait_dscnt 0x0
	s_wait_xcnt 0x0
	ds_load_b32 v3, v32 offset:192
	s_wait_dscnt 0x0
	global_store_b32 v[20:21], v3, off offset:192
	s_branch .LBB34_8
.LBB34_39:
	s_endpgm
	.section	.rodata,"a",@progbits
	.p2align	6, 0x0
	.amdhsa_kernel _ZN9rocsparseL44csr2gebsr_wavefront_per_row_multipass_kernelILi256ELi4ELi64ELi64EfEEv20rocsparse_direction_iiiiii21rocsparse_index_base_PKT3_PKiS7_S2_PS3_PiS9_
		.amdhsa_group_segment_fixed_size 4100
		.amdhsa_private_segment_fixed_size 0
		.amdhsa_kernarg_size 88
		.amdhsa_user_sgpr_count 2
		.amdhsa_user_sgpr_dispatch_ptr 0
		.amdhsa_user_sgpr_queue_ptr 0
		.amdhsa_user_sgpr_kernarg_segment_ptr 1
		.amdhsa_user_sgpr_dispatch_id 0
		.amdhsa_user_sgpr_kernarg_preload_length 0
		.amdhsa_user_sgpr_kernarg_preload_offset 0
		.amdhsa_user_sgpr_private_segment_size 0
		.amdhsa_wavefront_size32 1
		.amdhsa_uses_dynamic_stack 0
		.amdhsa_enable_private_segment 0
		.amdhsa_system_sgpr_workgroup_id_x 1
		.amdhsa_system_sgpr_workgroup_id_y 0
		.amdhsa_system_sgpr_workgroup_id_z 0
		.amdhsa_system_sgpr_workgroup_info 0
		.amdhsa_system_vgpr_workitem_id 0
		.amdhsa_next_free_vgpr 43
		.amdhsa_next_free_sgpr 26
		.amdhsa_named_barrier_count 0
		.amdhsa_reserve_vcc 1
		.amdhsa_float_round_mode_32 0
		.amdhsa_float_round_mode_16_64 0
		.amdhsa_float_denorm_mode_32 3
		.amdhsa_float_denorm_mode_16_64 3
		.amdhsa_fp16_overflow 0
		.amdhsa_memory_ordered 1
		.amdhsa_forward_progress 1
		.amdhsa_inst_pref_size 16
		.amdhsa_round_robin_scheduling 0
		.amdhsa_exception_fp_ieee_invalid_op 0
		.amdhsa_exception_fp_denorm_src 0
		.amdhsa_exception_fp_ieee_div_zero 0
		.amdhsa_exception_fp_ieee_overflow 0
		.amdhsa_exception_fp_ieee_underflow 0
		.amdhsa_exception_fp_ieee_inexact 0
		.amdhsa_exception_int_div_zero 0
	.end_amdhsa_kernel
	.section	.text._ZN9rocsparseL44csr2gebsr_wavefront_per_row_multipass_kernelILi256ELi4ELi64ELi64EfEEv20rocsparse_direction_iiiiii21rocsparse_index_base_PKT3_PKiS7_S2_PS3_PiS9_,"axG",@progbits,_ZN9rocsparseL44csr2gebsr_wavefront_per_row_multipass_kernelILi256ELi4ELi64ELi64EfEEv20rocsparse_direction_iiiiii21rocsparse_index_base_PKT3_PKiS7_S2_PS3_PiS9_,comdat
.Lfunc_end34:
	.size	_ZN9rocsparseL44csr2gebsr_wavefront_per_row_multipass_kernelILi256ELi4ELi64ELi64EfEEv20rocsparse_direction_iiiiii21rocsparse_index_base_PKT3_PKiS7_S2_PS3_PiS9_, .Lfunc_end34-_ZN9rocsparseL44csr2gebsr_wavefront_per_row_multipass_kernelILi256ELi4ELi64ELi64EfEEv20rocsparse_direction_iiiiii21rocsparse_index_base_PKT3_PKiS7_S2_PS3_PiS9_
                                        ; -- End function
	.set _ZN9rocsparseL44csr2gebsr_wavefront_per_row_multipass_kernelILi256ELi4ELi64ELi64EfEEv20rocsparse_direction_iiiiii21rocsparse_index_base_PKT3_PKiS7_S2_PS3_PiS9_.num_vgpr, 43
	.set _ZN9rocsparseL44csr2gebsr_wavefront_per_row_multipass_kernelILi256ELi4ELi64ELi64EfEEv20rocsparse_direction_iiiiii21rocsparse_index_base_PKT3_PKiS7_S2_PS3_PiS9_.num_agpr, 0
	.set _ZN9rocsparseL44csr2gebsr_wavefront_per_row_multipass_kernelILi256ELi4ELi64ELi64EfEEv20rocsparse_direction_iiiiii21rocsparse_index_base_PKT3_PKiS7_S2_PS3_PiS9_.numbered_sgpr, 26
	.set _ZN9rocsparseL44csr2gebsr_wavefront_per_row_multipass_kernelILi256ELi4ELi64ELi64EfEEv20rocsparse_direction_iiiiii21rocsparse_index_base_PKT3_PKiS7_S2_PS3_PiS9_.num_named_barrier, 0
	.set _ZN9rocsparseL44csr2gebsr_wavefront_per_row_multipass_kernelILi256ELi4ELi64ELi64EfEEv20rocsparse_direction_iiiiii21rocsparse_index_base_PKT3_PKiS7_S2_PS3_PiS9_.private_seg_size, 0
	.set _ZN9rocsparseL44csr2gebsr_wavefront_per_row_multipass_kernelILi256ELi4ELi64ELi64EfEEv20rocsparse_direction_iiiiii21rocsparse_index_base_PKT3_PKiS7_S2_PS3_PiS9_.uses_vcc, 1
	.set _ZN9rocsparseL44csr2gebsr_wavefront_per_row_multipass_kernelILi256ELi4ELi64ELi64EfEEv20rocsparse_direction_iiiiii21rocsparse_index_base_PKT3_PKiS7_S2_PS3_PiS9_.uses_flat_scratch, 0
	.set _ZN9rocsparseL44csr2gebsr_wavefront_per_row_multipass_kernelILi256ELi4ELi64ELi64EfEEv20rocsparse_direction_iiiiii21rocsparse_index_base_PKT3_PKiS7_S2_PS3_PiS9_.has_dyn_sized_stack, 0
	.set _ZN9rocsparseL44csr2gebsr_wavefront_per_row_multipass_kernelILi256ELi4ELi64ELi64EfEEv20rocsparse_direction_iiiiii21rocsparse_index_base_PKT3_PKiS7_S2_PS3_PiS9_.has_recursion, 0
	.set _ZN9rocsparseL44csr2gebsr_wavefront_per_row_multipass_kernelILi256ELi4ELi64ELi64EfEEv20rocsparse_direction_iiiiii21rocsparse_index_base_PKT3_PKiS7_S2_PS3_PiS9_.has_indirect_call, 0
	.section	.AMDGPU.csdata,"",@progbits
; Kernel info:
; codeLenInByte = 1928
; TotalNumSgprs: 28
; NumVgprs: 43
; ScratchSize: 0
; MemoryBound: 0
; FloatMode: 240
; IeeeMode: 1
; LDSByteSize: 4100 bytes/workgroup (compile time only)
; SGPRBlocks: 0
; VGPRBlocks: 2
; NumSGPRsForWavesPerEU: 28
; NumVGPRsForWavesPerEU: 43
; NamedBarCnt: 0
; Occupancy: 16
; WaveLimiterHint : 0
; COMPUTE_PGM_RSRC2:SCRATCH_EN: 0
; COMPUTE_PGM_RSRC2:USER_SGPR: 2
; COMPUTE_PGM_RSRC2:TRAP_HANDLER: 0
; COMPUTE_PGM_RSRC2:TGID_X_EN: 1
; COMPUTE_PGM_RSRC2:TGID_Y_EN: 0
; COMPUTE_PGM_RSRC2:TGID_Z_EN: 0
; COMPUTE_PGM_RSRC2:TIDIG_COMP_CNT: 0
	.section	.text._ZN9rocsparseL44csr2gebsr_wavefront_per_row_multipass_kernelILi256ELi4ELi64ELi32EfEEv20rocsparse_direction_iiiiii21rocsparse_index_base_PKT3_PKiS7_S2_PS3_PiS9_,"axG",@progbits,_ZN9rocsparseL44csr2gebsr_wavefront_per_row_multipass_kernelILi256ELi4ELi64ELi32EfEEv20rocsparse_direction_iiiiii21rocsparse_index_base_PKT3_PKiS7_S2_PS3_PiS9_,comdat
	.globl	_ZN9rocsparseL44csr2gebsr_wavefront_per_row_multipass_kernelILi256ELi4ELi64ELi32EfEEv20rocsparse_direction_iiiiii21rocsparse_index_base_PKT3_PKiS7_S2_PS3_PiS9_ ; -- Begin function _ZN9rocsparseL44csr2gebsr_wavefront_per_row_multipass_kernelILi256ELi4ELi64ELi32EfEEv20rocsparse_direction_iiiiii21rocsparse_index_base_PKT3_PKiS7_S2_PS3_PiS9_
	.p2align	8
	.type	_ZN9rocsparseL44csr2gebsr_wavefront_per_row_multipass_kernelILi256ELi4ELi64ELi32EfEEv20rocsparse_direction_iiiiii21rocsparse_index_base_PKT3_PKiS7_S2_PS3_PiS9_,@function
_ZN9rocsparseL44csr2gebsr_wavefront_per_row_multipass_kernelILi256ELi4ELi64ELi32EfEEv20rocsparse_direction_iiiiii21rocsparse_index_base_PKT3_PKiS7_S2_PS3_PiS9_: ; @_ZN9rocsparseL44csr2gebsr_wavefront_per_row_multipass_kernelILi256ELi4ELi64ELi32EfEEv20rocsparse_direction_iiiiii21rocsparse_index_base_PKT3_PKiS7_S2_PS3_PiS9_
; %bb.0:
	s_clause 0x1
	s_load_b128 s[8:11], s[0:1], 0xc
	s_load_b64 s[4:5], s[0:1], 0x0
	s_bfe_u32 s2, ttmp6, 0x4000c
	s_and_b32 s3, ttmp6, 15
	s_add_co_i32 s2, s2, 1
	s_getreg_b32 s6, hwreg(HW_REG_IB_STS2, 6, 4)
	s_mul_i32 s2, ttmp9, s2
	v_dual_lshrrev_b32 v32, 5, v0 :: v_dual_mov_b32 v2, 0
	s_add_co_i32 s3, s3, s2
	s_cmp_eq_u32 s6, 0
	v_bfe_u32 v1, v0, 3, 2
	s_cselect_b32 s2, ttmp9, s3
	s_clause 0x1
	s_load_b32 s24, s[0:1], 0x1c
	s_load_b64 s[6:7], s[0:1], 0x28
	v_lshl_or_b32 v3, s2, 3, v32
	v_mov_b32_e32 v8, 0
	s_wait_kmcnt 0x0
	s_delay_alu instid0(VALU_DEP_2) | instskip(SKIP_1) | instid1(VALU_DEP_2)
	v_mad_u32 v4, v3, s10, v1
	v_cmp_gt_i32_e32 vcc_lo, s10, v1
	v_cmp_gt_i32_e64 s2, s5, v4
	s_and_b32 s2, vcc_lo, s2
	s_delay_alu instid0(SALU_CYCLE_1)
	s_and_saveexec_b32 s3, s2
	s_cbranch_execz .LBB35_2
; %bb.1:
	global_load_b32 v5, v4, s[6:7] scale_offset
	s_wait_loadcnt 0x0
	v_subrev_nc_u32_e32 v8, s24, v5
.LBB35_2:
	s_or_b32 exec_lo, exec_lo, s3
	v_mov_b32_e32 v33, 0
	s_and_saveexec_b32 s3, s2
	s_cbranch_execz .LBB35_4
; %bb.3:
	global_load_b32 v4, v4, s[6:7] offset:4 scale_offset
	s_wait_loadcnt 0x0
	v_subrev_nc_u32_e32 v33, s24, v4
.LBB35_4:
	s_or_b32 exec_lo, exec_lo, s3
	s_load_b32 s25, s[0:1], 0x38
	s_mov_b32 s3, exec_lo
	v_cmpx_gt_i32_e64 s8, v3
	s_cbranch_execz .LBB35_6
; %bb.5:
	s_load_b64 s[6:7], s[0:1], 0x48
	s_wait_kmcnt 0x0
	global_load_b32 v2, v3, s[6:7] scale_offset
	s_wait_loadcnt 0x0
	v_subrev_nc_u32_e32 v2, s25, v2
.LBB35_6:
	s_or_b32 exec_lo, exec_lo, s3
	s_cmp_lt_i32 s9, 1
	s_cbranch_scc1 .LBB35_59
; %bb.7:
	v_dual_lshlrev_b32 v3, 8, v1 :: v_dual_bitop2_b32 v0, 7, v0 bitop3:0x40
	v_mbcnt_lo_u32_b32 v9, -1, 0
	s_clause 0x3
	s_load_b64 s[12:13], s[0:1], 0x50
	s_load_b64 s[2:3], s[0:1], 0x40
	;; [unrolled: 1-line block ×4, first 2 shown]
	v_mul_lo_u32 v6, s11, v1
	v_lshl_or_b32 v34, v32, 10, v3
	s_cmp_lg_u32 s4, 0
	v_xor_b32_e32 v3, 2, v9
	v_xor_b32_e32 v4, 4, v9
	s_mov_b32 s19, 0
	s_cselect_b32 s8, -1, 0
	s_mov_b32 s18, s10
	s_ashr_i32 s21, s11, 31
	s_wait_xcnt 0x0
	v_cmp_gt_i32_e64 s0, 32, v4
	s_mov_b32 s20, s11
	v_lshl_or_b32 v38, v9, 2, 28
	s_mul_u64 s[22:23], s[20:21], s[18:19]
	s_lshl_b32 s18, s10, 3
	v_dual_cndmask_b32 v4, v9, v4, s0 :: v_dual_bitop2_b32 v5, 1, v9 bitop3:0x14
	v_cmp_gt_i32_e64 s0, 32, v3
	v_dual_mov_b32 v45, 0 :: v_dual_ashrrev_i32 v7, 31, v6
	s_delay_alu instid0(VALU_DEP_3) | instskip(NEXT) | instid1(VALU_DEP_3)
	v_dual_lshlrev_b32 v35, 2, v4 :: v_dual_mov_b32 v43, 1
	v_cndmask_b32_e64 v3, v9, v3, s0
	v_cmp_gt_i32_e64 s0, 32, v5
	s_wait_kmcnt 0x0
	v_lshl_add_u64 v[14:15], v[6:7], 2, s[2:3]
	v_mul_lo_u32 v6, v0, s10
	s_abs_i32 s10, s11
	v_dual_lshlrev_b32 v36, 2, v3 :: v_dual_cndmask_b32 v5, v9, v5, s0
	v_dual_lshlrev_b32 v12, 2, v0 :: v_dual_bitop2_b32 v3, 16, v9 bitop3:0x14
	s_cvt_f32_u32 s5, s10
	s_delay_alu instid0(VALU_DEP_1) | instskip(SKIP_1) | instid1(VALU_DEP_3)
	v_dual_lshlrev_b32 v37, 2, v5 :: v_dual_bitop2_b32 v39, v34, v12 bitop3:0x54
	v_dual_mov_b32 v5, 0 :: v_dual_lshlrev_b32 v4, 2, v1
	v_cmp_gt_i32_e64 s0, 32, v3
	v_xor_b32_e32 v1, 8, v9
	s_delay_alu instid0(VALU_DEP_3) | instskip(NEXT) | instid1(VALU_DEP_4)
	v_dual_mov_b32 v42, 0x7c :: v_dual_mov_b32 v13, v5
	v_add_nc_u64_e32 v[10:11], s[2:3], v[4:5]
	s_delay_alu instid0(VALU_DEP_4) | instskip(NEXT) | instid1(VALU_DEP_4)
	v_cndmask_b32_e64 v3, v9, v3, s0
	v_cmp_gt_i32_e64 s0, 32, v1
	v_mov_b32_e32 v27, v5
	v_add_nc_u64_e32 v[12:13], v[14:15], v[12:13]
	s_delay_alu instid0(VALU_DEP_4) | instskip(NEXT) | instid1(VALU_DEP_4)
	v_dual_add_nc_u32 v14, s18, v6 :: v_dual_lshlrev_b32 v40, 2, v3
	v_dual_cndmask_b32 v7, v9, v1, s0 :: v_dual_bitop2_b32 v3, 8, v0 bitop3:0x54
	s_delay_alu instid0(VALU_DEP_2) | instskip(SKIP_2) | instid1(VALU_DEP_3)
	v_dual_add_nc_u32 v16, s18, v14 :: v_dual_bitop2_b32 v4, 16, v0 bitop3:0x54
	v_rcp_iflag_f32_e32 v9, s5
	v_mov_b32_e32 v15, v5
	v_cmp_gt_u32_e64 s1, s11, v3
	v_or_b32_e32 v3, 24, v0
	v_dual_mov_b32 v19, v5 :: v_dual_add_nc_u32 v18, s18, v16
	v_cmp_gt_u32_e64 s0, s11, v0
	s_delay_alu instid0(TRANS32_DEP_1) | instskip(NEXT) | instid1(VALU_DEP_4)
	v_readfirstlane_b32 s26, v9
	v_cmp_gt_u32_e64 s3, s11, v3
	s_delay_alu instid0(VALU_DEP_4) | instskip(SKIP_3) | instid1(VALU_DEP_4)
	v_dual_add_nc_u32 v20, s18, v18 :: v_dual_bitop2_b32 v3, 40, v0 bitop3:0x54
	v_mov_b32_e32 v21, v5
	v_cmp_gt_u32_e64 s2, s11, v4
	v_dual_mov_b32 v17, v5 :: v_dual_bitop2_b32 v4, 32, v0 bitop3:0x54
	v_add_nc_u32_e32 v22, s18, v20
	s_and_b32 s20, s0, vcc_lo
	s_mul_f32 s0, s26, 0x4f7ffffe
	v_cmp_gt_u32_e64 s5, s11, v3
	s_delay_alu instid0(VALU_DEP_2)
	v_dual_add_nc_u32 v24, s18, v22 :: v_dual_bitop2_b32 v3, 56, v0 bitop3:0x54
	v_cmp_gt_u32_e64 s4, s11, v4
	v_dual_mov_b32 v23, v5 :: v_dual_bitop2_b32 v4, 48, v0 bitop3:0x54
	s_cvt_u32_f32 s0, s0
	v_dual_mov_b32 v25, v5 :: v_dual_add_nc_u32 v26, s18, v24
	s_sub_co_i32 s18, 0, s10
	s_delay_alu instid0(VALU_DEP_2)
	v_cmp_gt_u32_e64 s6, s11, v4
	v_cmp_gt_u32_e64 s7, s11, v3
	s_mul_i32 s18, s18, s0
	v_dual_mov_b32 v1, v5 :: v_dual_lshlrev_b32 v41, 2, v7
	v_mov_b32_e32 v7, v5
	s_mul_hi_u32 s18, s0, s18
	s_and_b32 s1, vcc_lo, s1
	s_and_b32 s2, vcc_lo, s2
	;; [unrolled: 1-line block ×7, first 2 shown]
	s_add_co_i32 s18, s0, s18
	s_mov_b32 s26, s19
	s_branch .LBB35_10
.LBB35_8:                               ;   in Loop: Header=BB35_10 Depth=1
	s_wait_xcnt 0x0
	s_or_b32 exec_lo, exec_lo, s27
	s_wait_dscnt 0x0
	v_mov_b32_e32 v3, 1
.LBB35_9:                               ;   in Loop: Header=BB35_10 Depth=1
	s_or_b32 exec_lo, exec_lo, s0
	ds_bpermute_b32 v4, v40, v44
	s_wait_storecnt_dscnt 0x0
	v_dual_add_nc_u32 v2, v3, v2 :: v_dual_min_i32 v4, v4, v44
	ds_bpermute_b32 v9, v41, v4
	s_wait_dscnt 0x0
	v_min_i32_e32 v4, v9, v4
	ds_bpermute_b32 v9, v35, v4
	s_wait_dscnt 0x0
	v_min_i32_e32 v4, v9, v4
	;; [unrolled: 3-line block ×4, first 2 shown]
	ds_bpermute_b32 v45, v42, v4
	s_wait_dscnt 0x0
	v_cmp_le_i32_e32 vcc_lo, s9, v45
	s_or_b32 s26, vcc_lo, s26
	s_delay_alu instid0(SALU_CYCLE_1)
	s_and_not1_b32 exec_lo, exec_lo, s26
	s_cbranch_execz .LBB35_59
.LBB35_10:                              ; =>This Loop Header: Depth=1
                                        ;     Child Loop BB35_13 Depth 2
	v_dual_mov_b32 v44, s9 :: v_dual_add_nc_u32 v3, v8, v0
	v_mov_b32_e32 v31, v33
	s_mov_b32 s27, exec_lo
	ds_store_b8 v32, v5 offset:8192
	ds_store_2addr_b32 v39, v5, v5 offset1:8
	ds_store_2addr_b32 v39, v5, v5 offset0:16 offset1:24
	ds_store_2addr_b32 v39, v5, v5 offset0:32 offset1:40
	;; [unrolled: 1-line block ×3, first 2 shown]
	s_wait_dscnt 0x0
	v_cmpx_lt_i32_e64 v3, v33
	s_cbranch_execz .LBB35_18
; %bb.11:                               ;   in Loop: Header=BB35_10 Depth=1
	v_dual_mov_b32 v44, s9 :: v_dual_ashrrev_i32 v9, 31, v8
	v_mul_lo_u32 v30, v45, s11
	v_mov_b32_e32 v31, v33
	s_mov_b32 s28, 0
	s_delay_alu instid0(VALU_DEP_3) | instskip(NEXT) | instid1(VALU_DEP_1)
	v_add_nc_u64_e32 v[8:9], v[0:1], v[8:9]
	v_lshlrev_b64_e32 v[28:29], 2, v[8:9]
	s_delay_alu instid0(VALU_DEP_1)
	v_add_nc_u64_e32 v[8:9], s[16:17], v[28:29]
	v_add_nc_u64_e32 v[28:29], s[14:15], v[28:29]
	s_branch .LBB35_13
.LBB35_12:                              ;   in Loop: Header=BB35_13 Depth=2
	s_wait_xcnt 0x0
	s_or_b32 exec_lo, exec_lo, s0
	v_add_nc_u32_e32 v3, 8, v3
	s_xor_b32 s29, vcc_lo, -1
	v_add_nc_u64_e32 v[8:9], 32, v[8:9]
	v_add_nc_u64_e32 v[28:29], 32, v[28:29]
	s_delay_alu instid0(VALU_DEP_3) | instskip(SKIP_1) | instid1(SALU_CYCLE_1)
	v_cmp_ge_i32_e64 s0, v3, v33
	s_or_b32 s0, s29, s0
	s_and_b32 s0, exec_lo, s0
	s_delay_alu instid0(SALU_CYCLE_1) | instskip(NEXT) | instid1(SALU_CYCLE_1)
	s_or_b32 s28, s0, s28
	s_and_not1_b32 exec_lo, exec_lo, s28
	s_cbranch_execz .LBB35_17
.LBB35_13:                              ;   Parent Loop BB35_10 Depth=1
                                        ; =>  This Inner Loop Header: Depth=2
	global_load_b32 v4, v[8:9], off
	s_wait_loadcnt 0x0
	v_subrev_nc_u32_e32 v46, s24, v4
	s_delay_alu instid0(VALU_DEP_1) | instskip(NEXT) | instid1(VALU_DEP_1)
	v_sub_nc_u32_e32 v4, 0, v46
	v_max_i32_e32 v4, v46, v4
	s_delay_alu instid0(VALU_DEP_1) | instskip(NEXT) | instid1(VALU_DEP_1)
	v_mul_u64_e32 v[48:49], s[18:19], v[4:5]
	v_mul_lo_u32 v47, v49, s10
	s_delay_alu instid0(VALU_DEP_1) | instskip(NEXT) | instid1(VALU_DEP_1)
	v_dual_sub_nc_u32 v4, v4, v47 :: v_dual_add_nc_u32 v47, 1, v49
	v_cmp_le_u32_e32 vcc_lo, s10, v4
	s_delay_alu instid0(VALU_DEP_2) | instskip(SKIP_1) | instid1(VALU_DEP_1)
	v_dual_cndmask_b32 v47, v49, v47, vcc_lo :: v_dual_ashrrev_i32 v49, 31, v46
	v_subrev_nc_u32_e32 v48, s10, v4
	v_dual_cndmask_b32 v4, v4, v48, vcc_lo :: v_dual_add_nc_u32 v48, 1, v47
	s_delay_alu instid0(VALU_DEP_1) | instskip(NEXT) | instid1(VALU_DEP_2)
	v_cmp_le_u32_e32 vcc_lo, s10, v4
	v_dual_cndmask_b32 v4, v47, v48, vcc_lo :: v_dual_bitop2_b32 v49, s21, v49 bitop3:0x14
	s_delay_alu instid0(VALU_DEP_1) | instskip(NEXT) | instid1(VALU_DEP_1)
	v_xor_b32_e32 v4, v4, v49
	v_dual_mov_b32 v4, v31 :: v_dual_sub_nc_u32 v47, v4, v49
	s_delay_alu instid0(VALU_DEP_1) | instskip(SKIP_3) | instid1(SALU_CYCLE_1)
	v_cmp_ne_u32_e64 s0, v47, v45
	v_cmp_eq_u32_e32 vcc_lo, v47, v45
	s_wait_xcnt 0x0
	s_and_saveexec_b32 s29, s0
	s_xor_b32 s0, exec_lo, s29
; %bb.14:                               ;   in Loop: Header=BB35_13 Depth=2
	v_min_i32_e32 v44, v47, v44
                                        ; implicit-def: $vgpr46
                                        ; implicit-def: $vgpr4
; %bb.15:                               ;   in Loop: Header=BB35_13 Depth=2
	s_or_saveexec_b32 s0, s0
	v_mov_b32_e32 v31, v3
	s_xor_b32 exec_lo, exec_lo, s0
	s_cbranch_execz .LBB35_12
; %bb.16:                               ;   in Loop: Header=BB35_13 Depth=2
	global_load_b32 v47, v[28:29], off
	v_sub_nc_u32_e32 v31, v46, v30
	s_delay_alu instid0(VALU_DEP_1)
	v_lshl_add_u32 v46, v31, 2, v34
	v_mov_b32_e32 v31, v4
	ds_store_b8 v32, v43 offset:8192
	s_wait_loadcnt 0x0
	ds_store_b32 v46, v47
	s_branch .LBB35_12
.LBB35_17:                              ;   in Loop: Header=BB35_10 Depth=1
	s_or_b32 exec_lo, exec_lo, s28
.LBB35_18:                              ;   in Loop: Header=BB35_10 Depth=1
	s_delay_alu instid0(SALU_CYCLE_1)
	s_or_b32 exec_lo, exec_lo, s27
	ds_bpermute_b32 v3, v35, v31
	s_wait_dscnt 0x0
	ds_load_u8 v9, v32 offset:8192
	v_min_i32_e32 v3, v3, v31
	ds_bpermute_b32 v4, v36, v3
	s_wait_dscnt 0x0
	v_min_i32_e32 v3, v4, v3
	ds_bpermute_b32 v4, v37, v3
	s_wait_dscnt 0x0
	v_min_i32_e32 v3, v4, v3
	ds_bpermute_b32 v8, v38, v3
	v_and_b32_e32 v3, 1, v9
	s_delay_alu instid0(VALU_DEP_1)
	v_cmp_eq_u32_e32 vcc_lo, 1, v3
	v_mov_b32_e32 v3, 0
	s_and_saveexec_b32 s0, vcc_lo
	s_cbranch_execz .LBB35_9
; %bb.19:                               ;   in Loop: Header=BB35_10 Depth=1
	v_ashrrev_i32_e32 v3, 31, v2
	s_delay_alu instid0(VALU_DEP_1) | instskip(SKIP_3) | instid1(VALU_DEP_1)
	v_mul_u64_e32 v[28:29], s[22:23], v[2:3]
	v_add_nc_u32_e32 v3, s25, v45
	global_store_b32 v2, v3, s[12:13] scale_offset
	v_lshlrev_b64_e32 v[28:29], 2, v[28:29]
	v_add_nc_u64_e32 v[30:31], v[10:11], v[28:29]
	v_add_nc_u64_e32 v[28:29], v[12:13], v[28:29]
	s_wait_xcnt 0x0
	s_and_saveexec_b32 s27, s20
	s_cbranch_execz .LBB35_23
; %bb.20:                               ;   in Loop: Header=BB35_10 Depth=1
	ds_load_b32 v3, v39
	s_and_b32 vcc_lo, exec_lo, s8
	s_cbranch_vccz .LBB35_50
; %bb.21:                               ;   in Loop: Header=BB35_10 Depth=1
	v_lshl_add_u64 v[46:47], v[6:7], 2, v[30:31]
	s_wait_dscnt 0x0
	global_store_b32 v[46:47], v3, off
	s_cbranch_execnz .LBB35_23
.LBB35_22:                              ;   in Loop: Header=BB35_10 Depth=1
	s_wait_dscnt 0x0
	global_store_b32 v[28:29], v3, off
.LBB35_23:                              ;   in Loop: Header=BB35_10 Depth=1
	s_wait_xcnt 0x0
	s_or_b32 exec_lo, exec_lo, s27
	s_and_saveexec_b32 s27, s1
	s_cbranch_execz .LBB35_27
; %bb.24:                               ;   in Loop: Header=BB35_10 Depth=1
	s_and_not1_b32 vcc_lo, exec_lo, s8
	s_cbranch_vccnz .LBB35_51
; %bb.25:                               ;   in Loop: Header=BB35_10 Depth=1
	s_wait_dscnt 0x0
	ds_load_b32 v3, v39 offset:32
	v_lshl_add_u64 v[46:47], v[14:15], 2, v[30:31]
	s_wait_dscnt 0x0
	global_store_b32 v[46:47], v3, off
	s_cbranch_execnz .LBB35_27
.LBB35_26:                              ;   in Loop: Header=BB35_10 Depth=1
	s_wait_dscnt 0x0
	s_wait_xcnt 0x0
	ds_load_b32 v3, v39 offset:32
	s_wait_dscnt 0x0
	global_store_b32 v[28:29], v3, off offset:32
.LBB35_27:                              ;   in Loop: Header=BB35_10 Depth=1
	s_wait_xcnt 0x0
	s_or_b32 exec_lo, exec_lo, s27
	s_and_saveexec_b32 s27, s2
	s_cbranch_execz .LBB35_31
; %bb.28:                               ;   in Loop: Header=BB35_10 Depth=1
	s_and_not1_b32 vcc_lo, exec_lo, s8
	s_cbranch_vccnz .LBB35_52
; %bb.29:                               ;   in Loop: Header=BB35_10 Depth=1
	s_wait_dscnt 0x0
	ds_load_b32 v3, v39 offset:64
	v_lshl_add_u64 v[46:47], v[16:17], 2, v[30:31]
	s_wait_dscnt 0x0
	global_store_b32 v[46:47], v3, off
	s_cbranch_execnz .LBB35_31
.LBB35_30:                              ;   in Loop: Header=BB35_10 Depth=1
	s_wait_dscnt 0x0
	s_wait_xcnt 0x0
	ds_load_b32 v3, v39 offset:64
	s_wait_dscnt 0x0
	global_store_b32 v[28:29], v3, off offset:64
.LBB35_31:                              ;   in Loop: Header=BB35_10 Depth=1
	s_wait_xcnt 0x0
	s_or_b32 exec_lo, exec_lo, s27
	s_and_saveexec_b32 s27, s3
	s_cbranch_execz .LBB35_35
; %bb.32:                               ;   in Loop: Header=BB35_10 Depth=1
	s_and_not1_b32 vcc_lo, exec_lo, s8
	s_cbranch_vccnz .LBB35_53
; %bb.33:                               ;   in Loop: Header=BB35_10 Depth=1
	s_wait_dscnt 0x0
	ds_load_b32 v3, v39 offset:96
	v_lshl_add_u64 v[46:47], v[18:19], 2, v[30:31]
	s_wait_dscnt 0x0
	global_store_b32 v[46:47], v3, off
	s_cbranch_execnz .LBB35_35
.LBB35_34:                              ;   in Loop: Header=BB35_10 Depth=1
	s_wait_dscnt 0x0
	s_wait_xcnt 0x0
	ds_load_b32 v3, v39 offset:96
	s_wait_dscnt 0x0
	global_store_b32 v[28:29], v3, off offset:96
.LBB35_35:                              ;   in Loop: Header=BB35_10 Depth=1
	s_wait_xcnt 0x0
	s_or_b32 exec_lo, exec_lo, s27
	s_and_saveexec_b32 s27, s4
	s_cbranch_execz .LBB35_39
; %bb.36:                               ;   in Loop: Header=BB35_10 Depth=1
	s_and_not1_b32 vcc_lo, exec_lo, s8
	s_cbranch_vccnz .LBB35_54
; %bb.37:                               ;   in Loop: Header=BB35_10 Depth=1
	s_wait_dscnt 0x0
	ds_load_b32 v3, v39 offset:128
	v_lshl_add_u64 v[46:47], v[20:21], 2, v[30:31]
	s_wait_dscnt 0x0
	global_store_b32 v[46:47], v3, off
	s_cbranch_execnz .LBB35_39
.LBB35_38:                              ;   in Loop: Header=BB35_10 Depth=1
	s_wait_dscnt 0x0
	s_wait_xcnt 0x0
	ds_load_b32 v3, v39 offset:128
	s_wait_dscnt 0x0
	global_store_b32 v[28:29], v3, off offset:128
.LBB35_39:                              ;   in Loop: Header=BB35_10 Depth=1
	s_wait_xcnt 0x0
	s_or_b32 exec_lo, exec_lo, s27
	s_and_saveexec_b32 s27, s5
	s_cbranch_execz .LBB35_43
; %bb.40:                               ;   in Loop: Header=BB35_10 Depth=1
	s_and_not1_b32 vcc_lo, exec_lo, s8
	s_cbranch_vccnz .LBB35_55
; %bb.41:                               ;   in Loop: Header=BB35_10 Depth=1
	s_wait_dscnt 0x0
	ds_load_b32 v3, v39 offset:160
	v_lshl_add_u64 v[46:47], v[22:23], 2, v[30:31]
	s_wait_dscnt 0x0
	global_store_b32 v[46:47], v3, off
	s_cbranch_execnz .LBB35_43
.LBB35_42:                              ;   in Loop: Header=BB35_10 Depth=1
	s_wait_dscnt 0x0
	s_wait_xcnt 0x0
	ds_load_b32 v3, v39 offset:160
	s_wait_dscnt 0x0
	global_store_b32 v[28:29], v3, off offset:160
.LBB35_43:                              ;   in Loop: Header=BB35_10 Depth=1
	s_wait_xcnt 0x0
	s_or_b32 exec_lo, exec_lo, s27
	s_and_saveexec_b32 s27, s6
	s_cbranch_execz .LBB35_47
; %bb.44:                               ;   in Loop: Header=BB35_10 Depth=1
	s_and_not1_b32 vcc_lo, exec_lo, s8
	s_cbranch_vccnz .LBB35_56
; %bb.45:                               ;   in Loop: Header=BB35_10 Depth=1
	s_wait_dscnt 0x0
	ds_load_b32 v3, v39 offset:192
	v_lshl_add_u64 v[46:47], v[24:25], 2, v[30:31]
	s_wait_dscnt 0x0
	global_store_b32 v[46:47], v3, off
	s_cbranch_execnz .LBB35_47
.LBB35_46:                              ;   in Loop: Header=BB35_10 Depth=1
	s_wait_dscnt 0x0
	s_wait_xcnt 0x0
	ds_load_b32 v3, v39 offset:192
	s_wait_dscnt 0x0
	global_store_b32 v[28:29], v3, off offset:192
.LBB35_47:                              ;   in Loop: Header=BB35_10 Depth=1
	s_wait_xcnt 0x0
	s_or_b32 exec_lo, exec_lo, s27
	s_and_saveexec_b32 s27, s7
	s_cbranch_execz .LBB35_8
; %bb.48:                               ;   in Loop: Header=BB35_10 Depth=1
	s_and_not1_b32 vcc_lo, exec_lo, s8
	s_cbranch_vccnz .LBB35_57
; %bb.49:                               ;   in Loop: Header=BB35_10 Depth=1
	s_wait_dscnt 0x0
	ds_load_b32 v3, v39 offset:224
	v_lshl_add_u64 v[30:31], v[26:27], 2, v[30:31]
	s_wait_dscnt 0x0
	global_store_b32 v[30:31], v3, off
	s_cbranch_execnz .LBB35_8
	s_branch .LBB35_58
.LBB35_50:                              ;   in Loop: Header=BB35_10 Depth=1
	s_branch .LBB35_22
.LBB35_51:                              ;   in Loop: Header=BB35_10 Depth=1
	s_branch .LBB35_26
.LBB35_52:                              ;   in Loop: Header=BB35_10 Depth=1
	s_branch .LBB35_30
.LBB35_53:                              ;   in Loop: Header=BB35_10 Depth=1
	s_branch .LBB35_34
.LBB35_54:                              ;   in Loop: Header=BB35_10 Depth=1
	s_branch .LBB35_38
.LBB35_55:                              ;   in Loop: Header=BB35_10 Depth=1
	s_branch .LBB35_42
.LBB35_56:                              ;   in Loop: Header=BB35_10 Depth=1
	s_branch .LBB35_46
.LBB35_57:                              ;   in Loop: Header=BB35_10 Depth=1
.LBB35_58:                              ;   in Loop: Header=BB35_10 Depth=1
	s_wait_dscnt 0x0
	s_wait_xcnt 0x0
	ds_load_b32 v3, v39 offset:224
	s_wait_dscnt 0x0
	global_store_b32 v[28:29], v3, off offset:224
	s_branch .LBB35_8
.LBB35_59:
	s_endpgm
	.section	.rodata,"a",@progbits
	.p2align	6, 0x0
	.amdhsa_kernel _ZN9rocsparseL44csr2gebsr_wavefront_per_row_multipass_kernelILi256ELi4ELi64ELi32EfEEv20rocsparse_direction_iiiiii21rocsparse_index_base_PKT3_PKiS7_S2_PS3_PiS9_
		.amdhsa_group_segment_fixed_size 8200
		.amdhsa_private_segment_fixed_size 0
		.amdhsa_kernarg_size 88
		.amdhsa_user_sgpr_count 2
		.amdhsa_user_sgpr_dispatch_ptr 0
		.amdhsa_user_sgpr_queue_ptr 0
		.amdhsa_user_sgpr_kernarg_segment_ptr 1
		.amdhsa_user_sgpr_dispatch_id 0
		.amdhsa_user_sgpr_kernarg_preload_length 0
		.amdhsa_user_sgpr_kernarg_preload_offset 0
		.amdhsa_user_sgpr_private_segment_size 0
		.amdhsa_wavefront_size32 1
		.amdhsa_uses_dynamic_stack 0
		.amdhsa_enable_private_segment 0
		.amdhsa_system_sgpr_workgroup_id_x 1
		.amdhsa_system_sgpr_workgroup_id_y 0
		.amdhsa_system_sgpr_workgroup_id_z 0
		.amdhsa_system_sgpr_workgroup_info 0
		.amdhsa_system_vgpr_workitem_id 0
		.amdhsa_next_free_vgpr 50
		.amdhsa_next_free_sgpr 30
		.amdhsa_named_barrier_count 0
		.amdhsa_reserve_vcc 1
		.amdhsa_float_round_mode_32 0
		.amdhsa_float_round_mode_16_64 0
		.amdhsa_float_denorm_mode_32 3
		.amdhsa_float_denorm_mode_16_64 3
		.amdhsa_fp16_overflow 0
		.amdhsa_memory_ordered 1
		.amdhsa_forward_progress 1
		.amdhsa_inst_pref_size 19
		.amdhsa_round_robin_scheduling 0
		.amdhsa_exception_fp_ieee_invalid_op 0
		.amdhsa_exception_fp_denorm_src 0
		.amdhsa_exception_fp_ieee_div_zero 0
		.amdhsa_exception_fp_ieee_overflow 0
		.amdhsa_exception_fp_ieee_underflow 0
		.amdhsa_exception_fp_ieee_inexact 0
		.amdhsa_exception_int_div_zero 0
	.end_amdhsa_kernel
	.section	.text._ZN9rocsparseL44csr2gebsr_wavefront_per_row_multipass_kernelILi256ELi4ELi64ELi32EfEEv20rocsparse_direction_iiiiii21rocsparse_index_base_PKT3_PKiS7_S2_PS3_PiS9_,"axG",@progbits,_ZN9rocsparseL44csr2gebsr_wavefront_per_row_multipass_kernelILi256ELi4ELi64ELi32EfEEv20rocsparse_direction_iiiiii21rocsparse_index_base_PKT3_PKiS7_S2_PS3_PiS9_,comdat
.Lfunc_end35:
	.size	_ZN9rocsparseL44csr2gebsr_wavefront_per_row_multipass_kernelILi256ELi4ELi64ELi32EfEEv20rocsparse_direction_iiiiii21rocsparse_index_base_PKT3_PKiS7_S2_PS3_PiS9_, .Lfunc_end35-_ZN9rocsparseL44csr2gebsr_wavefront_per_row_multipass_kernelILi256ELi4ELi64ELi32EfEEv20rocsparse_direction_iiiiii21rocsparse_index_base_PKT3_PKiS7_S2_PS3_PiS9_
                                        ; -- End function
	.set _ZN9rocsparseL44csr2gebsr_wavefront_per_row_multipass_kernelILi256ELi4ELi64ELi32EfEEv20rocsparse_direction_iiiiii21rocsparse_index_base_PKT3_PKiS7_S2_PS3_PiS9_.num_vgpr, 50
	.set _ZN9rocsparseL44csr2gebsr_wavefront_per_row_multipass_kernelILi256ELi4ELi64ELi32EfEEv20rocsparse_direction_iiiiii21rocsparse_index_base_PKT3_PKiS7_S2_PS3_PiS9_.num_agpr, 0
	.set _ZN9rocsparseL44csr2gebsr_wavefront_per_row_multipass_kernelILi256ELi4ELi64ELi32EfEEv20rocsparse_direction_iiiiii21rocsparse_index_base_PKT3_PKiS7_S2_PS3_PiS9_.numbered_sgpr, 30
	.set _ZN9rocsparseL44csr2gebsr_wavefront_per_row_multipass_kernelILi256ELi4ELi64ELi32EfEEv20rocsparse_direction_iiiiii21rocsparse_index_base_PKT3_PKiS7_S2_PS3_PiS9_.num_named_barrier, 0
	.set _ZN9rocsparseL44csr2gebsr_wavefront_per_row_multipass_kernelILi256ELi4ELi64ELi32EfEEv20rocsparse_direction_iiiiii21rocsparse_index_base_PKT3_PKiS7_S2_PS3_PiS9_.private_seg_size, 0
	.set _ZN9rocsparseL44csr2gebsr_wavefront_per_row_multipass_kernelILi256ELi4ELi64ELi32EfEEv20rocsparse_direction_iiiiii21rocsparse_index_base_PKT3_PKiS7_S2_PS3_PiS9_.uses_vcc, 1
	.set _ZN9rocsparseL44csr2gebsr_wavefront_per_row_multipass_kernelILi256ELi4ELi64ELi32EfEEv20rocsparse_direction_iiiiii21rocsparse_index_base_PKT3_PKiS7_S2_PS3_PiS9_.uses_flat_scratch, 0
	.set _ZN9rocsparseL44csr2gebsr_wavefront_per_row_multipass_kernelILi256ELi4ELi64ELi32EfEEv20rocsparse_direction_iiiiii21rocsparse_index_base_PKT3_PKiS7_S2_PS3_PiS9_.has_dyn_sized_stack, 0
	.set _ZN9rocsparseL44csr2gebsr_wavefront_per_row_multipass_kernelILi256ELi4ELi64ELi32EfEEv20rocsparse_direction_iiiiii21rocsparse_index_base_PKT3_PKiS7_S2_PS3_PiS9_.has_recursion, 0
	.set _ZN9rocsparseL44csr2gebsr_wavefront_per_row_multipass_kernelILi256ELi4ELi64ELi32EfEEv20rocsparse_direction_iiiiii21rocsparse_index_base_PKT3_PKiS7_S2_PS3_PiS9_.has_indirect_call, 0
	.section	.AMDGPU.csdata,"",@progbits
; Kernel info:
; codeLenInByte = 2396
; TotalNumSgprs: 32
; NumVgprs: 50
; ScratchSize: 0
; MemoryBound: 0
; FloatMode: 240
; IeeeMode: 1
; LDSByteSize: 8200 bytes/workgroup (compile time only)
; SGPRBlocks: 0
; VGPRBlocks: 3
; NumSGPRsForWavesPerEU: 32
; NumVGPRsForWavesPerEU: 50
; NamedBarCnt: 0
; Occupancy: 16
; WaveLimiterHint : 0
; COMPUTE_PGM_RSRC2:SCRATCH_EN: 0
; COMPUTE_PGM_RSRC2:USER_SGPR: 2
; COMPUTE_PGM_RSRC2:TRAP_HANDLER: 0
; COMPUTE_PGM_RSRC2:TGID_X_EN: 1
; COMPUTE_PGM_RSRC2:TGID_Y_EN: 0
; COMPUTE_PGM_RSRC2:TGID_Z_EN: 0
; COMPUTE_PGM_RSRC2:TIDIG_COMP_CNT: 0
	.section	.text._ZN9rocsparseL44csr2gebsr_wavefront_per_row_multipass_kernelILi256ELi8ELi2ELi16EfEEv20rocsparse_direction_iiiiii21rocsparse_index_base_PKT3_PKiS7_S2_PS3_PiS9_,"axG",@progbits,_ZN9rocsparseL44csr2gebsr_wavefront_per_row_multipass_kernelILi256ELi8ELi2ELi16EfEEv20rocsparse_direction_iiiiii21rocsparse_index_base_PKT3_PKiS7_S2_PS3_PiS9_,comdat
	.globl	_ZN9rocsparseL44csr2gebsr_wavefront_per_row_multipass_kernelILi256ELi8ELi2ELi16EfEEv20rocsparse_direction_iiiiii21rocsparse_index_base_PKT3_PKiS7_S2_PS3_PiS9_ ; -- Begin function _ZN9rocsparseL44csr2gebsr_wavefront_per_row_multipass_kernelILi256ELi8ELi2ELi16EfEEv20rocsparse_direction_iiiiii21rocsparse_index_base_PKT3_PKiS7_S2_PS3_PiS9_
	.p2align	8
	.type	_ZN9rocsparseL44csr2gebsr_wavefront_per_row_multipass_kernelILi256ELi8ELi2ELi16EfEEv20rocsparse_direction_iiiiii21rocsparse_index_base_PKT3_PKiS7_S2_PS3_PiS9_,@function
_ZN9rocsparseL44csr2gebsr_wavefront_per_row_multipass_kernelILi256ELi8ELi2ELi16EfEEv20rocsparse_direction_iiiiii21rocsparse_index_base_PKT3_PKiS7_S2_PS3_PiS9_: ; @_ZN9rocsparseL44csr2gebsr_wavefront_per_row_multipass_kernelILi256ELi8ELi2ELi16EfEEv20rocsparse_direction_iiiiii21rocsparse_index_base_PKT3_PKiS7_S2_PS3_PiS9_
; %bb.0:
	s_clause 0x1
	s_load_b128 s[4:7], s[0:1], 0xc
	s_load_b64 s[12:13], s[0:1], 0x0
	s_bfe_u32 s2, ttmp6, 0x4000c
	s_and_b32 s3, ttmp6, 15
	s_add_co_i32 s2, s2, 1
	s_getreg_b32 s8, hwreg(HW_REG_IB_STS2, 6, 4)
	s_mul_i32 s2, ttmp9, s2
	v_dual_lshrrev_b32 v14, 4, v0 :: v_dual_mov_b32 v2, 0
	s_add_co_i32 s3, s3, s2
	s_cmp_eq_u32 s8, 0
	v_bfe_u32 v1, v0, 1, 3
	s_cselect_b32 s2, ttmp9, s3
	s_clause 0x1
	s_load_b32 s16, s[0:1], 0x1c
	s_load_b64 s[8:9], s[0:1], 0x28
	v_lshl_or_b32 v3, s2, 4, v14
	v_mov_b32_e32 v6, 0
	s_wait_kmcnt 0x0
	s_delay_alu instid0(VALU_DEP_2) | instskip(SKIP_1) | instid1(VALU_DEP_2)
	v_mad_u32 v4, v3, s6, v1
	v_cmp_gt_i32_e32 vcc_lo, s6, v1
	v_cmp_gt_i32_e64 s2, s13, v4
	s_and_b32 s2, vcc_lo, s2
	s_delay_alu instid0(SALU_CYCLE_1)
	s_and_saveexec_b32 s3, s2
	s_cbranch_execz .LBB36_2
; %bb.1:
	global_load_b32 v5, v4, s[8:9] scale_offset
	s_wait_loadcnt 0x0
	v_subrev_nc_u32_e32 v6, s16, v5
.LBB36_2:
	s_or_b32 exec_lo, exec_lo, s3
	v_mov_b32_e32 v15, 0
	s_and_saveexec_b32 s3, s2
	s_cbranch_execz .LBB36_4
; %bb.3:
	global_load_b32 v4, v4, s[8:9] offset:4 scale_offset
	s_wait_loadcnt 0x0
	v_subrev_nc_u32_e32 v15, s16, v4
.LBB36_4:
	s_or_b32 exec_lo, exec_lo, s3
	s_load_b32 s17, s[0:1], 0x38
	s_mov_b32 s3, exec_lo
	v_cmpx_gt_i32_e64 s4, v3
	s_cbranch_execz .LBB36_6
; %bb.5:
	s_load_b64 s[8:9], s[0:1], 0x48
	s_wait_kmcnt 0x0
	global_load_b32 v2, v3, s[8:9] scale_offset
	s_wait_loadcnt 0x0
	v_subrev_nc_u32_e32 v2, s17, v2
.LBB36_6:
	s_or_b32 exec_lo, exec_lo, s3
	s_cmp_lt_i32 s5, 1
	s_cbranch_scc1 .LBB36_24
; %bb.7:
	v_mbcnt_lo_u32_b32 v3, -1, 0
	s_clause 0x3
	s_load_b64 s[2:3], s[0:1], 0x50
	s_load_b64 s[14:15], s[0:1], 0x40
	;; [unrolled: 1-line block ×4, first 2 shown]
	v_and_b32_e32 v5, 0xf0, v0
	v_and_b32_e32 v0, 1, v0
	v_mul_lo_u32 v8, s7, v1
	v_dual_lshlrev_b32 v7, 3, v1 :: v_dual_bitop2_b32 v4, 1, v3 bitop3:0x14
	s_mov_b32 s13, 0
	v_mov_b32_e32 v24, 1
	s_wait_xcnt 0x0
	s_delay_alu instid0(VALU_DEP_2) | instskip(SKIP_2) | instid1(VALU_DEP_3)
	v_cmp_gt_i32_e64 s0, 32, v4
	v_lshl_or_b32 v16, v5, 2, v7
	v_dual_lshlrev_b32 v7, 2, v3 :: v_dual_lshlrev_b32 v10, 2, v0
	v_dual_mov_b32 v5, 0 :: v_dual_cndmask_b32 v4, v3, v4, s0
	v_cmp_gt_u32_e64 s0, s7, v0
	s_delay_alu instid0(VALU_DEP_3) | instskip(NEXT) | instid1(VALU_DEP_3)
	v_dual_ashrrev_i32 v9, 31, v8 :: v_dual_bitop2_b32 v18, 4, v7 bitop3:0x54
	v_dual_mov_b32 v11, v5 :: v_dual_lshlrev_b32 v17, 2, v4
	v_mul_lo_u32 v4, s6, v0
	s_and_b32 s4, vcc_lo, s0
	s_cmp_lg_u32 s12, 0
	s_mov_b32 s12, s6
	s_cselect_b32 s18, -1, 0
	s_abs_i32 s6, s7
	s_wait_kmcnt 0x0
	v_lshl_add_u64 v[20:21], v[8:9], 2, s[14:15]
	s_cvt_f32_u32 s19, s6
	v_or_b32_e32 v23, 60, v7
	s_ashr_i32 s1, s7, 31
	s_mov_b32 s0, s7
	v_lshl_add_u64 v[12:13], v[4:5], 2, s[14:15]
	v_dual_lshlrev_b32 v4, 2, v1 :: v_dual_bitop2_b32 v19, v16, v10 bitop3:0x54
	v_rcp_iflag_f32_e32 v22, s19
	v_mov_b32_e32 v1, v5
	v_add_nc_u64_e32 v[10:11], v[20:21], v[10:11]
	s_delay_alu instid0(VALU_DEP_3) | instskip(SKIP_2) | instid1(TRANS32_DEP_1)
	v_add_nc_u64_e32 v[8:9], v[12:13], v[4:5]
	v_xor_b32_e32 v12, 4, v3
	v_xor_b32_e32 v4, 8, v3
	v_readfirstlane_b32 s14, v22
	s_delay_alu instid0(VALU_DEP_2) | instskip(SKIP_3) | instid1(SALU_CYCLE_1)
	v_cmp_gt_i32_e32 vcc_lo, 32, v4
	s_mul_f32 s14, s14, 0x4f7ffffe
	v_dual_cndmask_b32 v4, v3, v4, vcc_lo :: v_dual_bitop2_b32 v13, 2, v3 bitop3:0x14
	v_cmp_gt_i32_e32 vcc_lo, 32, v12
	s_cvt_u32_f32 s19, s14
	s_sub_co_i32 s14, 0, s6
	s_delay_alu instid0(VALU_DEP_2) | instskip(SKIP_3) | instid1(SALU_CYCLE_1)
	v_lshlrev_b32_e32 v20, 2, v4
	v_cndmask_b32_e32 v12, v3, v12, vcc_lo
	v_cmp_gt_i32_e32 vcc_lo, 32, v13
	s_mul_i32 s14, s14, s19
	s_mul_hi_u32 s20, s19, s14
	s_delay_alu instid0(VALU_DEP_2) | instskip(SKIP_3) | instid1(VALU_DEP_1)
	v_dual_lshlrev_b32 v21, 2, v12 :: v_dual_cndmask_b32 v3, v3, v13, vcc_lo
	s_mul_u64 s[14:15], s[0:1], s[12:13]
	s_add_co_i32 s12, s19, s20
	s_mov_b32 s19, s13
	v_dual_mov_b32 v3, 0 :: v_dual_lshlrev_b32 v22, 2, v3
	s_branch .LBB36_10
.LBB36_8:                               ;   in Loop: Header=BB36_10 Depth=1
	s_wait_xcnt 0x0
	s_or_b32 exec_lo, exec_lo, s20
	v_mov_b32_e32 v4, 1
.LBB36_9:                               ;   in Loop: Header=BB36_10 Depth=1
	s_or_b32 exec_lo, exec_lo, s0
	s_wait_dscnt 0x0
	ds_bpermute_b32 v3, v20, v25
	s_wait_storecnt_dscnt 0x0
	v_dual_add_nc_u32 v2, v4, v2 :: v_dual_min_i32 v3, v3, v25
	ds_bpermute_b32 v7, v21, v3
	s_wait_dscnt 0x0
	v_min_i32_e32 v3, v7, v3
	ds_bpermute_b32 v7, v22, v3
	s_wait_dscnt 0x0
	v_min_i32_e32 v3, v7, v3
	;; [unrolled: 3-line block ×3, first 2 shown]
	ds_bpermute_b32 v3, v23, v3
	s_wait_dscnt 0x0
	v_cmp_le_i32_e32 vcc_lo, s5, v3
	s_or_b32 s19, vcc_lo, s19
	s_delay_alu instid0(SALU_CYCLE_1)
	s_and_not1_b32 exec_lo, exec_lo, s19
	s_cbranch_execz .LBB36_24
.LBB36_10:                              ; =>This Loop Header: Depth=1
                                        ;     Child Loop BB36_13 Depth 2
	v_dual_mov_b32 v25, s5 :: v_dual_add_nc_u32 v26, v6, v0
	v_mov_b32_e32 v28, v15
	s_mov_b32 s20, exec_lo
	ds_store_b8 v14, v5 offset:1024
	ds_store_b32 v19, v5
	s_wait_dscnt 0x0
	v_cmpx_lt_i32_e64 v26, v15
	s_cbranch_execz .LBB36_18
; %bb.11:                               ;   in Loop: Header=BB36_10 Depth=1
	v_dual_ashrrev_i32 v7, 31, v6 :: v_dual_mov_b32 v25, s5
	v_mul_lo_u32 v27, v3, s7
	v_mov_b32_e32 v28, v15
	s_mov_b32 s21, 0
	s_delay_alu instid0(VALU_DEP_3) | instskip(NEXT) | instid1(VALU_DEP_1)
	v_add_nc_u64_e32 v[6:7], v[0:1], v[6:7]
	v_lshlrev_b64_e32 v[12:13], 2, v[6:7]
	s_delay_alu instid0(VALU_DEP_1)
	v_add_nc_u64_e32 v[6:7], s[10:11], v[12:13]
	v_add_nc_u64_e32 v[12:13], s[8:9], v[12:13]
	s_branch .LBB36_13
.LBB36_12:                              ;   in Loop: Header=BB36_13 Depth=2
	s_wait_xcnt 0x0
	s_or_b32 exec_lo, exec_lo, s0
	v_add_nc_u32_e32 v26, 2, v26
	s_xor_b32 s22, vcc_lo, -1
	v_add_nc_u64_e32 v[6:7], 8, v[6:7]
	v_add_nc_u64_e32 v[12:13], 8, v[12:13]
	s_delay_alu instid0(VALU_DEP_3) | instskip(SKIP_1) | instid1(SALU_CYCLE_1)
	v_cmp_ge_i32_e64 s0, v26, v15
	s_or_b32 s0, s22, s0
	s_and_b32 s0, exec_lo, s0
	s_delay_alu instid0(SALU_CYCLE_1) | instskip(NEXT) | instid1(SALU_CYCLE_1)
	s_or_b32 s21, s0, s21
	s_and_not1_b32 exec_lo, exec_lo, s21
	s_cbranch_execz .LBB36_17
.LBB36_13:                              ;   Parent Loop BB36_10 Depth=1
                                        ; =>  This Inner Loop Header: Depth=2
	global_load_b32 v4, v[6:7], off
	s_wait_loadcnt 0x0
	v_subrev_nc_u32_e32 v29, s16, v4
	s_delay_alu instid0(VALU_DEP_1) | instskip(NEXT) | instid1(VALU_DEP_1)
	v_sub_nc_u32_e32 v4, 0, v29
	v_max_i32_e32 v4, v29, v4
	s_delay_alu instid0(VALU_DEP_1) | instskip(NEXT) | instid1(VALU_DEP_1)
	v_mul_u64_e32 v[30:31], s[12:13], v[4:5]
	v_mul_lo_u32 v30, v31, s6
	s_delay_alu instid0(VALU_DEP_1) | instskip(NEXT) | instid1(VALU_DEP_1)
	v_dual_sub_nc_u32 v4, v4, v30 :: v_dual_add_nc_u32 v30, 1, v31
	v_cmp_le_u32_e32 vcc_lo, s6, v4
	s_delay_alu instid0(VALU_DEP_2) | instskip(SKIP_1) | instid1(VALU_DEP_1)
	v_dual_cndmask_b32 v30, v31, v30 :: v_dual_ashrrev_i32 v31, 31, v29
	v_subrev_nc_u32_e32 v32, s6, v4
	v_dual_cndmask_b32 v4, v4, v32, vcc_lo :: v_dual_add_nc_u32 v32, 1, v30
	s_delay_alu instid0(VALU_DEP_1) | instskip(NEXT) | instid1(VALU_DEP_2)
	v_cmp_le_u32_e32 vcc_lo, s6, v4
	v_dual_cndmask_b32 v4, v30, v32, vcc_lo :: v_dual_bitop2_b32 v31, s1, v31 bitop3:0x14
	s_delay_alu instid0(VALU_DEP_1) | instskip(NEXT) | instid1(VALU_DEP_1)
	v_xor_b32_e32 v4, v4, v31
	v_sub_nc_u32_e32 v30, v4, v31
	v_mov_b32_e32 v4, v28
	s_delay_alu instid0(VALU_DEP_2) | instskip(SKIP_3) | instid1(SALU_CYCLE_1)
	v_cmp_ne_u32_e64 s0, v30, v3
	v_cmp_eq_u32_e32 vcc_lo, v30, v3
	s_wait_xcnt 0x0
	s_and_saveexec_b32 s22, s0
	s_xor_b32 s0, exec_lo, s22
; %bb.14:                               ;   in Loop: Header=BB36_13 Depth=2
	v_min_i32_e32 v25, v30, v25
                                        ; implicit-def: $vgpr29
                                        ; implicit-def: $vgpr4
; %bb.15:                               ;   in Loop: Header=BB36_13 Depth=2
	s_or_saveexec_b32 s0, s0
	v_mov_b32_e32 v28, v26
	s_xor_b32 exec_lo, exec_lo, s0
	s_cbranch_execz .LBB36_12
; %bb.16:                               ;   in Loop: Header=BB36_13 Depth=2
	global_load_b32 v30, v[12:13], off
	v_sub_nc_u32_e32 v28, v29, v27
	s_delay_alu instid0(VALU_DEP_1)
	v_lshl_add_u32 v29, v28, 2, v16
	v_mov_b32_e32 v28, v4
	ds_store_b8 v14, v24 offset:1024
	s_wait_loadcnt 0x0
	ds_store_b32 v29, v30
	s_branch .LBB36_12
.LBB36_17:                              ;   in Loop: Header=BB36_10 Depth=1
	s_or_b32 exec_lo, exec_lo, s21
.LBB36_18:                              ;   in Loop: Header=BB36_10 Depth=1
	s_delay_alu instid0(SALU_CYCLE_1)
	s_or_b32 exec_lo, exec_lo, s20
	ds_bpermute_b32 v4, v17, v28
	s_wait_dscnt 0x0
	ds_load_u8 v7, v14 offset:1024
	v_min_i32_e32 v4, v4, v28
	ds_bpermute_b32 v6, v18, v4
	s_wait_dscnt 0x1
	v_and_b32_e32 v4, 1, v7
	s_delay_alu instid0(VALU_DEP_1)
	v_cmp_eq_u32_e32 vcc_lo, 1, v4
	v_mov_b32_e32 v4, 0
	s_and_saveexec_b32 s0, vcc_lo
	s_cbranch_execz .LBB36_9
; %bb.19:                               ;   in Loop: Header=BB36_10 Depth=1
	v_add_nc_u32_e32 v3, s17, v3
	global_store_b32 v2, v3, s[2:3] scale_offset
	s_wait_xcnt 0x0
	s_and_saveexec_b32 s20, s4
	s_cbranch_execz .LBB36_8
; %bb.20:                               ;   in Loop: Header=BB36_10 Depth=1
	v_ashrrev_i32_e32 v3, 31, v2
	s_and_b32 vcc_lo, exec_lo, s18
	s_delay_alu instid0(VALU_DEP_1)
	v_mul_u64_e32 v[12:13], s[14:15], v[2:3]
	ds_load_b32 v3, v19
	s_cbranch_vccz .LBB36_22
; %bb.21:                               ;   in Loop: Header=BB36_10 Depth=1
	v_lshl_add_u64 v[26:27], v[12:13], 2, v[8:9]
	s_wait_dscnt 0x0
	global_store_b32 v[26:27], v3, off
	s_cbranch_execnz .LBB36_8
	s_branch .LBB36_23
.LBB36_22:                              ;   in Loop: Header=BB36_10 Depth=1
.LBB36_23:                              ;   in Loop: Header=BB36_10 Depth=1
	v_lshl_add_u64 v[12:13], v[12:13], 2, v[10:11]
	s_wait_dscnt 0x0
	global_store_b32 v[12:13], v3, off
	s_branch .LBB36_8
.LBB36_24:
	s_endpgm
	.section	.rodata,"a",@progbits
	.p2align	6, 0x0
	.amdhsa_kernel _ZN9rocsparseL44csr2gebsr_wavefront_per_row_multipass_kernelILi256ELi8ELi2ELi16EfEEv20rocsparse_direction_iiiiii21rocsparse_index_base_PKT3_PKiS7_S2_PS3_PiS9_
		.amdhsa_group_segment_fixed_size 1040
		.amdhsa_private_segment_fixed_size 0
		.amdhsa_kernarg_size 88
		.amdhsa_user_sgpr_count 2
		.amdhsa_user_sgpr_dispatch_ptr 0
		.amdhsa_user_sgpr_queue_ptr 0
		.amdhsa_user_sgpr_kernarg_segment_ptr 1
		.amdhsa_user_sgpr_dispatch_id 0
		.amdhsa_user_sgpr_kernarg_preload_length 0
		.amdhsa_user_sgpr_kernarg_preload_offset 0
		.amdhsa_user_sgpr_private_segment_size 0
		.amdhsa_wavefront_size32 1
		.amdhsa_uses_dynamic_stack 0
		.amdhsa_enable_private_segment 0
		.amdhsa_system_sgpr_workgroup_id_x 1
		.amdhsa_system_sgpr_workgroup_id_y 0
		.amdhsa_system_sgpr_workgroup_id_z 0
		.amdhsa_system_sgpr_workgroup_info 0
		.amdhsa_system_vgpr_workitem_id 0
		.amdhsa_next_free_vgpr 33
		.amdhsa_next_free_sgpr 23
		.amdhsa_named_barrier_count 0
		.amdhsa_reserve_vcc 1
		.amdhsa_float_round_mode_32 0
		.amdhsa_float_round_mode_16_64 0
		.amdhsa_float_denorm_mode_32 3
		.amdhsa_float_denorm_mode_16_64 3
		.amdhsa_fp16_overflow 0
		.amdhsa_memory_ordered 1
		.amdhsa_forward_progress 1
		.amdhsa_inst_pref_size 11
		.amdhsa_round_robin_scheduling 0
		.amdhsa_exception_fp_ieee_invalid_op 0
		.amdhsa_exception_fp_denorm_src 0
		.amdhsa_exception_fp_ieee_div_zero 0
		.amdhsa_exception_fp_ieee_overflow 0
		.amdhsa_exception_fp_ieee_underflow 0
		.amdhsa_exception_fp_ieee_inexact 0
		.amdhsa_exception_int_div_zero 0
	.end_amdhsa_kernel
	.section	.text._ZN9rocsparseL44csr2gebsr_wavefront_per_row_multipass_kernelILi256ELi8ELi2ELi16EfEEv20rocsparse_direction_iiiiii21rocsparse_index_base_PKT3_PKiS7_S2_PS3_PiS9_,"axG",@progbits,_ZN9rocsparseL44csr2gebsr_wavefront_per_row_multipass_kernelILi256ELi8ELi2ELi16EfEEv20rocsparse_direction_iiiiii21rocsparse_index_base_PKT3_PKiS7_S2_PS3_PiS9_,comdat
.Lfunc_end36:
	.size	_ZN9rocsparseL44csr2gebsr_wavefront_per_row_multipass_kernelILi256ELi8ELi2ELi16EfEEv20rocsparse_direction_iiiiii21rocsparse_index_base_PKT3_PKiS7_S2_PS3_PiS9_, .Lfunc_end36-_ZN9rocsparseL44csr2gebsr_wavefront_per_row_multipass_kernelILi256ELi8ELi2ELi16EfEEv20rocsparse_direction_iiiiii21rocsparse_index_base_PKT3_PKiS7_S2_PS3_PiS9_
                                        ; -- End function
	.set _ZN9rocsparseL44csr2gebsr_wavefront_per_row_multipass_kernelILi256ELi8ELi2ELi16EfEEv20rocsparse_direction_iiiiii21rocsparse_index_base_PKT3_PKiS7_S2_PS3_PiS9_.num_vgpr, 33
	.set _ZN9rocsparseL44csr2gebsr_wavefront_per_row_multipass_kernelILi256ELi8ELi2ELi16EfEEv20rocsparse_direction_iiiiii21rocsparse_index_base_PKT3_PKiS7_S2_PS3_PiS9_.num_agpr, 0
	.set _ZN9rocsparseL44csr2gebsr_wavefront_per_row_multipass_kernelILi256ELi8ELi2ELi16EfEEv20rocsparse_direction_iiiiii21rocsparse_index_base_PKT3_PKiS7_S2_PS3_PiS9_.numbered_sgpr, 23
	.set _ZN9rocsparseL44csr2gebsr_wavefront_per_row_multipass_kernelILi256ELi8ELi2ELi16EfEEv20rocsparse_direction_iiiiii21rocsparse_index_base_PKT3_PKiS7_S2_PS3_PiS9_.num_named_barrier, 0
	.set _ZN9rocsparseL44csr2gebsr_wavefront_per_row_multipass_kernelILi256ELi8ELi2ELi16EfEEv20rocsparse_direction_iiiiii21rocsparse_index_base_PKT3_PKiS7_S2_PS3_PiS9_.private_seg_size, 0
	.set _ZN9rocsparseL44csr2gebsr_wavefront_per_row_multipass_kernelILi256ELi8ELi2ELi16EfEEv20rocsparse_direction_iiiiii21rocsparse_index_base_PKT3_PKiS7_S2_PS3_PiS9_.uses_vcc, 1
	.set _ZN9rocsparseL44csr2gebsr_wavefront_per_row_multipass_kernelILi256ELi8ELi2ELi16EfEEv20rocsparse_direction_iiiiii21rocsparse_index_base_PKT3_PKiS7_S2_PS3_PiS9_.uses_flat_scratch, 0
	.set _ZN9rocsparseL44csr2gebsr_wavefront_per_row_multipass_kernelILi256ELi8ELi2ELi16EfEEv20rocsparse_direction_iiiiii21rocsparse_index_base_PKT3_PKiS7_S2_PS3_PiS9_.has_dyn_sized_stack, 0
	.set _ZN9rocsparseL44csr2gebsr_wavefront_per_row_multipass_kernelILi256ELi8ELi2ELi16EfEEv20rocsparse_direction_iiiiii21rocsparse_index_base_PKT3_PKiS7_S2_PS3_PiS9_.has_recursion, 0
	.set _ZN9rocsparseL44csr2gebsr_wavefront_per_row_multipass_kernelILi256ELi8ELi2ELi16EfEEv20rocsparse_direction_iiiiii21rocsparse_index_base_PKT3_PKiS7_S2_PS3_PiS9_.has_indirect_call, 0
	.section	.AMDGPU.csdata,"",@progbits
; Kernel info:
; codeLenInByte = 1376
; TotalNumSgprs: 25
; NumVgprs: 33
; ScratchSize: 0
; MemoryBound: 0
; FloatMode: 240
; IeeeMode: 1
; LDSByteSize: 1040 bytes/workgroup (compile time only)
; SGPRBlocks: 0
; VGPRBlocks: 2
; NumSGPRsForWavesPerEU: 25
; NumVGPRsForWavesPerEU: 33
; NamedBarCnt: 0
; Occupancy: 16
; WaveLimiterHint : 0
; COMPUTE_PGM_RSRC2:SCRATCH_EN: 0
; COMPUTE_PGM_RSRC2:USER_SGPR: 2
; COMPUTE_PGM_RSRC2:TRAP_HANDLER: 0
; COMPUTE_PGM_RSRC2:TGID_X_EN: 1
; COMPUTE_PGM_RSRC2:TGID_Y_EN: 0
; COMPUTE_PGM_RSRC2:TGID_Z_EN: 0
; COMPUTE_PGM_RSRC2:TIDIG_COMP_CNT: 0
	.section	.text._ZN9rocsparseL44csr2gebsr_wavefront_per_row_multipass_kernelILi256ELi8ELi4ELi32EfEEv20rocsparse_direction_iiiiii21rocsparse_index_base_PKT3_PKiS7_S2_PS3_PiS9_,"axG",@progbits,_ZN9rocsparseL44csr2gebsr_wavefront_per_row_multipass_kernelILi256ELi8ELi4ELi32EfEEv20rocsparse_direction_iiiiii21rocsparse_index_base_PKT3_PKiS7_S2_PS3_PiS9_,comdat
	.globl	_ZN9rocsparseL44csr2gebsr_wavefront_per_row_multipass_kernelILi256ELi8ELi4ELi32EfEEv20rocsparse_direction_iiiiii21rocsparse_index_base_PKT3_PKiS7_S2_PS3_PiS9_ ; -- Begin function _ZN9rocsparseL44csr2gebsr_wavefront_per_row_multipass_kernelILi256ELi8ELi4ELi32EfEEv20rocsparse_direction_iiiiii21rocsparse_index_base_PKT3_PKiS7_S2_PS3_PiS9_
	.p2align	8
	.type	_ZN9rocsparseL44csr2gebsr_wavefront_per_row_multipass_kernelILi256ELi8ELi4ELi32EfEEv20rocsparse_direction_iiiiii21rocsparse_index_base_PKT3_PKiS7_S2_PS3_PiS9_,@function
_ZN9rocsparseL44csr2gebsr_wavefront_per_row_multipass_kernelILi256ELi8ELi4ELi32EfEEv20rocsparse_direction_iiiiii21rocsparse_index_base_PKT3_PKiS7_S2_PS3_PiS9_: ; @_ZN9rocsparseL44csr2gebsr_wavefront_per_row_multipass_kernelILi256ELi8ELi4ELi32EfEEv20rocsparse_direction_iiiiii21rocsparse_index_base_PKT3_PKiS7_S2_PS3_PiS9_
; %bb.0:
	s_clause 0x1
	s_load_b128 s[4:7], s[0:1], 0xc
	s_load_b64 s[12:13], s[0:1], 0x0
	s_bfe_u32 s2, ttmp6, 0x4000c
	s_and_b32 s3, ttmp6, 15
	s_add_co_i32 s2, s2, 1
	s_getreg_b32 s8, hwreg(HW_REG_IB_STS2, 6, 4)
	s_mul_i32 s2, ttmp9, s2
	v_dual_lshrrev_b32 v14, 5, v0 :: v_dual_mov_b32 v2, 0
	s_add_co_i32 s3, s3, s2
	s_cmp_eq_u32 s8, 0
	v_bfe_u32 v1, v0, 2, 3
	s_cselect_b32 s2, ttmp9, s3
	s_clause 0x1
	s_load_b32 s16, s[0:1], 0x1c
	s_load_b64 s[8:9], s[0:1], 0x28
	v_lshl_or_b32 v3, s2, 3, v14
	v_mov_b32_e32 v6, 0
	s_wait_kmcnt 0x0
	s_delay_alu instid0(VALU_DEP_2) | instskip(SKIP_1) | instid1(VALU_DEP_2)
	v_mad_u32 v4, v3, s6, v1
	v_cmp_gt_i32_e32 vcc_lo, s6, v1
	v_cmp_gt_i32_e64 s2, s13, v4
	s_and_b32 s2, vcc_lo, s2
	s_delay_alu instid0(SALU_CYCLE_1)
	s_and_saveexec_b32 s3, s2
	s_cbranch_execz .LBB37_2
; %bb.1:
	global_load_b32 v5, v4, s[8:9] scale_offset
	s_wait_loadcnt 0x0
	v_subrev_nc_u32_e32 v6, s16, v5
.LBB37_2:
	s_or_b32 exec_lo, exec_lo, s3
	v_mov_b32_e32 v15, 0
	s_and_saveexec_b32 s3, s2
	s_cbranch_execz .LBB37_4
; %bb.3:
	global_load_b32 v4, v4, s[8:9] offset:4 scale_offset
	s_wait_loadcnt 0x0
	v_subrev_nc_u32_e32 v15, s16, v4
.LBB37_4:
	s_or_b32 exec_lo, exec_lo, s3
	s_load_b32 s17, s[0:1], 0x38
	s_mov_b32 s3, exec_lo
	v_cmpx_gt_i32_e64 s4, v3
	s_cbranch_execz .LBB37_6
; %bb.5:
	s_load_b64 s[8:9], s[0:1], 0x48
	s_wait_kmcnt 0x0
	global_load_b32 v2, v3, s[8:9] scale_offset
	s_wait_loadcnt 0x0
	v_subrev_nc_u32_e32 v2, s17, v2
.LBB37_6:
	s_or_b32 exec_lo, exec_lo, s3
	s_cmp_lt_i32 s5, 1
	s_cbranch_scc1 .LBB37_24
; %bb.7:
	v_mbcnt_lo_u32_b32 v3, -1, 0
	s_clause 0x3
	s_load_b64 s[2:3], s[0:1], 0x50
	s_load_b64 s[14:15], s[0:1], 0x40
	;; [unrolled: 1-line block ×4, first 2 shown]
	v_and_b32_e32 v7, 0xe0, v0
	s_mov_b32 s13, 0
	v_dual_lshlrev_b32 v8, 4, v1 :: v_dual_bitop2_b32 v4, 2, v3 bitop3:0x14
	v_lshl_or_b32 v19, v3, 2, 12
	v_dual_mov_b32 v25, 1 :: v_dual_bitop2_b32 v0, 3, v0 bitop3:0x40
	s_delay_alu instid0(VALU_DEP_3)
	v_lshl_or_b32 v16, v7, 2, v8
	s_wait_xcnt 0x0
	v_cmp_gt_i32_e64 s0, 32, v4
	v_xor_b32_e32 v5, 1, v3
	v_mul_lo_u32 v8, s7, v1
	v_lshlrev_b32_e32 v10, 2, v0
	v_mov_b32_e32 v24, 0x7c
	v_cndmask_b32_e64 v4, v3, v4, s0
	v_cmp_gt_i32_e64 s0, 32, v5
	s_delay_alu instid0(VALU_DEP_1) | instskip(SKIP_2) | instid1(VALU_DEP_3)
	v_dual_cndmask_b32 v5, v3, v5, s0 :: v_dual_lshlrev_b32 v17, 2, v4
	v_mul_lo_u32 v4, s6, v0
	v_cmp_gt_u32_e64 s0, s7, v0
	v_dual_ashrrev_i32 v9, 31, v8 :: v_dual_lshlrev_b32 v18, 2, v5
	v_dual_mov_b32 v5, 0 :: v_dual_bitop2_b32 v20, v16, v10 bitop3:0x54
	s_and_b32 s4, vcc_lo, s0
	s_cmp_lg_u32 s12, 0
	s_mov_b32 s12, s6
	s_cselect_b32 s18, -1, 0
	s_abs_i32 s6, s7
	s_wait_kmcnt 0x0
	v_lshl_add_u64 v[12:13], v[4:5], 2, s[14:15]
	v_dual_mov_b32 v11, v5 :: v_dual_lshlrev_b32 v4, 2, v1
	s_cvt_f32_u32 s19, s6
	v_lshl_add_u64 v[22:23], v[8:9], 2, s[14:15]
	v_mov_b32_e32 v1, v5
	s_delay_alu instid0(VALU_DEP_3)
	v_add_nc_u64_e32 v[8:9], v[12:13], v[4:5]
	v_xor_b32_e32 v4, 16, v3
	v_rcp_iflag_f32_e32 v7, s19
	v_add_nc_u64_e32 v[10:11], v[22:23], v[10:11]
	s_ashr_i32 s1, s7, 31
	s_mov_b32 s0, s7
	v_cmp_gt_i32_e32 vcc_lo, 32, v4
	v_xor_b32_e32 v12, 8, v3
	s_delay_alu instid0(TRANS32_DEP_1) | instskip(SKIP_1) | instid1(VALU_DEP_3)
	v_readfirstlane_b32 s14, v7
	v_cndmask_b32_e32 v4, v3, v4, vcc_lo
	v_cmp_gt_i32_e32 vcc_lo, 32, v12
	v_xor_b32_e32 v13, 4, v3
	s_mul_f32 s14, s14, 0x4f7ffffe
	s_delay_alu instid0(VALU_DEP_3) | instskip(SKIP_1) | instid1(VALU_DEP_3)
	v_lshlrev_b32_e32 v21, 2, v4
	v_cndmask_b32_e32 v7, v3, v12, vcc_lo
	v_cmp_gt_i32_e32 vcc_lo, 32, v13
	s_cvt_u32_f32 s19, s14
	s_sub_co_i32 s14, 0, s6
	s_delay_alu instid0(VALU_DEP_2) | instskip(NEXT) | instid1(SALU_CYCLE_1)
	v_dual_cndmask_b32 v3, v3, v13 :: v_dual_lshlrev_b32 v22, 2, v7
	s_mul_i32 s14, s14, s19
	s_delay_alu instid0(SALU_CYCLE_1) | instskip(SKIP_1) | instid1(VALU_DEP_1)
	s_mul_hi_u32 s20, s19, s14
	s_mul_u64 s[14:15], s[0:1], s[12:13]
	v_dual_lshlrev_b32 v23, 2, v3 :: v_dual_mov_b32 v3, 0
	s_add_co_i32 s12, s19, s20
	s_mov_b32 s19, s13
	s_branch .LBB37_10
.LBB37_8:                               ;   in Loop: Header=BB37_10 Depth=1
	s_wait_xcnt 0x0
	s_or_b32 exec_lo, exec_lo, s20
	v_mov_b32_e32 v4, 1
.LBB37_9:                               ;   in Loop: Header=BB37_10 Depth=1
	s_or_b32 exec_lo, exec_lo, s0
	s_wait_dscnt 0x0
	ds_bpermute_b32 v3, v21, v26
	s_wait_storecnt_dscnt 0x0
	v_add_nc_u32_e32 v2, v4, v2
	v_min_i32_e32 v3, v3, v26
	ds_bpermute_b32 v7, v22, v3
	s_wait_dscnt 0x0
	v_min_i32_e32 v3, v7, v3
	ds_bpermute_b32 v7, v23, v3
	s_wait_dscnt 0x0
	v_min_i32_e32 v3, v7, v3
	ds_bpermute_b32 v7, v17, v3
	s_wait_dscnt 0x0
	v_min_i32_e32 v3, v7, v3
	ds_bpermute_b32 v7, v18, v3
	s_wait_dscnt 0x0
	v_min_i32_e32 v3, v7, v3
	ds_bpermute_b32 v3, v24, v3
	s_wait_dscnt 0x0
	v_cmp_le_i32_e32 vcc_lo, s5, v3
	s_or_b32 s19, vcc_lo, s19
	s_delay_alu instid0(SALU_CYCLE_1)
	s_and_not1_b32 exec_lo, exec_lo, s19
	s_cbranch_execz .LBB37_24
.LBB37_10:                              ; =>This Loop Header: Depth=1
                                        ;     Child Loop BB37_13 Depth 2
	v_dual_mov_b32 v26, s5 :: v_dual_add_nc_u32 v27, v6, v0
	v_mov_b32_e32 v29, v15
	s_mov_b32 s20, exec_lo
	ds_store_b8 v14, v5 offset:1024
	ds_store_b32 v20, v5
	s_wait_dscnt 0x0
	v_cmpx_lt_i32_e64 v27, v15
	s_cbranch_execz .LBB37_18
; %bb.11:                               ;   in Loop: Header=BB37_10 Depth=1
	v_dual_mov_b32 v26, s5 :: v_dual_ashrrev_i32 v7, 31, v6
	v_mul_lo_u32 v28, v3, s7
	v_mov_b32_e32 v29, v15
	s_mov_b32 s21, 0
	s_delay_alu instid0(VALU_DEP_3) | instskip(NEXT) | instid1(VALU_DEP_1)
	v_add_nc_u64_e32 v[6:7], v[0:1], v[6:7]
	v_lshlrev_b64_e32 v[12:13], 2, v[6:7]
	s_delay_alu instid0(VALU_DEP_1)
	v_add_nc_u64_e32 v[6:7], s[10:11], v[12:13]
	v_add_nc_u64_e32 v[12:13], s[8:9], v[12:13]
	s_branch .LBB37_13
.LBB37_12:                              ;   in Loop: Header=BB37_13 Depth=2
	s_wait_xcnt 0x0
	s_or_b32 exec_lo, exec_lo, s0
	v_add_nc_u32_e32 v27, 4, v27
	s_xor_b32 s22, vcc_lo, -1
	v_add_nc_u64_e32 v[6:7], 16, v[6:7]
	v_add_nc_u64_e32 v[12:13], 16, v[12:13]
	s_delay_alu instid0(VALU_DEP_3) | instskip(SKIP_1) | instid1(SALU_CYCLE_1)
	v_cmp_ge_i32_e64 s0, v27, v15
	s_or_b32 s0, s22, s0
	s_and_b32 s0, exec_lo, s0
	s_delay_alu instid0(SALU_CYCLE_1) | instskip(NEXT) | instid1(SALU_CYCLE_1)
	s_or_b32 s21, s0, s21
	s_and_not1_b32 exec_lo, exec_lo, s21
	s_cbranch_execz .LBB37_17
.LBB37_13:                              ;   Parent Loop BB37_10 Depth=1
                                        ; =>  This Inner Loop Header: Depth=2
	global_load_b32 v4, v[6:7], off
	s_wait_loadcnt 0x0
	v_subrev_nc_u32_e32 v30, s16, v4
	s_delay_alu instid0(VALU_DEP_1) | instskip(NEXT) | instid1(VALU_DEP_1)
	v_sub_nc_u32_e32 v4, 0, v30
	v_max_i32_e32 v4, v30, v4
	s_delay_alu instid0(VALU_DEP_1) | instskip(NEXT) | instid1(VALU_DEP_1)
	v_mul_u64_e32 v[32:33], s[12:13], v[4:5]
	v_mul_lo_u32 v31, v33, s6
	s_delay_alu instid0(VALU_DEP_1) | instskip(NEXT) | instid1(VALU_DEP_1)
	v_dual_sub_nc_u32 v4, v4, v31 :: v_dual_add_nc_u32 v31, 1, v33
	v_cmp_le_u32_e32 vcc_lo, s6, v4
	s_delay_alu instid0(VALU_DEP_2) | instskip(SKIP_1) | instid1(VALU_DEP_1)
	v_dual_cndmask_b32 v31, v33, v31, vcc_lo :: v_dual_ashrrev_i32 v33, 31, v30
	v_subrev_nc_u32_e32 v32, s6, v4
	v_dual_cndmask_b32 v4, v4, v32, vcc_lo :: v_dual_add_nc_u32 v32, 1, v31
	s_delay_alu instid0(VALU_DEP_1) | instskip(NEXT) | instid1(VALU_DEP_2)
	v_cmp_le_u32_e32 vcc_lo, s6, v4
	v_dual_cndmask_b32 v4, v31, v32, vcc_lo :: v_dual_bitop2_b32 v33, s1, v33 bitop3:0x14
	s_delay_alu instid0(VALU_DEP_1) | instskip(NEXT) | instid1(VALU_DEP_1)
	v_xor_b32_e32 v4, v4, v33
	v_dual_mov_b32 v4, v29 :: v_dual_sub_nc_u32 v31, v4, v33
	s_delay_alu instid0(VALU_DEP_1) | instskip(SKIP_3) | instid1(SALU_CYCLE_1)
	v_cmp_ne_u32_e64 s0, v31, v3
	v_cmp_eq_u32_e32 vcc_lo, v31, v3
	s_wait_xcnt 0x0
	s_and_saveexec_b32 s22, s0
	s_xor_b32 s0, exec_lo, s22
; %bb.14:                               ;   in Loop: Header=BB37_13 Depth=2
	v_min_i32_e32 v26, v31, v26
                                        ; implicit-def: $vgpr30
                                        ; implicit-def: $vgpr4
; %bb.15:                               ;   in Loop: Header=BB37_13 Depth=2
	s_or_saveexec_b32 s0, s0
	v_mov_b32_e32 v29, v27
	s_xor_b32 exec_lo, exec_lo, s0
	s_cbranch_execz .LBB37_12
; %bb.16:                               ;   in Loop: Header=BB37_13 Depth=2
	global_load_b32 v31, v[12:13], off
	v_sub_nc_u32_e32 v29, v30, v28
	s_delay_alu instid0(VALU_DEP_1)
	v_lshl_add_u32 v30, v29, 2, v16
	v_mov_b32_e32 v29, v4
	ds_store_b8 v14, v25 offset:1024
	s_wait_loadcnt 0x0
	ds_store_b32 v30, v31
	s_branch .LBB37_12
.LBB37_17:                              ;   in Loop: Header=BB37_10 Depth=1
	s_or_b32 exec_lo, exec_lo, s21
.LBB37_18:                              ;   in Loop: Header=BB37_10 Depth=1
	s_delay_alu instid0(SALU_CYCLE_1)
	s_or_b32 exec_lo, exec_lo, s20
	ds_bpermute_b32 v4, v17, v29
	s_wait_dscnt 0x0
	ds_load_u8 v7, v14 offset:1024
	v_min_i32_e32 v4, v4, v29
	ds_bpermute_b32 v6, v18, v4
	s_wait_dscnt 0x0
	v_min_i32_e32 v4, v6, v4
	ds_bpermute_b32 v6, v19, v4
	v_and_b32_e32 v4, 1, v7
	s_delay_alu instid0(VALU_DEP_1)
	v_cmp_eq_u32_e32 vcc_lo, 1, v4
	v_mov_b32_e32 v4, 0
	s_and_saveexec_b32 s0, vcc_lo
	s_cbranch_execz .LBB37_9
; %bb.19:                               ;   in Loop: Header=BB37_10 Depth=1
	v_add_nc_u32_e32 v3, s17, v3
	global_store_b32 v2, v3, s[2:3] scale_offset
	s_wait_xcnt 0x0
	s_and_saveexec_b32 s20, s4
	s_cbranch_execz .LBB37_8
; %bb.20:                               ;   in Loop: Header=BB37_10 Depth=1
	v_ashrrev_i32_e32 v3, 31, v2
	s_and_b32 vcc_lo, exec_lo, s18
	s_delay_alu instid0(VALU_DEP_1)
	v_mul_u64_e32 v[12:13], s[14:15], v[2:3]
	ds_load_b32 v3, v20
	s_cbranch_vccz .LBB37_22
; %bb.21:                               ;   in Loop: Header=BB37_10 Depth=1
	v_lshl_add_u64 v[28:29], v[12:13], 2, v[8:9]
	s_wait_dscnt 0x0
	global_store_b32 v[28:29], v3, off
	s_cbranch_execnz .LBB37_8
	s_branch .LBB37_23
.LBB37_22:                              ;   in Loop: Header=BB37_10 Depth=1
.LBB37_23:                              ;   in Loop: Header=BB37_10 Depth=1
	v_lshl_add_u64 v[12:13], v[12:13], 2, v[10:11]
	s_wait_dscnt 0x0
	global_store_b32 v[12:13], v3, off
	s_branch .LBB37_8
.LBB37_24:
	s_endpgm
	.section	.rodata,"a",@progbits
	.p2align	6, 0x0
	.amdhsa_kernel _ZN9rocsparseL44csr2gebsr_wavefront_per_row_multipass_kernelILi256ELi8ELi4ELi32EfEEv20rocsparse_direction_iiiiii21rocsparse_index_base_PKT3_PKiS7_S2_PS3_PiS9_
		.amdhsa_group_segment_fixed_size 1032
		.amdhsa_private_segment_fixed_size 0
		.amdhsa_kernarg_size 88
		.amdhsa_user_sgpr_count 2
		.amdhsa_user_sgpr_dispatch_ptr 0
		.amdhsa_user_sgpr_queue_ptr 0
		.amdhsa_user_sgpr_kernarg_segment_ptr 1
		.amdhsa_user_sgpr_dispatch_id 0
		.amdhsa_user_sgpr_kernarg_preload_length 0
		.amdhsa_user_sgpr_kernarg_preload_offset 0
		.amdhsa_user_sgpr_private_segment_size 0
		.amdhsa_wavefront_size32 1
		.amdhsa_uses_dynamic_stack 0
		.amdhsa_enable_private_segment 0
		.amdhsa_system_sgpr_workgroup_id_x 1
		.amdhsa_system_sgpr_workgroup_id_y 0
		.amdhsa_system_sgpr_workgroup_id_z 0
		.amdhsa_system_sgpr_workgroup_info 0
		.amdhsa_system_vgpr_workitem_id 0
		.amdhsa_next_free_vgpr 34
		.amdhsa_next_free_sgpr 23
		.amdhsa_named_barrier_count 0
		.amdhsa_reserve_vcc 1
		.amdhsa_float_round_mode_32 0
		.amdhsa_float_round_mode_16_64 0
		.amdhsa_float_denorm_mode_32 3
		.amdhsa_float_denorm_mode_16_64 3
		.amdhsa_fp16_overflow 0
		.amdhsa_memory_ordered 1
		.amdhsa_forward_progress 1
		.amdhsa_inst_pref_size 12
		.amdhsa_round_robin_scheduling 0
		.amdhsa_exception_fp_ieee_invalid_op 0
		.amdhsa_exception_fp_denorm_src 0
		.amdhsa_exception_fp_ieee_div_zero 0
		.amdhsa_exception_fp_ieee_overflow 0
		.amdhsa_exception_fp_ieee_underflow 0
		.amdhsa_exception_fp_ieee_inexact 0
		.amdhsa_exception_int_div_zero 0
	.end_amdhsa_kernel
	.section	.text._ZN9rocsparseL44csr2gebsr_wavefront_per_row_multipass_kernelILi256ELi8ELi4ELi32EfEEv20rocsparse_direction_iiiiii21rocsparse_index_base_PKT3_PKiS7_S2_PS3_PiS9_,"axG",@progbits,_ZN9rocsparseL44csr2gebsr_wavefront_per_row_multipass_kernelILi256ELi8ELi4ELi32EfEEv20rocsparse_direction_iiiiii21rocsparse_index_base_PKT3_PKiS7_S2_PS3_PiS9_,comdat
.Lfunc_end37:
	.size	_ZN9rocsparseL44csr2gebsr_wavefront_per_row_multipass_kernelILi256ELi8ELi4ELi32EfEEv20rocsparse_direction_iiiiii21rocsparse_index_base_PKT3_PKiS7_S2_PS3_PiS9_, .Lfunc_end37-_ZN9rocsparseL44csr2gebsr_wavefront_per_row_multipass_kernelILi256ELi8ELi4ELi32EfEEv20rocsparse_direction_iiiiii21rocsparse_index_base_PKT3_PKiS7_S2_PS3_PiS9_
                                        ; -- End function
	.set _ZN9rocsparseL44csr2gebsr_wavefront_per_row_multipass_kernelILi256ELi8ELi4ELi32EfEEv20rocsparse_direction_iiiiii21rocsparse_index_base_PKT3_PKiS7_S2_PS3_PiS9_.num_vgpr, 34
	.set _ZN9rocsparseL44csr2gebsr_wavefront_per_row_multipass_kernelILi256ELi8ELi4ELi32EfEEv20rocsparse_direction_iiiiii21rocsparse_index_base_PKT3_PKiS7_S2_PS3_PiS9_.num_agpr, 0
	.set _ZN9rocsparseL44csr2gebsr_wavefront_per_row_multipass_kernelILi256ELi8ELi4ELi32EfEEv20rocsparse_direction_iiiiii21rocsparse_index_base_PKT3_PKiS7_S2_PS3_PiS9_.numbered_sgpr, 23
	.set _ZN9rocsparseL44csr2gebsr_wavefront_per_row_multipass_kernelILi256ELi8ELi4ELi32EfEEv20rocsparse_direction_iiiiii21rocsparse_index_base_PKT3_PKiS7_S2_PS3_PiS9_.num_named_barrier, 0
	.set _ZN9rocsparseL44csr2gebsr_wavefront_per_row_multipass_kernelILi256ELi8ELi4ELi32EfEEv20rocsparse_direction_iiiiii21rocsparse_index_base_PKT3_PKiS7_S2_PS3_PiS9_.private_seg_size, 0
	.set _ZN9rocsparseL44csr2gebsr_wavefront_per_row_multipass_kernelILi256ELi8ELi4ELi32EfEEv20rocsparse_direction_iiiiii21rocsparse_index_base_PKT3_PKiS7_S2_PS3_PiS9_.uses_vcc, 1
	.set _ZN9rocsparseL44csr2gebsr_wavefront_per_row_multipass_kernelILi256ELi8ELi4ELi32EfEEv20rocsparse_direction_iiiiii21rocsparse_index_base_PKT3_PKiS7_S2_PS3_PiS9_.uses_flat_scratch, 0
	.set _ZN9rocsparseL44csr2gebsr_wavefront_per_row_multipass_kernelILi256ELi8ELi4ELi32EfEEv20rocsparse_direction_iiiiii21rocsparse_index_base_PKT3_PKiS7_S2_PS3_PiS9_.has_dyn_sized_stack, 0
	.set _ZN9rocsparseL44csr2gebsr_wavefront_per_row_multipass_kernelILi256ELi8ELi4ELi32EfEEv20rocsparse_direction_iiiiii21rocsparse_index_base_PKT3_PKiS7_S2_PS3_PiS9_.has_recursion, 0
	.set _ZN9rocsparseL44csr2gebsr_wavefront_per_row_multipass_kernelILi256ELi8ELi4ELi32EfEEv20rocsparse_direction_iiiiii21rocsparse_index_base_PKT3_PKiS7_S2_PS3_PiS9_.has_indirect_call, 0
	.section	.AMDGPU.csdata,"",@progbits
; Kernel info:
; codeLenInByte = 1424
; TotalNumSgprs: 25
; NumVgprs: 34
; ScratchSize: 0
; MemoryBound: 0
; FloatMode: 240
; IeeeMode: 1
; LDSByteSize: 1032 bytes/workgroup (compile time only)
; SGPRBlocks: 0
; VGPRBlocks: 2
; NumSGPRsForWavesPerEU: 25
; NumVGPRsForWavesPerEU: 34
; NamedBarCnt: 0
; Occupancy: 16
; WaveLimiterHint : 0
; COMPUTE_PGM_RSRC2:SCRATCH_EN: 0
; COMPUTE_PGM_RSRC2:USER_SGPR: 2
; COMPUTE_PGM_RSRC2:TRAP_HANDLER: 0
; COMPUTE_PGM_RSRC2:TGID_X_EN: 1
; COMPUTE_PGM_RSRC2:TGID_Y_EN: 0
; COMPUTE_PGM_RSRC2:TGID_Z_EN: 0
; COMPUTE_PGM_RSRC2:TIDIG_COMP_CNT: 0
	.section	.text._ZN9rocsparseL44csr2gebsr_wavefront_per_row_multipass_kernelILi256ELi8ELi8ELi64EfEEv20rocsparse_direction_iiiiii21rocsparse_index_base_PKT3_PKiS7_S2_PS3_PiS9_,"axG",@progbits,_ZN9rocsparseL44csr2gebsr_wavefront_per_row_multipass_kernelILi256ELi8ELi8ELi64EfEEv20rocsparse_direction_iiiiii21rocsparse_index_base_PKT3_PKiS7_S2_PS3_PiS9_,comdat
	.globl	_ZN9rocsparseL44csr2gebsr_wavefront_per_row_multipass_kernelILi256ELi8ELi8ELi64EfEEv20rocsparse_direction_iiiiii21rocsparse_index_base_PKT3_PKiS7_S2_PS3_PiS9_ ; -- Begin function _ZN9rocsparseL44csr2gebsr_wavefront_per_row_multipass_kernelILi256ELi8ELi8ELi64EfEEv20rocsparse_direction_iiiiii21rocsparse_index_base_PKT3_PKiS7_S2_PS3_PiS9_
	.p2align	8
	.type	_ZN9rocsparseL44csr2gebsr_wavefront_per_row_multipass_kernelILi256ELi8ELi8ELi64EfEEv20rocsparse_direction_iiiiii21rocsparse_index_base_PKT3_PKiS7_S2_PS3_PiS9_,@function
_ZN9rocsparseL44csr2gebsr_wavefront_per_row_multipass_kernelILi256ELi8ELi8ELi64EfEEv20rocsparse_direction_iiiiii21rocsparse_index_base_PKT3_PKiS7_S2_PS3_PiS9_: ; @_ZN9rocsparseL44csr2gebsr_wavefront_per_row_multipass_kernelILi256ELi8ELi8ELi64EfEEv20rocsparse_direction_iiiiii21rocsparse_index_base_PKT3_PKiS7_S2_PS3_PiS9_
; %bb.0:
	s_clause 0x1
	s_load_b128 s[4:7], s[0:1], 0xc
	s_load_b64 s[12:13], s[0:1], 0x0
	s_bfe_u32 s2, ttmp6, 0x4000c
	s_and_b32 s3, ttmp6, 15
	s_add_co_i32 s2, s2, 1
	s_getreg_b32 s8, hwreg(HW_REG_IB_STS2, 6, 4)
	s_mul_i32 s2, ttmp9, s2
	v_dual_lshrrev_b32 v14, 6, v0 :: v_dual_mov_b32 v2, 0
	s_add_co_i32 s3, s3, s2
	s_cmp_eq_u32 s8, 0
	v_bfe_u32 v3, v0, 3, 3
	s_cselect_b32 s2, ttmp9, s3
	s_clause 0x1
	s_load_b32 s16, s[0:1], 0x1c
	s_load_b64 s[8:9], s[0:1], 0x28
	v_lshl_or_b32 v1, s2, 2, v14
	v_mov_b32_e32 v6, 0
	s_wait_kmcnt 0x0
	s_delay_alu instid0(VALU_DEP_2) | instskip(SKIP_1) | instid1(VALU_DEP_2)
	v_mad_u32 v4, v1, s6, v3
	v_cmp_gt_i32_e32 vcc_lo, s6, v3
	v_cmp_gt_i32_e64 s2, s13, v4
	s_and_b32 s2, vcc_lo, s2
	s_delay_alu instid0(SALU_CYCLE_1)
	s_and_saveexec_b32 s3, s2
	s_cbranch_execz .LBB38_2
; %bb.1:
	global_load_b32 v5, v4, s[8:9] scale_offset
	s_wait_loadcnt 0x0
	v_subrev_nc_u32_e32 v6, s16, v5
.LBB38_2:
	s_or_b32 exec_lo, exec_lo, s3
	v_mov_b32_e32 v15, 0
	s_and_saveexec_b32 s3, s2
	s_cbranch_execz .LBB38_4
; %bb.3:
	global_load_b32 v4, v4, s[8:9] offset:4 scale_offset
	s_wait_loadcnt 0x0
	v_subrev_nc_u32_e32 v15, s16, v4
.LBB38_4:
	s_or_b32 exec_lo, exec_lo, s3
	s_load_b32 s17, s[0:1], 0x38
	s_mov_b32 s3, exec_lo
	v_cmpx_gt_i32_e64 s4, v1
	s_cbranch_execz .LBB38_6
; %bb.5:
	s_load_b64 s[8:9], s[0:1], 0x48
	s_wait_kmcnt 0x0
	global_load_b32 v1, v1, s[8:9] scale_offset
	s_wait_loadcnt 0x0
	v_subrev_nc_u32_e32 v2, s17, v1
.LBB38_6:
	s_or_b32 exec_lo, exec_lo, s3
	s_cmp_lt_i32 s5, 1
	s_cbranch_scc1 .LBB38_24
; %bb.7:
	v_mbcnt_lo_u32_b32 v7, -1, 0
	s_clause 0x3
	s_load_b64 s[2:3], s[0:1], 0x50
	s_load_b64 s[14:15], s[0:1], 0x40
	s_load_b64 s[8:9], s[0:1], 0x20
	s_load_b64 s[10:11], s[0:1], 0x30
	v_dual_lshlrev_b32 v8, 5, v3 :: v_dual_bitop2_b32 v4, 7, v0 bitop3:0x40
	v_and_b32_e32 v0, 0xc0, v0
	v_xor_b32_e32 v5, 2, v7
	v_xor_b32_e32 v1, 4, v7
	v_lshl_or_b32 v20, v7, 2, 28
	v_bfrev_b32_e32 v25, 0.5
	v_lshl_or_b32 v16, v0, 2, v8
	v_mul_lo_u32 v0, s6, v4
	s_wait_xcnt 0x0
	v_cmp_gt_i32_e64 s0, 32, v1
	v_mul_lo_u32 v8, s7, v3
	s_mov_b32 s13, 0
	v_dual_lshlrev_b32 v10, 2, v4 :: v_dual_mov_b32 v26, 1
	v_dual_cndmask_b32 v1, v7, v1, s0 :: v_dual_bitop2_b32 v9, 1, v7 bitop3:0x14
	v_cmp_gt_i32_e64 s0, 32, v5
	s_delay_alu instid0(VALU_DEP_2) | instskip(NEXT) | instid1(VALU_DEP_2)
	v_dual_lshlrev_b32 v17, 2, v1 :: v_dual_bitop2_b32 v21, v16, v10 bitop3:0x54
	v_dual_mov_b32 v1, 0 :: v_dual_cndmask_b32 v5, v7, v5, s0
	s_delay_alu instid0(VALU_DEP_4) | instskip(SKIP_1) | instid1(VALU_DEP_2)
	v_cmp_gt_i32_e64 s0, 32, v9
	s_wait_kmcnt 0x0
	v_lshl_add_u64 v[12:13], v[0:1], 2, s[14:15]
	s_delay_alu instid0(VALU_DEP_3) | instskip(NEXT) | instid1(VALU_DEP_3)
	v_lshlrev_b32_e32 v18, 2, v5
	v_cndmask_b32_e64 v9, v7, v9, s0
	v_cmp_gt_u32_e64 s0, s7, v4
	v_dual_mov_b32 v11, v1 :: v_dual_lshlrev_b32 v0, 2, v3
	s_delay_alu instid0(VALU_DEP_3)
	v_dual_mov_b32 v5, v1 :: v_dual_lshlrev_b32 v19, 2, v9
	s_and_b32 s4, vcc_lo, s0
	v_ashrrev_i32_e32 v9, 31, v8
	s_cmp_lg_u32 s12, 0
	s_mov_b32 s12, s6
	s_cselect_b32 s18, -1, 0
	s_abs_i32 s6, s7
	v_lshl_add_u64 v[22:23], v[8:9], 2, s[14:15]
	s_cvt_f32_u32 s19, s6
	v_add_nc_u64_e32 v[8:9], v[12:13], v[0:1]
	v_xor_b32_e32 v12, 16, v7
	v_or_b32_e32 v0, 32, v7
	v_rcp_iflag_f32_e32 v3, s19
	v_add_nc_u64_e32 v[10:11], v[22:23], v[10:11]
	s_ashr_i32 s1, s7, 31
	s_mov_b32 s0, s7
	v_cmp_gt_i32_e32 vcc_lo, 32, v0
	s_delay_alu instid0(TRANS32_DEP_1) | instskip(SKIP_3) | instid1(VALU_DEP_2)
	v_readfirstlane_b32 s14, v3
	v_dual_cndmask_b32 v0, v7, v0, vcc_lo :: v_dual_bitop2_b32 v13, 8, v7 bitop3:0x14
	v_cmp_gt_i32_e32 vcc_lo, 32, v12
	s_mul_f32 s14, s14, 0x4f7ffffe
	v_lshlrev_b32_e32 v22, 2, v0
	v_cndmask_b32_e32 v3, v7, v12, vcc_lo
	v_cmp_gt_i32_e32 vcc_lo, 32, v13
	s_cvt_u32_f32 s19, s14
	s_sub_co_i32 s14, 0, s6
	s_delay_alu instid0(VALU_DEP_2) | instskip(NEXT) | instid1(SALU_CYCLE_1)
	v_dual_lshlrev_b32 v23, 2, v3 :: v_dual_cndmask_b32 v7, v7, v13, vcc_lo
	s_mul_i32 s14, s14, s19
	v_mov_b32_e32 v3, 0
	s_mul_hi_u32 s20, s19, s14
	s_mul_u64 s[14:15], s[0:1], s[12:13]
	v_lshlrev_b32_e32 v24, 2, v7
	s_add_co_i32 s12, s19, s20
	s_mov_b32 s19, s13
	s_branch .LBB38_10
.LBB38_8:                               ;   in Loop: Header=BB38_10 Depth=1
	s_wait_xcnt 0x0
	s_or_b32 exec_lo, exec_lo, s20
	s_wait_dscnt 0x0
	v_mov_b32_e32 v0, 1
.LBB38_9:                               ;   in Loop: Header=BB38_10 Depth=1
	s_or_b32 exec_lo, exec_lo, s0
	ds_bpermute_b32 v3, v22, v27
	s_wait_storecnt_dscnt 0x0
	v_dual_add_nc_u32 v2, v0, v2 :: v_dual_min_i32 v3, v3, v27
	ds_bpermute_b32 v7, v23, v3
	s_wait_dscnt 0x0
	v_min_i32_e32 v3, v7, v3
	ds_bpermute_b32 v7, v24, v3
	s_wait_dscnt 0x0
	v_min_i32_e32 v3, v7, v3
	;; [unrolled: 3-line block ×5, first 2 shown]
	ds_bpermute_b32 v3, v25, v3
	s_wait_dscnt 0x0
	v_cmp_le_i32_e32 vcc_lo, s5, v3
	s_or_b32 s19, vcc_lo, s19
	s_delay_alu instid0(SALU_CYCLE_1)
	s_and_not1_b32 exec_lo, exec_lo, s19
	s_cbranch_execz .LBB38_24
.LBB38_10:                              ; =>This Loop Header: Depth=1
                                        ;     Child Loop BB38_13 Depth 2
	v_dual_mov_b32 v27, s5 :: v_dual_add_nc_u32 v28, v6, v4
	v_mov_b32_e32 v30, v15
	s_mov_b32 s20, exec_lo
	ds_store_b8 v14, v1 offset:1024
	ds_store_b32 v21, v1
	s_wait_dscnt 0x0
	v_cmpx_lt_i32_e64 v28, v15
	s_cbranch_execz .LBB38_18
; %bb.11:                               ;   in Loop: Header=BB38_10 Depth=1
	v_dual_ashrrev_i32 v7, 31, v6 :: v_dual_mov_b32 v27, s5
	v_mul_lo_u32 v29, v3, s7
	v_mov_b32_e32 v30, v15
	s_mov_b32 s21, 0
	s_delay_alu instid0(VALU_DEP_3) | instskip(NEXT) | instid1(VALU_DEP_1)
	v_add_nc_u64_e32 v[6:7], v[4:5], v[6:7]
	v_lshlrev_b64_e32 v[12:13], 2, v[6:7]
	s_delay_alu instid0(VALU_DEP_1)
	v_add_nc_u64_e32 v[6:7], s[10:11], v[12:13]
	v_add_nc_u64_e32 v[12:13], s[8:9], v[12:13]
	s_branch .LBB38_13
.LBB38_12:                              ;   in Loop: Header=BB38_13 Depth=2
	s_wait_xcnt 0x0
	s_or_b32 exec_lo, exec_lo, s0
	v_add_nc_u32_e32 v28, 8, v28
	s_xor_b32 s22, vcc_lo, -1
	v_add_nc_u64_e32 v[6:7], 32, v[6:7]
	v_add_nc_u64_e32 v[12:13], 32, v[12:13]
	s_delay_alu instid0(VALU_DEP_3) | instskip(SKIP_1) | instid1(SALU_CYCLE_1)
	v_cmp_ge_i32_e64 s0, v28, v15
	s_or_b32 s0, s22, s0
	s_and_b32 s0, exec_lo, s0
	s_delay_alu instid0(SALU_CYCLE_1) | instskip(NEXT) | instid1(SALU_CYCLE_1)
	s_or_b32 s21, s0, s21
	s_and_not1_b32 exec_lo, exec_lo, s21
	s_cbranch_execz .LBB38_17
.LBB38_13:                              ;   Parent Loop BB38_10 Depth=1
                                        ; =>  This Inner Loop Header: Depth=2
	global_load_b32 v0, v[6:7], off
	s_wait_loadcnt 0x0
	v_subrev_nc_u32_e32 v31, s16, v0
	s_delay_alu instid0(VALU_DEP_1) | instskip(NEXT) | instid1(VALU_DEP_1)
	v_sub_nc_u32_e32 v0, 0, v31
	v_max_i32_e32 v0, v31, v0
	s_delay_alu instid0(VALU_DEP_1) | instskip(NEXT) | instid1(VALU_DEP_1)
	v_mul_u64_e32 v[32:33], s[12:13], v[0:1]
	v_mul_lo_u32 v32, v33, s6
	s_delay_alu instid0(VALU_DEP_1) | instskip(NEXT) | instid1(VALU_DEP_1)
	v_dual_sub_nc_u32 v0, v0, v32 :: v_dual_add_nc_u32 v32, 1, v33
	v_cmp_le_u32_e32 vcc_lo, s6, v0
	s_delay_alu instid0(VALU_DEP_2) | instskip(SKIP_1) | instid1(VALU_DEP_1)
	v_cndmask_b32_e32 v32, v33, v32, vcc_lo
	v_subrev_nc_u32_e32 v34, s6, v0
	v_dual_cndmask_b32 v0, v0, v34 :: v_dual_ashrrev_i32 v33, 31, v31
	s_delay_alu instid0(VALU_DEP_3) | instskip(NEXT) | instid1(VALU_DEP_2)
	v_add_nc_u32_e32 v34, 1, v32
	v_cmp_le_u32_e32 vcc_lo, s6, v0
	s_delay_alu instid0(VALU_DEP_2) | instskip(NEXT) | instid1(VALU_DEP_1)
	v_dual_cndmask_b32 v0, v32, v34, vcc_lo :: v_dual_bitop2_b32 v33, s1, v33 bitop3:0x14
	v_xor_b32_e32 v0, v0, v33
	s_delay_alu instid0(VALU_DEP_1) | instskip(NEXT) | instid1(VALU_DEP_1)
	v_dual_sub_nc_u32 v32, v0, v33 :: v_dual_mov_b32 v0, v30
	v_cmp_ne_u32_e64 s0, v32, v3
	v_cmp_eq_u32_e32 vcc_lo, v32, v3
	s_wait_xcnt 0x0
	s_and_saveexec_b32 s22, s0
	s_delay_alu instid0(SALU_CYCLE_1)
	s_xor_b32 s0, exec_lo, s22
; %bb.14:                               ;   in Loop: Header=BB38_13 Depth=2
	v_min_i32_e32 v27, v32, v27
                                        ; implicit-def: $vgpr31
                                        ; implicit-def: $vgpr0
; %bb.15:                               ;   in Loop: Header=BB38_13 Depth=2
	s_or_saveexec_b32 s0, s0
	v_mov_b32_e32 v30, v28
	s_xor_b32 exec_lo, exec_lo, s0
	s_cbranch_execz .LBB38_12
; %bb.16:                               ;   in Loop: Header=BB38_13 Depth=2
	global_load_b32 v32, v[12:13], off
	v_sub_nc_u32_e32 v30, v31, v29
	s_delay_alu instid0(VALU_DEP_1)
	v_lshl_add_u32 v31, v30, 2, v16
	v_mov_b32_e32 v30, v0
	ds_store_b8 v14, v26 offset:1024
	s_wait_loadcnt 0x0
	ds_store_b32 v31, v32
	s_branch .LBB38_12
.LBB38_17:                              ;   in Loop: Header=BB38_10 Depth=1
	s_or_b32 exec_lo, exec_lo, s21
.LBB38_18:                              ;   in Loop: Header=BB38_10 Depth=1
	s_delay_alu instid0(SALU_CYCLE_1)
	s_or_b32 exec_lo, exec_lo, s20
	ds_bpermute_b32 v0, v17, v30
	s_wait_dscnt 0x0
	ds_load_u8 v7, v14 offset:1024
	v_min_i32_e32 v0, v0, v30
	ds_bpermute_b32 v6, v18, v0
	s_wait_dscnt 0x0
	v_min_i32_e32 v0, v6, v0
	ds_bpermute_b32 v6, v19, v0
	s_wait_dscnt 0x0
	v_min_i32_e32 v0, v6, v0
	ds_bpermute_b32 v6, v20, v0
	v_and_b32_e32 v0, 1, v7
	s_delay_alu instid0(VALU_DEP_1)
	v_cmp_eq_u32_e32 vcc_lo, 1, v0
	v_mov_b32_e32 v0, 0
	s_and_saveexec_b32 s0, vcc_lo
	s_cbranch_execz .LBB38_9
; %bb.19:                               ;   in Loop: Header=BB38_10 Depth=1
	v_add_nc_u32_e32 v0, s17, v3
	global_store_b32 v2, v0, s[2:3] scale_offset
	s_wait_xcnt 0x0
	s_and_saveexec_b32 s20, s4
	s_cbranch_execz .LBB38_8
; %bb.20:                               ;   in Loop: Header=BB38_10 Depth=1
	v_ashrrev_i32_e32 v3, 31, v2
	ds_load_b32 v0, v21
	s_and_b32 vcc_lo, exec_lo, s18
	v_mul_u64_e32 v[12:13], s[14:15], v[2:3]
	s_cbranch_vccz .LBB38_22
; %bb.21:                               ;   in Loop: Header=BB38_10 Depth=1
	s_delay_alu instid0(VALU_DEP_1)
	v_lshl_add_u64 v[28:29], v[12:13], 2, v[8:9]
	s_wait_dscnt 0x0
	global_store_b32 v[28:29], v0, off
	s_cbranch_execnz .LBB38_8
	s_branch .LBB38_23
.LBB38_22:                              ;   in Loop: Header=BB38_10 Depth=1
.LBB38_23:                              ;   in Loop: Header=BB38_10 Depth=1
	s_delay_alu instid0(VALU_DEP_1)
	v_lshl_add_u64 v[12:13], v[12:13], 2, v[10:11]
	s_wait_dscnt 0x0
	global_store_b32 v[12:13], v0, off
	s_branch .LBB38_8
.LBB38_24:
	s_endpgm
	.section	.rodata,"a",@progbits
	.p2align	6, 0x0
	.amdhsa_kernel _ZN9rocsparseL44csr2gebsr_wavefront_per_row_multipass_kernelILi256ELi8ELi8ELi64EfEEv20rocsparse_direction_iiiiii21rocsparse_index_base_PKT3_PKiS7_S2_PS3_PiS9_
		.amdhsa_group_segment_fixed_size 1028
		.amdhsa_private_segment_fixed_size 0
		.amdhsa_kernarg_size 88
		.amdhsa_user_sgpr_count 2
		.amdhsa_user_sgpr_dispatch_ptr 0
		.amdhsa_user_sgpr_queue_ptr 0
		.amdhsa_user_sgpr_kernarg_segment_ptr 1
		.amdhsa_user_sgpr_dispatch_id 0
		.amdhsa_user_sgpr_kernarg_preload_length 0
		.amdhsa_user_sgpr_kernarg_preload_offset 0
		.amdhsa_user_sgpr_private_segment_size 0
		.amdhsa_wavefront_size32 1
		.amdhsa_uses_dynamic_stack 0
		.amdhsa_enable_private_segment 0
		.amdhsa_system_sgpr_workgroup_id_x 1
		.amdhsa_system_sgpr_workgroup_id_y 0
		.amdhsa_system_sgpr_workgroup_id_z 0
		.amdhsa_system_sgpr_workgroup_info 0
		.amdhsa_system_vgpr_workitem_id 0
		.amdhsa_next_free_vgpr 35
		.amdhsa_next_free_sgpr 23
		.amdhsa_named_barrier_count 0
		.amdhsa_reserve_vcc 1
		.amdhsa_float_round_mode_32 0
		.amdhsa_float_round_mode_16_64 0
		.amdhsa_float_denorm_mode_32 3
		.amdhsa_float_denorm_mode_16_64 3
		.amdhsa_fp16_overflow 0
		.amdhsa_memory_ordered 1
		.amdhsa_forward_progress 1
		.amdhsa_inst_pref_size 12
		.amdhsa_round_robin_scheduling 0
		.amdhsa_exception_fp_ieee_invalid_op 0
		.amdhsa_exception_fp_denorm_src 0
		.amdhsa_exception_fp_ieee_div_zero 0
		.amdhsa_exception_fp_ieee_overflow 0
		.amdhsa_exception_fp_ieee_underflow 0
		.amdhsa_exception_fp_ieee_inexact 0
		.amdhsa_exception_int_div_zero 0
	.end_amdhsa_kernel
	.section	.text._ZN9rocsparseL44csr2gebsr_wavefront_per_row_multipass_kernelILi256ELi8ELi8ELi64EfEEv20rocsparse_direction_iiiiii21rocsparse_index_base_PKT3_PKiS7_S2_PS3_PiS9_,"axG",@progbits,_ZN9rocsparseL44csr2gebsr_wavefront_per_row_multipass_kernelILi256ELi8ELi8ELi64EfEEv20rocsparse_direction_iiiiii21rocsparse_index_base_PKT3_PKiS7_S2_PS3_PiS9_,comdat
.Lfunc_end38:
	.size	_ZN9rocsparseL44csr2gebsr_wavefront_per_row_multipass_kernelILi256ELi8ELi8ELi64EfEEv20rocsparse_direction_iiiiii21rocsparse_index_base_PKT3_PKiS7_S2_PS3_PiS9_, .Lfunc_end38-_ZN9rocsparseL44csr2gebsr_wavefront_per_row_multipass_kernelILi256ELi8ELi8ELi64EfEEv20rocsparse_direction_iiiiii21rocsparse_index_base_PKT3_PKiS7_S2_PS3_PiS9_
                                        ; -- End function
	.set _ZN9rocsparseL44csr2gebsr_wavefront_per_row_multipass_kernelILi256ELi8ELi8ELi64EfEEv20rocsparse_direction_iiiiii21rocsparse_index_base_PKT3_PKiS7_S2_PS3_PiS9_.num_vgpr, 35
	.set _ZN9rocsparseL44csr2gebsr_wavefront_per_row_multipass_kernelILi256ELi8ELi8ELi64EfEEv20rocsparse_direction_iiiiii21rocsparse_index_base_PKT3_PKiS7_S2_PS3_PiS9_.num_agpr, 0
	.set _ZN9rocsparseL44csr2gebsr_wavefront_per_row_multipass_kernelILi256ELi8ELi8ELi64EfEEv20rocsparse_direction_iiiiii21rocsparse_index_base_PKT3_PKiS7_S2_PS3_PiS9_.numbered_sgpr, 23
	.set _ZN9rocsparseL44csr2gebsr_wavefront_per_row_multipass_kernelILi256ELi8ELi8ELi64EfEEv20rocsparse_direction_iiiiii21rocsparse_index_base_PKT3_PKiS7_S2_PS3_PiS9_.num_named_barrier, 0
	.set _ZN9rocsparseL44csr2gebsr_wavefront_per_row_multipass_kernelILi256ELi8ELi8ELi64EfEEv20rocsparse_direction_iiiiii21rocsparse_index_base_PKT3_PKiS7_S2_PS3_PiS9_.private_seg_size, 0
	.set _ZN9rocsparseL44csr2gebsr_wavefront_per_row_multipass_kernelILi256ELi8ELi8ELi64EfEEv20rocsparse_direction_iiiiii21rocsparse_index_base_PKT3_PKiS7_S2_PS3_PiS9_.uses_vcc, 1
	.set _ZN9rocsparseL44csr2gebsr_wavefront_per_row_multipass_kernelILi256ELi8ELi8ELi64EfEEv20rocsparse_direction_iiiiii21rocsparse_index_base_PKT3_PKiS7_S2_PS3_PiS9_.uses_flat_scratch, 0
	.set _ZN9rocsparseL44csr2gebsr_wavefront_per_row_multipass_kernelILi256ELi8ELi8ELi64EfEEv20rocsparse_direction_iiiiii21rocsparse_index_base_PKT3_PKiS7_S2_PS3_PiS9_.has_dyn_sized_stack, 0
	.set _ZN9rocsparseL44csr2gebsr_wavefront_per_row_multipass_kernelILi256ELi8ELi8ELi64EfEEv20rocsparse_direction_iiiiii21rocsparse_index_base_PKT3_PKiS7_S2_PS3_PiS9_.has_recursion, 0
	.set _ZN9rocsparseL44csr2gebsr_wavefront_per_row_multipass_kernelILi256ELi8ELi8ELi64EfEEv20rocsparse_direction_iiiiii21rocsparse_index_base_PKT3_PKiS7_S2_PS3_PiS9_.has_indirect_call, 0
	.section	.AMDGPU.csdata,"",@progbits
; Kernel info:
; codeLenInByte = 1488
; TotalNumSgprs: 25
; NumVgprs: 35
; ScratchSize: 0
; MemoryBound: 0
; FloatMode: 240
; IeeeMode: 1
; LDSByteSize: 1028 bytes/workgroup (compile time only)
; SGPRBlocks: 0
; VGPRBlocks: 2
; NumSGPRsForWavesPerEU: 25
; NumVGPRsForWavesPerEU: 35
; NamedBarCnt: 0
; Occupancy: 16
; WaveLimiterHint : 0
; COMPUTE_PGM_RSRC2:SCRATCH_EN: 0
; COMPUTE_PGM_RSRC2:USER_SGPR: 2
; COMPUTE_PGM_RSRC2:TRAP_HANDLER: 0
; COMPUTE_PGM_RSRC2:TGID_X_EN: 1
; COMPUTE_PGM_RSRC2:TGID_Y_EN: 0
; COMPUTE_PGM_RSRC2:TGID_Z_EN: 0
; COMPUTE_PGM_RSRC2:TIDIG_COMP_CNT: 0
	.section	.text._ZN9rocsparseL44csr2gebsr_wavefront_per_row_multipass_kernelILi256ELi8ELi8ELi32EfEEv20rocsparse_direction_iiiiii21rocsparse_index_base_PKT3_PKiS7_S2_PS3_PiS9_,"axG",@progbits,_ZN9rocsparseL44csr2gebsr_wavefront_per_row_multipass_kernelILi256ELi8ELi8ELi32EfEEv20rocsparse_direction_iiiiii21rocsparse_index_base_PKT3_PKiS7_S2_PS3_PiS9_,comdat
	.globl	_ZN9rocsparseL44csr2gebsr_wavefront_per_row_multipass_kernelILi256ELi8ELi8ELi32EfEEv20rocsparse_direction_iiiiii21rocsparse_index_base_PKT3_PKiS7_S2_PS3_PiS9_ ; -- Begin function _ZN9rocsparseL44csr2gebsr_wavefront_per_row_multipass_kernelILi256ELi8ELi8ELi32EfEEv20rocsparse_direction_iiiiii21rocsparse_index_base_PKT3_PKiS7_S2_PS3_PiS9_
	.p2align	8
	.type	_ZN9rocsparseL44csr2gebsr_wavefront_per_row_multipass_kernelILi256ELi8ELi8ELi32EfEEv20rocsparse_direction_iiiiii21rocsparse_index_base_PKT3_PKiS7_S2_PS3_PiS9_,@function
_ZN9rocsparseL44csr2gebsr_wavefront_per_row_multipass_kernelILi256ELi8ELi8ELi32EfEEv20rocsparse_direction_iiiiii21rocsparse_index_base_PKT3_PKiS7_S2_PS3_PiS9_: ; @_ZN9rocsparseL44csr2gebsr_wavefront_per_row_multipass_kernelILi256ELi8ELi8ELi32EfEEv20rocsparse_direction_iiiiii21rocsparse_index_base_PKT3_PKiS7_S2_PS3_PiS9_
; %bb.0:
	s_clause 0x1
	s_load_b128 s[4:7], s[0:1], 0xc
	s_load_b64 s[12:13], s[0:1], 0x0
	s_bfe_u32 s2, ttmp6, 0x4000c
	s_and_b32 s3, ttmp6, 15
	s_add_co_i32 s2, s2, 1
	s_getreg_b32 s8, hwreg(HW_REG_IB_STS2, 6, 4)
	s_mul_i32 s2, ttmp9, s2
	v_dual_lshrrev_b32 v20, 5, v0 :: v_dual_mov_b32 v2, 0
	s_add_co_i32 s3, s3, s2
	s_cmp_eq_u32 s8, 0
	v_bfe_u32 v1, v0, 2, 3
	s_cselect_b32 s2, ttmp9, s3
	s_clause 0x1
	s_load_b32 s18, s[0:1], 0x1c
	s_load_b64 s[8:9], s[0:1], 0x28
	v_lshl_or_b32 v3, s2, 3, v20
	v_mov_b32_e32 v10, 0
	s_wait_kmcnt 0x0
	s_delay_alu instid0(VALU_DEP_2) | instskip(SKIP_1) | instid1(VALU_DEP_2)
	v_mad_u32 v4, v3, s6, v1
	v_cmp_gt_i32_e32 vcc_lo, s6, v1
	v_cmp_gt_i32_e64 s2, s13, v4
	s_and_b32 s2, vcc_lo, s2
	s_delay_alu instid0(SALU_CYCLE_1)
	s_and_saveexec_b32 s3, s2
	s_cbranch_execz .LBB39_2
; %bb.1:
	global_load_b32 v5, v4, s[8:9] scale_offset
	s_wait_loadcnt 0x0
	v_subrev_nc_u32_e32 v10, s18, v5
.LBB39_2:
	s_or_b32 exec_lo, exec_lo, s3
	v_mov_b32_e32 v21, 0
	s_and_saveexec_b32 s3, s2
	s_cbranch_execz .LBB39_4
; %bb.3:
	global_load_b32 v4, v4, s[8:9] offset:4 scale_offset
	s_wait_loadcnt 0x0
	v_subrev_nc_u32_e32 v21, s18, v4
.LBB39_4:
	s_or_b32 exec_lo, exec_lo, s3
	s_load_b32 s19, s[0:1], 0x38
	s_mov_b32 s3, exec_lo
	v_cmpx_gt_i32_e64 s4, v3
	s_cbranch_execz .LBB39_6
; %bb.5:
	s_load_b64 s[8:9], s[0:1], 0x48
	s_wait_kmcnt 0x0
	global_load_b32 v2, v3, s[8:9] scale_offset
	s_wait_loadcnt 0x0
	v_subrev_nc_u32_e32 v2, s19, v2
.LBB39_6:
	s_or_b32 exec_lo, exec_lo, s3
	s_cmp_lt_i32 s5, 1
	s_cbranch_scc1 .LBB39_29
; %bb.7:
	v_mbcnt_lo_u32_b32 v3, -1, 0
	s_clause 0x3
	s_load_b64 s[2:3], s[0:1], 0x50
	s_load_b64 s[20:21], s[0:1], 0x40
	;; [unrolled: 1-line block ×4, first 2 shown]
	v_mul_lo_u32 v6, s7, v1
	s_cmp_lg_u32 s12, 0
	s_mov_b32 s13, 0
	v_dual_lshlrev_b32 v7, 5, v1 :: v_dual_bitop2_b32 v4, 2, v3 bitop3:0x14
	s_cselect_b32 s4, -1, 0
	s_mov_b32 s12, s6
	s_ashr_i32 s15, s7, 31
	s_wait_xcnt 0x0
	v_cmp_gt_i32_e64 s0, 32, v4
	v_xor_b32_e32 v5, 1, v3
	v_lshl_or_b32 v22, v20, 8, v7
	s_mov_b32 s14, s7
	v_lshl_or_b32 v25, v3, 2, 12
	v_cndmask_b32_e64 v4, v3, v4, s0
	v_cmp_gt_i32_e64 s0, 32, v5
	s_mul_u64 s[16:17], s[14:15], s[12:13]
	s_abs_i32 s14, s7
	v_dual_mov_b32 v31, 1 :: v_dual_mov_b32 v33, 0
	v_dual_cndmask_b32 v5, v3, v5, s0 :: v_dual_bitop2_b32 v0, 3, v0 bitop3:0x40
	v_lshlrev_b32_e32 v23, 2, v4
	s_cvt_f32_u32 s1, s14
	s_delay_alu instid0(VALU_DEP_2) | instskip(NEXT) | instid1(VALU_DEP_3)
	v_dual_ashrrev_i32 v7, 31, v6 :: v_dual_lshlrev_b32 v24, 2, v5
	v_dual_mov_b32 v5, 0 :: v_dual_lshlrev_b32 v8, 2, v0
	v_lshlrev_b32_e32 v4, 2, v1
	s_wait_kmcnt 0x0
	s_delay_alu instid0(VALU_DEP_3)
	v_lshl_add_u64 v[12:13], v[6:7], 2, s[20:21]
	v_mov_b32_e32 v30, 0x7c
	v_dual_mov_b32 v9, v5 :: v_dual_bitop2_b32 v26, v22, v8 bitop3:0x54
	v_add_nc_u64_e32 v[6:7], s[20:21], v[4:5]
	v_dual_mov_b32 v1, v5 :: v_dual_bitop2_b32 v4, 16, v3 bitop3:0x14
	v_mov_b32_e32 v15, v5
	s_delay_alu instid0(VALU_DEP_4) | instskip(SKIP_1) | instid1(VALU_DEP_3)
	v_add_nc_u64_e32 v[8:9], v[12:13], v[8:9]
	v_rcp_iflag_f32_e32 v13, s1
	v_cmp_gt_i32_e64 s0, 32, v4
	s_delay_alu instid0(VALU_DEP_1) | instskip(SKIP_1) | instid1(VALU_DEP_2)
	v_dual_cndmask_b32 v4, v3, v4, s0 :: v_dual_bitop2_b32 v11, 8, v3 bitop3:0x14
	v_xor_b32_e32 v12, 4, v3
	v_cmp_gt_i32_e64 s0, 32, v11
	s_delay_alu instid0(VALU_DEP_1) | instskip(NEXT) | instid1(VALU_DEP_3)
	v_dual_lshlrev_b32 v27, 2, v4 :: v_dual_cndmask_b32 v11, v3, v11, s0
	v_cmp_gt_i32_e64 s0, 32, v12
	s_delay_alu instid0(VALU_DEP_1) | instskip(SKIP_3) | instid1(VALU_DEP_4)
	v_cndmask_b32_e64 v3, v3, v12, s0
	v_mul_lo_u32 v12, v0, s6
	v_readfirstlane_b32 s0, v13
	v_dual_mov_b32 v13, v5 :: v_dual_lshlrev_b32 v28, 2, v11
	v_dual_lshlrev_b32 v29, 2, v3 :: v_dual_bitop2_b32 v3, 4, v0 bitop3:0x54
	s_mul_f32 s12, s0, 0x4f7ffffe
	v_cmp_gt_u32_e64 s0, s7, v0
	s_delay_alu instid0(SALU_CYCLE_2)
	s_cvt_u32_f32 s12, s12
	v_lshl_add_u32 v14, s6, 2, v12
	s_sub_co_i32 s6, 0, s14
	v_cmp_gt_u32_e64 s1, s7, v3
	s_mul_i32 s20, s6, s12
	s_and_b32 s6, s0, vcc_lo
	s_mul_hi_u32 s0, s12, s20
	s_mov_b32 s20, s13
	s_and_b32 s1, vcc_lo, s1
	s_add_co_i32 s12, s12, s0
	s_branch .LBB39_10
.LBB39_8:                               ;   in Loop: Header=BB39_10 Depth=1
	s_wait_xcnt 0x0
	s_or_b32 exec_lo, exec_lo, s21
	s_wait_dscnt 0x0
	v_mov_b32_e32 v3, 1
.LBB39_9:                               ;   in Loop: Header=BB39_10 Depth=1
	s_or_b32 exec_lo, exec_lo, s0
	ds_bpermute_b32 v4, v27, v32
	s_wait_storecnt_dscnt 0x0
	v_dual_add_nc_u32 v2, v3, v2 :: v_dual_min_i32 v4, v4, v32
	ds_bpermute_b32 v11, v28, v4
	s_wait_dscnt 0x0
	v_min_i32_e32 v4, v11, v4
	ds_bpermute_b32 v11, v29, v4
	s_wait_dscnt 0x0
	v_min_i32_e32 v4, v11, v4
	;; [unrolled: 3-line block ×4, first 2 shown]
	ds_bpermute_b32 v33, v30, v4
	s_wait_dscnt 0x0
	v_cmp_le_i32_e32 vcc_lo, s5, v33
	s_or_b32 s20, vcc_lo, s20
	s_delay_alu instid0(SALU_CYCLE_1)
	s_and_not1_b32 exec_lo, exec_lo, s20
	s_cbranch_execz .LBB39_29
.LBB39_10:                              ; =>This Loop Header: Depth=1
                                        ;     Child Loop BB39_13 Depth 2
	v_dual_mov_b32 v32, s5 :: v_dual_add_nc_u32 v3, v10, v0
	v_mov_b32_e32 v19, v21
	s_mov_b32 s21, exec_lo
	ds_store_b8 v20, v5 offset:2048
	ds_store_2addr_b32 v26, v5, v5 offset1:4
	s_wait_dscnt 0x0
	v_cmpx_lt_i32_e64 v3, v21
	s_cbranch_execz .LBB39_18
; %bb.11:                               ;   in Loop: Header=BB39_10 Depth=1
	v_dual_mov_b32 v32, s5 :: v_dual_ashrrev_i32 v11, 31, v10
	v_mul_lo_u32 v18, v33, s7
	v_mov_b32_e32 v19, v21
	s_mov_b32 s22, 0
	s_delay_alu instid0(VALU_DEP_3) | instskip(NEXT) | instid1(VALU_DEP_1)
	v_add_nc_u64_e32 v[10:11], v[0:1], v[10:11]
	v_lshlrev_b64_e32 v[16:17], 2, v[10:11]
	s_delay_alu instid0(VALU_DEP_1)
	v_add_nc_u64_e32 v[10:11], s[10:11], v[16:17]
	v_add_nc_u64_e32 v[16:17], s[8:9], v[16:17]
	s_branch .LBB39_13
.LBB39_12:                              ;   in Loop: Header=BB39_13 Depth=2
	s_wait_xcnt 0x0
	s_or_b32 exec_lo, exec_lo, s0
	v_add_nc_u32_e32 v3, 4, v3
	s_xor_b32 s23, vcc_lo, -1
	v_add_nc_u64_e32 v[10:11], 16, v[10:11]
	v_add_nc_u64_e32 v[16:17], 16, v[16:17]
	s_delay_alu instid0(VALU_DEP_3) | instskip(SKIP_1) | instid1(SALU_CYCLE_1)
	v_cmp_ge_i32_e64 s0, v3, v21
	s_or_b32 s0, s23, s0
	s_and_b32 s0, exec_lo, s0
	s_delay_alu instid0(SALU_CYCLE_1) | instskip(NEXT) | instid1(SALU_CYCLE_1)
	s_or_b32 s22, s0, s22
	s_and_not1_b32 exec_lo, exec_lo, s22
	s_cbranch_execz .LBB39_17
.LBB39_13:                              ;   Parent Loop BB39_10 Depth=1
                                        ; =>  This Inner Loop Header: Depth=2
	global_load_b32 v4, v[10:11], off
	s_wait_loadcnt 0x0
	v_subrev_nc_u32_e32 v34, s18, v4
	s_delay_alu instid0(VALU_DEP_1) | instskip(NEXT) | instid1(VALU_DEP_1)
	v_sub_nc_u32_e32 v4, 0, v34
	v_max_i32_e32 v4, v34, v4
	s_delay_alu instid0(VALU_DEP_1) | instskip(NEXT) | instid1(VALU_DEP_1)
	v_mul_u64_e32 v[36:37], s[12:13], v[4:5]
	v_mul_lo_u32 v35, v37, s14
	s_delay_alu instid0(VALU_DEP_1) | instskip(NEXT) | instid1(VALU_DEP_1)
	v_dual_sub_nc_u32 v4, v4, v35 :: v_dual_add_nc_u32 v35, 1, v37
	v_cmp_le_u32_e32 vcc_lo, s14, v4
	s_delay_alu instid0(VALU_DEP_2) | instskip(SKIP_1) | instid1(VALU_DEP_1)
	v_dual_cndmask_b32 v35, v37, v35, vcc_lo :: v_dual_ashrrev_i32 v37, 31, v34
	v_subrev_nc_u32_e32 v36, s14, v4
	v_dual_cndmask_b32 v4, v4, v36, vcc_lo :: v_dual_add_nc_u32 v36, 1, v35
	s_delay_alu instid0(VALU_DEP_1) | instskip(NEXT) | instid1(VALU_DEP_2)
	v_cmp_le_u32_e32 vcc_lo, s14, v4
	v_dual_cndmask_b32 v4, v35, v36, vcc_lo :: v_dual_bitop2_b32 v37, s15, v37 bitop3:0x14
	s_delay_alu instid0(VALU_DEP_1) | instskip(NEXT) | instid1(VALU_DEP_1)
	v_xor_b32_e32 v4, v4, v37
	v_dual_mov_b32 v4, v19 :: v_dual_sub_nc_u32 v35, v4, v37
	s_delay_alu instid0(VALU_DEP_1) | instskip(SKIP_3) | instid1(SALU_CYCLE_1)
	v_cmp_ne_u32_e64 s0, v35, v33
	v_cmp_eq_u32_e32 vcc_lo, v35, v33
	s_wait_xcnt 0x0
	s_and_saveexec_b32 s23, s0
	s_xor_b32 s0, exec_lo, s23
; %bb.14:                               ;   in Loop: Header=BB39_13 Depth=2
	v_min_i32_e32 v32, v35, v32
                                        ; implicit-def: $vgpr34
                                        ; implicit-def: $vgpr4
; %bb.15:                               ;   in Loop: Header=BB39_13 Depth=2
	s_or_saveexec_b32 s0, s0
	v_mov_b32_e32 v19, v3
	s_xor_b32 exec_lo, exec_lo, s0
	s_cbranch_execz .LBB39_12
; %bb.16:                               ;   in Loop: Header=BB39_13 Depth=2
	global_load_b32 v35, v[16:17], off
	v_sub_nc_u32_e32 v19, v34, v18
	s_delay_alu instid0(VALU_DEP_1)
	v_lshl_add_u32 v34, v19, 2, v22
	v_mov_b32_e32 v19, v4
	ds_store_b8 v20, v31 offset:2048
	s_wait_loadcnt 0x0
	ds_store_b32 v34, v35
	s_branch .LBB39_12
.LBB39_17:                              ;   in Loop: Header=BB39_10 Depth=1
	s_or_b32 exec_lo, exec_lo, s22
.LBB39_18:                              ;   in Loop: Header=BB39_10 Depth=1
	s_delay_alu instid0(SALU_CYCLE_1)
	s_or_b32 exec_lo, exec_lo, s21
	ds_bpermute_b32 v3, v23, v19
	s_wait_dscnt 0x0
	ds_load_u8 v11, v20 offset:2048
	v_min_i32_e32 v3, v3, v19
	ds_bpermute_b32 v4, v24, v3
	s_wait_dscnt 0x0
	v_min_i32_e32 v3, v4, v3
	ds_bpermute_b32 v10, v25, v3
	v_and_b32_e32 v3, 1, v11
	s_delay_alu instid0(VALU_DEP_1)
	v_cmp_eq_u32_e32 vcc_lo, 1, v3
	v_mov_b32_e32 v3, 0
	s_and_saveexec_b32 s0, vcc_lo
	s_cbranch_execz .LBB39_9
; %bb.19:                               ;   in Loop: Header=BB39_10 Depth=1
	v_ashrrev_i32_e32 v3, 31, v2
	s_delay_alu instid0(VALU_DEP_1) | instskip(SKIP_3) | instid1(VALU_DEP_1)
	v_mul_u64_e32 v[16:17], s[16:17], v[2:3]
	v_add_nc_u32_e32 v3, s19, v33
	global_store_b32 v2, v3, s[2:3] scale_offset
	v_lshlrev_b64_e32 v[16:17], 2, v[16:17]
	v_add_nc_u64_e32 v[18:19], v[6:7], v[16:17]
	v_add_nc_u64_e32 v[16:17], v[8:9], v[16:17]
	s_wait_xcnt 0x0
	s_and_saveexec_b32 s21, s6
	s_cbranch_execz .LBB39_23
; %bb.20:                               ;   in Loop: Header=BB39_10 Depth=1
	ds_load_b32 v3, v26
	s_and_b32 vcc_lo, exec_lo, s4
	s_cbranch_vccz .LBB39_26
; %bb.21:                               ;   in Loop: Header=BB39_10 Depth=1
	v_lshl_add_u64 v[34:35], v[12:13], 2, v[18:19]
	s_wait_dscnt 0x0
	global_store_b32 v[34:35], v3, off
	s_cbranch_execnz .LBB39_23
.LBB39_22:                              ;   in Loop: Header=BB39_10 Depth=1
	s_wait_dscnt 0x0
	global_store_b32 v[16:17], v3, off
.LBB39_23:                              ;   in Loop: Header=BB39_10 Depth=1
	s_wait_xcnt 0x0
	s_or_b32 exec_lo, exec_lo, s21
	s_and_saveexec_b32 s21, s1
	s_cbranch_execz .LBB39_8
; %bb.24:                               ;   in Loop: Header=BB39_10 Depth=1
	s_and_not1_b32 vcc_lo, exec_lo, s4
	s_cbranch_vccnz .LBB39_27
; %bb.25:                               ;   in Loop: Header=BB39_10 Depth=1
	s_wait_dscnt 0x0
	ds_load_b32 v3, v26 offset:16
	v_lshl_add_u64 v[18:19], v[14:15], 2, v[18:19]
	s_wait_dscnt 0x0
	global_store_b32 v[18:19], v3, off
	s_cbranch_execnz .LBB39_8
	s_branch .LBB39_28
.LBB39_26:                              ;   in Loop: Header=BB39_10 Depth=1
	s_branch .LBB39_22
.LBB39_27:                              ;   in Loop: Header=BB39_10 Depth=1
.LBB39_28:                              ;   in Loop: Header=BB39_10 Depth=1
	s_wait_dscnt 0x0
	s_wait_xcnt 0x0
	ds_load_b32 v3, v26 offset:16
	s_wait_dscnt 0x0
	global_store_b32 v[16:17], v3, off offset:16
	s_branch .LBB39_8
.LBB39_29:
	s_endpgm
	.section	.rodata,"a",@progbits
	.p2align	6, 0x0
	.amdhsa_kernel _ZN9rocsparseL44csr2gebsr_wavefront_per_row_multipass_kernelILi256ELi8ELi8ELi32EfEEv20rocsparse_direction_iiiiii21rocsparse_index_base_PKT3_PKiS7_S2_PS3_PiS9_
		.amdhsa_group_segment_fixed_size 2056
		.amdhsa_private_segment_fixed_size 0
		.amdhsa_kernarg_size 88
		.amdhsa_user_sgpr_count 2
		.amdhsa_user_sgpr_dispatch_ptr 0
		.amdhsa_user_sgpr_queue_ptr 0
		.amdhsa_user_sgpr_kernarg_segment_ptr 1
		.amdhsa_user_sgpr_dispatch_id 0
		.amdhsa_user_sgpr_kernarg_preload_length 0
		.amdhsa_user_sgpr_kernarg_preload_offset 0
		.amdhsa_user_sgpr_private_segment_size 0
		.amdhsa_wavefront_size32 1
		.amdhsa_uses_dynamic_stack 0
		.amdhsa_enable_private_segment 0
		.amdhsa_system_sgpr_workgroup_id_x 1
		.amdhsa_system_sgpr_workgroup_id_y 0
		.amdhsa_system_sgpr_workgroup_id_z 0
		.amdhsa_system_sgpr_workgroup_info 0
		.amdhsa_system_vgpr_workitem_id 0
		.amdhsa_next_free_vgpr 38
		.amdhsa_next_free_sgpr 24
		.amdhsa_named_barrier_count 0
		.amdhsa_reserve_vcc 1
		.amdhsa_float_round_mode_32 0
		.amdhsa_float_round_mode_16_64 0
		.amdhsa_float_denorm_mode_32 3
		.amdhsa_float_denorm_mode_16_64 3
		.amdhsa_fp16_overflow 0
		.amdhsa_memory_ordered 1
		.amdhsa_forward_progress 1
		.amdhsa_inst_pref_size 13
		.amdhsa_round_robin_scheduling 0
		.amdhsa_exception_fp_ieee_invalid_op 0
		.amdhsa_exception_fp_denorm_src 0
		.amdhsa_exception_fp_ieee_div_zero 0
		.amdhsa_exception_fp_ieee_overflow 0
		.amdhsa_exception_fp_ieee_underflow 0
		.amdhsa_exception_fp_ieee_inexact 0
		.amdhsa_exception_int_div_zero 0
	.end_amdhsa_kernel
	.section	.text._ZN9rocsparseL44csr2gebsr_wavefront_per_row_multipass_kernelILi256ELi8ELi8ELi32EfEEv20rocsparse_direction_iiiiii21rocsparse_index_base_PKT3_PKiS7_S2_PS3_PiS9_,"axG",@progbits,_ZN9rocsparseL44csr2gebsr_wavefront_per_row_multipass_kernelILi256ELi8ELi8ELi32EfEEv20rocsparse_direction_iiiiii21rocsparse_index_base_PKT3_PKiS7_S2_PS3_PiS9_,comdat
.Lfunc_end39:
	.size	_ZN9rocsparseL44csr2gebsr_wavefront_per_row_multipass_kernelILi256ELi8ELi8ELi32EfEEv20rocsparse_direction_iiiiii21rocsparse_index_base_PKT3_PKiS7_S2_PS3_PiS9_, .Lfunc_end39-_ZN9rocsparseL44csr2gebsr_wavefront_per_row_multipass_kernelILi256ELi8ELi8ELi32EfEEv20rocsparse_direction_iiiiii21rocsparse_index_base_PKT3_PKiS7_S2_PS3_PiS9_
                                        ; -- End function
	.set _ZN9rocsparseL44csr2gebsr_wavefront_per_row_multipass_kernelILi256ELi8ELi8ELi32EfEEv20rocsparse_direction_iiiiii21rocsparse_index_base_PKT3_PKiS7_S2_PS3_PiS9_.num_vgpr, 38
	.set _ZN9rocsparseL44csr2gebsr_wavefront_per_row_multipass_kernelILi256ELi8ELi8ELi32EfEEv20rocsparse_direction_iiiiii21rocsparse_index_base_PKT3_PKiS7_S2_PS3_PiS9_.num_agpr, 0
	.set _ZN9rocsparseL44csr2gebsr_wavefront_per_row_multipass_kernelILi256ELi8ELi8ELi32EfEEv20rocsparse_direction_iiiiii21rocsparse_index_base_PKT3_PKiS7_S2_PS3_PiS9_.numbered_sgpr, 24
	.set _ZN9rocsparseL44csr2gebsr_wavefront_per_row_multipass_kernelILi256ELi8ELi8ELi32EfEEv20rocsparse_direction_iiiiii21rocsparse_index_base_PKT3_PKiS7_S2_PS3_PiS9_.num_named_barrier, 0
	.set _ZN9rocsparseL44csr2gebsr_wavefront_per_row_multipass_kernelILi256ELi8ELi8ELi32EfEEv20rocsparse_direction_iiiiii21rocsparse_index_base_PKT3_PKiS7_S2_PS3_PiS9_.private_seg_size, 0
	.set _ZN9rocsparseL44csr2gebsr_wavefront_per_row_multipass_kernelILi256ELi8ELi8ELi32EfEEv20rocsparse_direction_iiiiii21rocsparse_index_base_PKT3_PKiS7_S2_PS3_PiS9_.uses_vcc, 1
	.set _ZN9rocsparseL44csr2gebsr_wavefront_per_row_multipass_kernelILi256ELi8ELi8ELi32EfEEv20rocsparse_direction_iiiiii21rocsparse_index_base_PKT3_PKiS7_S2_PS3_PiS9_.uses_flat_scratch, 0
	.set _ZN9rocsparseL44csr2gebsr_wavefront_per_row_multipass_kernelILi256ELi8ELi8ELi32EfEEv20rocsparse_direction_iiiiii21rocsparse_index_base_PKT3_PKiS7_S2_PS3_PiS9_.has_dyn_sized_stack, 0
	.set _ZN9rocsparseL44csr2gebsr_wavefront_per_row_multipass_kernelILi256ELi8ELi8ELi32EfEEv20rocsparse_direction_iiiiii21rocsparse_index_base_PKT3_PKiS7_S2_PS3_PiS9_.has_recursion, 0
	.set _ZN9rocsparseL44csr2gebsr_wavefront_per_row_multipass_kernelILi256ELi8ELi8ELi32EfEEv20rocsparse_direction_iiiiii21rocsparse_index_base_PKT3_PKiS7_S2_PS3_PiS9_.has_indirect_call, 0
	.section	.AMDGPU.csdata,"",@progbits
; Kernel info:
; codeLenInByte = 1576
; TotalNumSgprs: 26
; NumVgprs: 38
; ScratchSize: 0
; MemoryBound: 0
; FloatMode: 240
; IeeeMode: 1
; LDSByteSize: 2056 bytes/workgroup (compile time only)
; SGPRBlocks: 0
; VGPRBlocks: 2
; NumSGPRsForWavesPerEU: 26
; NumVGPRsForWavesPerEU: 38
; NamedBarCnt: 0
; Occupancy: 16
; WaveLimiterHint : 0
; COMPUTE_PGM_RSRC2:SCRATCH_EN: 0
; COMPUTE_PGM_RSRC2:USER_SGPR: 2
; COMPUTE_PGM_RSRC2:TRAP_HANDLER: 0
; COMPUTE_PGM_RSRC2:TGID_X_EN: 1
; COMPUTE_PGM_RSRC2:TGID_Y_EN: 0
; COMPUTE_PGM_RSRC2:TGID_Z_EN: 0
; COMPUTE_PGM_RSRC2:TIDIG_COMP_CNT: 0
	.section	.text._ZN9rocsparseL44csr2gebsr_wavefront_per_row_multipass_kernelILi256ELi8ELi16ELi64EfEEv20rocsparse_direction_iiiiii21rocsparse_index_base_PKT3_PKiS7_S2_PS3_PiS9_,"axG",@progbits,_ZN9rocsparseL44csr2gebsr_wavefront_per_row_multipass_kernelILi256ELi8ELi16ELi64EfEEv20rocsparse_direction_iiiiii21rocsparse_index_base_PKT3_PKiS7_S2_PS3_PiS9_,comdat
	.globl	_ZN9rocsparseL44csr2gebsr_wavefront_per_row_multipass_kernelILi256ELi8ELi16ELi64EfEEv20rocsparse_direction_iiiiii21rocsparse_index_base_PKT3_PKiS7_S2_PS3_PiS9_ ; -- Begin function _ZN9rocsparseL44csr2gebsr_wavefront_per_row_multipass_kernelILi256ELi8ELi16ELi64EfEEv20rocsparse_direction_iiiiii21rocsparse_index_base_PKT3_PKiS7_S2_PS3_PiS9_
	.p2align	8
	.type	_ZN9rocsparseL44csr2gebsr_wavefront_per_row_multipass_kernelILi256ELi8ELi16ELi64EfEEv20rocsparse_direction_iiiiii21rocsparse_index_base_PKT3_PKiS7_S2_PS3_PiS9_,@function
_ZN9rocsparseL44csr2gebsr_wavefront_per_row_multipass_kernelILi256ELi8ELi16ELi64EfEEv20rocsparse_direction_iiiiii21rocsparse_index_base_PKT3_PKiS7_S2_PS3_PiS9_: ; @_ZN9rocsparseL44csr2gebsr_wavefront_per_row_multipass_kernelILi256ELi8ELi16ELi64EfEEv20rocsparse_direction_iiiiii21rocsparse_index_base_PKT3_PKiS7_S2_PS3_PiS9_
; %bb.0:
	s_clause 0x1
	s_load_b128 s[4:7], s[0:1], 0xc
	s_load_b64 s[12:13], s[0:1], 0x0
	s_bfe_u32 s2, ttmp6, 0x4000c
	s_and_b32 s3, ttmp6, 15
	s_add_co_i32 s2, s2, 1
	s_getreg_b32 s8, hwreg(HW_REG_IB_STS2, 6, 4)
	s_mul_i32 s2, ttmp9, s2
	v_dual_lshrrev_b32 v20, 6, v0 :: v_dual_mov_b32 v2, 0
	s_add_co_i32 s3, s3, s2
	s_cmp_eq_u32 s8, 0
	v_bfe_u32 v1, v0, 3, 3
	s_cselect_b32 s2, ttmp9, s3
	s_clause 0x1
	s_load_b32 s18, s[0:1], 0x1c
	s_load_b64 s[8:9], s[0:1], 0x28
	v_lshl_or_b32 v3, s2, 2, v20
	v_mov_b32_e32 v10, 0
	s_wait_kmcnt 0x0
	s_delay_alu instid0(VALU_DEP_2) | instskip(SKIP_1) | instid1(VALU_DEP_2)
	v_mad_u32 v4, v3, s6, v1
	v_cmp_gt_i32_e32 vcc_lo, s6, v1
	v_cmp_gt_i32_e64 s2, s13, v4
	s_and_b32 s2, vcc_lo, s2
	s_delay_alu instid0(SALU_CYCLE_1)
	s_and_saveexec_b32 s3, s2
	s_cbranch_execz .LBB40_2
; %bb.1:
	global_load_b32 v5, v4, s[8:9] scale_offset
	s_wait_loadcnt 0x0
	v_subrev_nc_u32_e32 v10, s18, v5
.LBB40_2:
	s_or_b32 exec_lo, exec_lo, s3
	v_mov_b32_e32 v21, 0
	s_and_saveexec_b32 s3, s2
	s_cbranch_execz .LBB40_4
; %bb.3:
	global_load_b32 v4, v4, s[8:9] offset:4 scale_offset
	s_wait_loadcnt 0x0
	v_subrev_nc_u32_e32 v21, s18, v4
.LBB40_4:
	s_or_b32 exec_lo, exec_lo, s3
	s_load_b32 s19, s[0:1], 0x38
	s_mov_b32 s3, exec_lo
	v_cmpx_gt_i32_e64 s4, v3
	s_cbranch_execz .LBB40_6
; %bb.5:
	s_load_b64 s[8:9], s[0:1], 0x48
	s_wait_kmcnt 0x0
	global_load_b32 v2, v3, s[8:9] scale_offset
	s_wait_loadcnt 0x0
	v_subrev_nc_u32_e32 v2, s19, v2
.LBB40_6:
	s_or_b32 exec_lo, exec_lo, s3
	s_cmp_lt_i32 s5, 1
	s_cbranch_scc1 .LBB40_29
; %bb.7:
	v_mbcnt_lo_u32_b32 v3, -1, 0
	s_clause 0x3
	s_load_b64 s[2:3], s[0:1], 0x50
	s_load_b64 s[20:21], s[0:1], 0x40
	;; [unrolled: 1-line block ×4, first 2 shown]
	s_cmp_lg_u32 s12, 0
	s_mov_b32 s13, 0
	s_cselect_b32 s4, -1, 0
	v_dual_lshlrev_b32 v7, 6, v1 :: v_dual_bitop2_b32 v4, 4, v3 bitop3:0x14
	s_mov_b32 s12, s6
	s_ashr_i32 s15, s7, 31
	s_mov_b32 s14, s7
	s_wait_xcnt 0x0
	v_cmp_gt_i32_e64 s0, 32, v4
	v_xor_b32_e32 v5, 2, v3
	v_lshl_or_b32 v22, v20, 9, v7
	s_mul_u64 s[16:17], s[14:15], s[12:13]
	s_abs_i32 s14, s7
	v_dual_cndmask_b32 v4, v3, v4, s0 :: v_dual_bitop2_b32 v6, 1, v3 bitop3:0x14
	v_cmp_gt_i32_e64 s0, 32, v5
	v_and_b32_e32 v0, 7, v0
	s_cvt_f32_u32 s1, s14
	v_lshlrev_b32_e32 v23, 2, v4
	v_lshl_or_b32 v26, v3, 2, 28
	v_cndmask_b32_e64 v5, v3, v5, s0
	v_cmp_gt_i32_e64 s0, 32, v6
	v_bfrev_b32_e32 v31, 0.5
	v_dual_mov_b32 v32, 1 :: v_dual_mov_b32 v34, 0
	s_delay_alu instid0(VALU_DEP_3) | instskip(SKIP_2) | instid1(VALU_DEP_3)
	v_dual_lshlrev_b32 v24, 2, v5 :: v_dual_cndmask_b32 v8, v3, v6, s0
	v_mul_lo_u32 v6, s7, v1
	v_dual_mov_b32 v5, 0 :: v_dual_lshlrev_b32 v4, 2, v1
	v_lshlrev_b32_e32 v25, 2, v8
	s_delay_alu instid0(VALU_DEP_2) | instskip(SKIP_1) | instid1(VALU_DEP_2)
	v_dual_mov_b32 v9, v5 :: v_dual_lshlrev_b32 v8, 2, v0
	v_dual_mov_b32 v1, v5 :: v_dual_mov_b32 v15, v5
	v_dual_ashrrev_i32 v7, 31, v6 :: v_dual_bitop2_b32 v27, v22, v8 bitop3:0x54
	s_wait_kmcnt 0x0
	s_delay_alu instid0(VALU_DEP_1) | instskip(SKIP_1) | instid1(VALU_DEP_2)
	v_lshl_add_u64 v[12:13], v[6:7], 2, s[20:21]
	v_add_nc_u64_e32 v[6:7], s[20:21], v[4:5]
	v_add_nc_u64_e32 v[8:9], v[12:13], v[8:9]
	v_xor_b32_e32 v12, 8, v3
	v_or_b32_e32 v4, 32, v3
	v_rcp_iflag_f32_e32 v13, s1
	s_delay_alu instid0(VALU_DEP_1) | instskip(NEXT) | instid1(VALU_DEP_1)
	v_cmp_gt_i32_e64 s0, 32, v4
	v_dual_cndmask_b32 v4, v3, v4, s0 :: v_dual_bitop2_b32 v11, 16, v3 bitop3:0x14
	s_delay_alu instid0(VALU_DEP_1) | instskip(NEXT) | instid1(VALU_DEP_1)
	v_cmp_gt_i32_e64 s0, 32, v11
	v_dual_lshlrev_b32 v28, 2, v4 :: v_dual_cndmask_b32 v11, v3, v11, s0
	v_cmp_gt_i32_e64 s0, 32, v12
	s_delay_alu instid0(VALU_DEP_1) | instskip(SKIP_2) | instid1(VALU_DEP_3)
	v_cndmask_b32_e64 v3, v3, v12, s0
	v_mul_lo_u32 v12, v0, s6
	v_readfirstlane_b32 s0, v13
	v_dual_mov_b32 v13, v5 :: v_dual_lshlrev_b32 v30, 2, v3
	v_or_b32_e32 v3, 8, v0
	s_mul_f32 s12, s0, 0x4f7ffffe
	v_cmp_gt_u32_e64 s0, s7, v0
	v_lshlrev_b32_e32 v29, 2, v11
	s_delay_alu instid0(SALU_CYCLE_1)
	s_cvt_u32_f32 s12, s12
	v_lshl_add_u32 v14, s6, 3, v12
	s_sub_co_i32 s6, 0, s14
	v_cmp_gt_u32_e64 s1, s7, v3
	s_mul_i32 s20, s6, s12
	s_and_b32 s6, s0, vcc_lo
	s_mul_hi_u32 s0, s12, s20
	s_mov_b32 s20, s13
	s_and_b32 s1, vcc_lo, s1
	s_add_co_i32 s12, s12, s0
	s_branch .LBB40_10
.LBB40_8:                               ;   in Loop: Header=BB40_10 Depth=1
	s_wait_xcnt 0x0
	s_or_b32 exec_lo, exec_lo, s21
	s_wait_dscnt 0x0
	v_mov_b32_e32 v3, 1
.LBB40_9:                               ;   in Loop: Header=BB40_10 Depth=1
	s_or_b32 exec_lo, exec_lo, s0
	ds_bpermute_b32 v4, v28, v33
	s_wait_storecnt_dscnt 0x0
	v_dual_add_nc_u32 v2, v3, v2 :: v_dual_min_i32 v4, v4, v33
	ds_bpermute_b32 v11, v29, v4
	s_wait_dscnt 0x0
	v_min_i32_e32 v4, v11, v4
	ds_bpermute_b32 v11, v30, v4
	s_wait_dscnt 0x0
	v_min_i32_e32 v4, v11, v4
	;; [unrolled: 3-line block ×5, first 2 shown]
	ds_bpermute_b32 v34, v31, v4
	s_wait_dscnt 0x0
	v_cmp_le_i32_e32 vcc_lo, s5, v34
	s_or_b32 s20, vcc_lo, s20
	s_delay_alu instid0(SALU_CYCLE_1)
	s_and_not1_b32 exec_lo, exec_lo, s20
	s_cbranch_execz .LBB40_29
.LBB40_10:                              ; =>This Loop Header: Depth=1
                                        ;     Child Loop BB40_13 Depth 2
	v_dual_add_nc_u32 v3, v10, v0 :: v_dual_mov_b32 v33, s5
	v_mov_b32_e32 v19, v21
	s_mov_b32 s21, exec_lo
	ds_store_b8 v20, v5 offset:2048
	ds_store_2addr_b32 v27, v5, v5 offset1:8
	s_wait_dscnt 0x0
	v_cmpx_lt_i32_e64 v3, v21
	s_cbranch_execz .LBB40_18
; %bb.11:                               ;   in Loop: Header=BB40_10 Depth=1
	v_dual_ashrrev_i32 v11, 31, v10 :: v_dual_mov_b32 v33, s5
	v_mul_lo_u32 v18, v34, s7
	v_mov_b32_e32 v19, v21
	s_mov_b32 s22, 0
	s_delay_alu instid0(VALU_DEP_3) | instskip(NEXT) | instid1(VALU_DEP_1)
	v_add_nc_u64_e32 v[10:11], v[0:1], v[10:11]
	v_lshlrev_b64_e32 v[16:17], 2, v[10:11]
	s_delay_alu instid0(VALU_DEP_1)
	v_add_nc_u64_e32 v[10:11], s[10:11], v[16:17]
	v_add_nc_u64_e32 v[16:17], s[8:9], v[16:17]
	s_branch .LBB40_13
.LBB40_12:                              ;   in Loop: Header=BB40_13 Depth=2
	s_wait_xcnt 0x0
	s_or_b32 exec_lo, exec_lo, s0
	v_add_nc_u32_e32 v3, 8, v3
	s_xor_b32 s23, vcc_lo, -1
	v_add_nc_u64_e32 v[10:11], 32, v[10:11]
	v_add_nc_u64_e32 v[16:17], 32, v[16:17]
	s_delay_alu instid0(VALU_DEP_3) | instskip(SKIP_1) | instid1(SALU_CYCLE_1)
	v_cmp_ge_i32_e64 s0, v3, v21
	s_or_b32 s0, s23, s0
	s_and_b32 s0, exec_lo, s0
	s_delay_alu instid0(SALU_CYCLE_1) | instskip(NEXT) | instid1(SALU_CYCLE_1)
	s_or_b32 s22, s0, s22
	s_and_not1_b32 exec_lo, exec_lo, s22
	s_cbranch_execz .LBB40_17
.LBB40_13:                              ;   Parent Loop BB40_10 Depth=1
                                        ; =>  This Inner Loop Header: Depth=2
	global_load_b32 v4, v[10:11], off
	s_wait_loadcnt 0x0
	v_subrev_nc_u32_e32 v35, s18, v4
	s_delay_alu instid0(VALU_DEP_1) | instskip(NEXT) | instid1(VALU_DEP_1)
	v_sub_nc_u32_e32 v4, 0, v35
	v_max_i32_e32 v4, v35, v4
	s_delay_alu instid0(VALU_DEP_1) | instskip(NEXT) | instid1(VALU_DEP_1)
	v_mul_u64_e32 v[36:37], s[12:13], v[4:5]
	v_mul_lo_u32 v36, v37, s14
	s_delay_alu instid0(VALU_DEP_1) | instskip(NEXT) | instid1(VALU_DEP_1)
	v_dual_sub_nc_u32 v4, v4, v36 :: v_dual_add_nc_u32 v36, 1, v37
	v_cmp_le_u32_e32 vcc_lo, s14, v4
	s_delay_alu instid0(VALU_DEP_2) | instskip(SKIP_1) | instid1(VALU_DEP_1)
	v_cndmask_b32_e32 v36, v37, v36, vcc_lo
	v_subrev_nc_u32_e32 v38, s14, v4
	v_dual_cndmask_b32 v4, v4, v38 :: v_dual_ashrrev_i32 v37, 31, v35
	s_delay_alu instid0(VALU_DEP_3) | instskip(NEXT) | instid1(VALU_DEP_2)
	v_add_nc_u32_e32 v38, 1, v36
	v_cmp_le_u32_e32 vcc_lo, s14, v4
	s_delay_alu instid0(VALU_DEP_2) | instskip(NEXT) | instid1(VALU_DEP_1)
	v_dual_cndmask_b32 v4, v36, v38, vcc_lo :: v_dual_bitop2_b32 v37, s15, v37 bitop3:0x14
	v_xor_b32_e32 v4, v4, v37
	s_delay_alu instid0(VALU_DEP_1) | instskip(NEXT) | instid1(VALU_DEP_1)
	v_dual_sub_nc_u32 v36, v4, v37 :: v_dual_mov_b32 v4, v19
	v_cmp_ne_u32_e64 s0, v36, v34
	v_cmp_eq_u32_e32 vcc_lo, v36, v34
	s_wait_xcnt 0x0
	s_and_saveexec_b32 s23, s0
	s_delay_alu instid0(SALU_CYCLE_1)
	s_xor_b32 s0, exec_lo, s23
; %bb.14:                               ;   in Loop: Header=BB40_13 Depth=2
	v_min_i32_e32 v33, v36, v33
                                        ; implicit-def: $vgpr35
                                        ; implicit-def: $vgpr4
; %bb.15:                               ;   in Loop: Header=BB40_13 Depth=2
	s_or_saveexec_b32 s0, s0
	v_mov_b32_e32 v19, v3
	s_xor_b32 exec_lo, exec_lo, s0
	s_cbranch_execz .LBB40_12
; %bb.16:                               ;   in Loop: Header=BB40_13 Depth=2
	global_load_b32 v36, v[16:17], off
	v_sub_nc_u32_e32 v19, v35, v18
	s_delay_alu instid0(VALU_DEP_1)
	v_lshl_add_u32 v35, v19, 2, v22
	v_mov_b32_e32 v19, v4
	ds_store_b8 v20, v32 offset:2048
	s_wait_loadcnt 0x0
	ds_store_b32 v35, v36
	s_branch .LBB40_12
.LBB40_17:                              ;   in Loop: Header=BB40_10 Depth=1
	s_or_b32 exec_lo, exec_lo, s22
.LBB40_18:                              ;   in Loop: Header=BB40_10 Depth=1
	s_delay_alu instid0(SALU_CYCLE_1)
	s_or_b32 exec_lo, exec_lo, s21
	ds_bpermute_b32 v3, v23, v19
	s_wait_dscnt 0x0
	ds_load_u8 v11, v20 offset:2048
	v_min_i32_e32 v3, v3, v19
	ds_bpermute_b32 v4, v24, v3
	s_wait_dscnt 0x0
	v_min_i32_e32 v3, v4, v3
	ds_bpermute_b32 v4, v25, v3
	s_wait_dscnt 0x0
	v_min_i32_e32 v3, v4, v3
	ds_bpermute_b32 v10, v26, v3
	v_and_b32_e32 v3, 1, v11
	s_delay_alu instid0(VALU_DEP_1)
	v_cmp_eq_u32_e32 vcc_lo, 1, v3
	v_mov_b32_e32 v3, 0
	s_and_saveexec_b32 s0, vcc_lo
	s_cbranch_execz .LBB40_9
; %bb.19:                               ;   in Loop: Header=BB40_10 Depth=1
	v_ashrrev_i32_e32 v3, 31, v2
	s_delay_alu instid0(VALU_DEP_1) | instskip(SKIP_3) | instid1(VALU_DEP_1)
	v_mul_u64_e32 v[16:17], s[16:17], v[2:3]
	v_add_nc_u32_e32 v3, s19, v34
	global_store_b32 v2, v3, s[2:3] scale_offset
	v_lshlrev_b64_e32 v[16:17], 2, v[16:17]
	v_add_nc_u64_e32 v[18:19], v[6:7], v[16:17]
	v_add_nc_u64_e32 v[16:17], v[8:9], v[16:17]
	s_wait_xcnt 0x0
	s_and_saveexec_b32 s21, s6
	s_cbranch_execz .LBB40_23
; %bb.20:                               ;   in Loop: Header=BB40_10 Depth=1
	ds_load_b32 v3, v27
	s_and_b32 vcc_lo, exec_lo, s4
	s_cbranch_vccz .LBB40_26
; %bb.21:                               ;   in Loop: Header=BB40_10 Depth=1
	v_lshl_add_u64 v[34:35], v[12:13], 2, v[18:19]
	s_wait_dscnt 0x0
	global_store_b32 v[34:35], v3, off
	s_cbranch_execnz .LBB40_23
.LBB40_22:                              ;   in Loop: Header=BB40_10 Depth=1
	s_wait_dscnt 0x0
	global_store_b32 v[16:17], v3, off
.LBB40_23:                              ;   in Loop: Header=BB40_10 Depth=1
	s_wait_xcnt 0x0
	s_or_b32 exec_lo, exec_lo, s21
	s_and_saveexec_b32 s21, s1
	s_cbranch_execz .LBB40_8
; %bb.24:                               ;   in Loop: Header=BB40_10 Depth=1
	s_and_not1_b32 vcc_lo, exec_lo, s4
	s_cbranch_vccnz .LBB40_27
; %bb.25:                               ;   in Loop: Header=BB40_10 Depth=1
	s_wait_dscnt 0x0
	ds_load_b32 v3, v27 offset:32
	v_lshl_add_u64 v[18:19], v[14:15], 2, v[18:19]
	s_wait_dscnt 0x0
	global_store_b32 v[18:19], v3, off
	s_cbranch_execnz .LBB40_8
	s_branch .LBB40_28
.LBB40_26:                              ;   in Loop: Header=BB40_10 Depth=1
	s_branch .LBB40_22
.LBB40_27:                              ;   in Loop: Header=BB40_10 Depth=1
.LBB40_28:                              ;   in Loop: Header=BB40_10 Depth=1
	s_wait_dscnt 0x0
	s_wait_xcnt 0x0
	ds_load_b32 v3, v27 offset:32
	s_wait_dscnt 0x0
	global_store_b32 v[16:17], v3, off offset:32
	s_branch .LBB40_8
.LBB40_29:
	s_endpgm
	.section	.rodata,"a",@progbits
	.p2align	6, 0x0
	.amdhsa_kernel _ZN9rocsparseL44csr2gebsr_wavefront_per_row_multipass_kernelILi256ELi8ELi16ELi64EfEEv20rocsparse_direction_iiiiii21rocsparse_index_base_PKT3_PKiS7_S2_PS3_PiS9_
		.amdhsa_group_segment_fixed_size 2052
		.amdhsa_private_segment_fixed_size 0
		.amdhsa_kernarg_size 88
		.amdhsa_user_sgpr_count 2
		.amdhsa_user_sgpr_dispatch_ptr 0
		.amdhsa_user_sgpr_queue_ptr 0
		.amdhsa_user_sgpr_kernarg_segment_ptr 1
		.amdhsa_user_sgpr_dispatch_id 0
		.amdhsa_user_sgpr_kernarg_preload_length 0
		.amdhsa_user_sgpr_kernarg_preload_offset 0
		.amdhsa_user_sgpr_private_segment_size 0
		.amdhsa_wavefront_size32 1
		.amdhsa_uses_dynamic_stack 0
		.amdhsa_enable_private_segment 0
		.amdhsa_system_sgpr_workgroup_id_x 1
		.amdhsa_system_sgpr_workgroup_id_y 0
		.amdhsa_system_sgpr_workgroup_id_z 0
		.amdhsa_system_sgpr_workgroup_info 0
		.amdhsa_system_vgpr_workitem_id 0
		.amdhsa_next_free_vgpr 39
		.amdhsa_next_free_sgpr 24
		.amdhsa_named_barrier_count 0
		.amdhsa_reserve_vcc 1
		.amdhsa_float_round_mode_32 0
		.amdhsa_float_round_mode_16_64 0
		.amdhsa_float_denorm_mode_32 3
		.amdhsa_float_denorm_mode_16_64 3
		.amdhsa_fp16_overflow 0
		.amdhsa_memory_ordered 1
		.amdhsa_forward_progress 1
		.amdhsa_inst_pref_size 13
		.amdhsa_round_robin_scheduling 0
		.amdhsa_exception_fp_ieee_invalid_op 0
		.amdhsa_exception_fp_denorm_src 0
		.amdhsa_exception_fp_ieee_div_zero 0
		.amdhsa_exception_fp_ieee_overflow 0
		.amdhsa_exception_fp_ieee_underflow 0
		.amdhsa_exception_fp_ieee_inexact 0
		.amdhsa_exception_int_div_zero 0
	.end_amdhsa_kernel
	.section	.text._ZN9rocsparseL44csr2gebsr_wavefront_per_row_multipass_kernelILi256ELi8ELi16ELi64EfEEv20rocsparse_direction_iiiiii21rocsparse_index_base_PKT3_PKiS7_S2_PS3_PiS9_,"axG",@progbits,_ZN9rocsparseL44csr2gebsr_wavefront_per_row_multipass_kernelILi256ELi8ELi16ELi64EfEEv20rocsparse_direction_iiiiii21rocsparse_index_base_PKT3_PKiS7_S2_PS3_PiS9_,comdat
.Lfunc_end40:
	.size	_ZN9rocsparseL44csr2gebsr_wavefront_per_row_multipass_kernelILi256ELi8ELi16ELi64EfEEv20rocsparse_direction_iiiiii21rocsparse_index_base_PKT3_PKiS7_S2_PS3_PiS9_, .Lfunc_end40-_ZN9rocsparseL44csr2gebsr_wavefront_per_row_multipass_kernelILi256ELi8ELi16ELi64EfEEv20rocsparse_direction_iiiiii21rocsparse_index_base_PKT3_PKiS7_S2_PS3_PiS9_
                                        ; -- End function
	.set _ZN9rocsparseL44csr2gebsr_wavefront_per_row_multipass_kernelILi256ELi8ELi16ELi64EfEEv20rocsparse_direction_iiiiii21rocsparse_index_base_PKT3_PKiS7_S2_PS3_PiS9_.num_vgpr, 39
	.set _ZN9rocsparseL44csr2gebsr_wavefront_per_row_multipass_kernelILi256ELi8ELi16ELi64EfEEv20rocsparse_direction_iiiiii21rocsparse_index_base_PKT3_PKiS7_S2_PS3_PiS9_.num_agpr, 0
	.set _ZN9rocsparseL44csr2gebsr_wavefront_per_row_multipass_kernelILi256ELi8ELi16ELi64EfEEv20rocsparse_direction_iiiiii21rocsparse_index_base_PKT3_PKiS7_S2_PS3_PiS9_.numbered_sgpr, 24
	.set _ZN9rocsparseL44csr2gebsr_wavefront_per_row_multipass_kernelILi256ELi8ELi16ELi64EfEEv20rocsparse_direction_iiiiii21rocsparse_index_base_PKT3_PKiS7_S2_PS3_PiS9_.num_named_barrier, 0
	.set _ZN9rocsparseL44csr2gebsr_wavefront_per_row_multipass_kernelILi256ELi8ELi16ELi64EfEEv20rocsparse_direction_iiiiii21rocsparse_index_base_PKT3_PKiS7_S2_PS3_PiS9_.private_seg_size, 0
	.set _ZN9rocsparseL44csr2gebsr_wavefront_per_row_multipass_kernelILi256ELi8ELi16ELi64EfEEv20rocsparse_direction_iiiiii21rocsparse_index_base_PKT3_PKiS7_S2_PS3_PiS9_.uses_vcc, 1
	.set _ZN9rocsparseL44csr2gebsr_wavefront_per_row_multipass_kernelILi256ELi8ELi16ELi64EfEEv20rocsparse_direction_iiiiii21rocsparse_index_base_PKT3_PKiS7_S2_PS3_PiS9_.uses_flat_scratch, 0
	.set _ZN9rocsparseL44csr2gebsr_wavefront_per_row_multipass_kernelILi256ELi8ELi16ELi64EfEEv20rocsparse_direction_iiiiii21rocsparse_index_base_PKT3_PKiS7_S2_PS3_PiS9_.has_dyn_sized_stack, 0
	.set _ZN9rocsparseL44csr2gebsr_wavefront_per_row_multipass_kernelILi256ELi8ELi16ELi64EfEEv20rocsparse_direction_iiiiii21rocsparse_index_base_PKT3_PKiS7_S2_PS3_PiS9_.has_recursion, 0
	.set _ZN9rocsparseL44csr2gebsr_wavefront_per_row_multipass_kernelILi256ELi8ELi16ELi64EfEEv20rocsparse_direction_iiiiii21rocsparse_index_base_PKT3_PKiS7_S2_PS3_PiS9_.has_indirect_call, 0
	.section	.AMDGPU.csdata,"",@progbits
; Kernel info:
; codeLenInByte = 1628
; TotalNumSgprs: 26
; NumVgprs: 39
; ScratchSize: 0
; MemoryBound: 0
; FloatMode: 240
; IeeeMode: 1
; LDSByteSize: 2052 bytes/workgroup (compile time only)
; SGPRBlocks: 0
; VGPRBlocks: 2
; NumSGPRsForWavesPerEU: 26
; NumVGPRsForWavesPerEU: 39
; NamedBarCnt: 0
; Occupancy: 16
; WaveLimiterHint : 0
; COMPUTE_PGM_RSRC2:SCRATCH_EN: 0
; COMPUTE_PGM_RSRC2:USER_SGPR: 2
; COMPUTE_PGM_RSRC2:TRAP_HANDLER: 0
; COMPUTE_PGM_RSRC2:TGID_X_EN: 1
; COMPUTE_PGM_RSRC2:TGID_Y_EN: 0
; COMPUTE_PGM_RSRC2:TGID_Z_EN: 0
; COMPUTE_PGM_RSRC2:TIDIG_COMP_CNT: 0
	.section	.text._ZN9rocsparseL44csr2gebsr_wavefront_per_row_multipass_kernelILi256ELi8ELi16ELi32EfEEv20rocsparse_direction_iiiiii21rocsparse_index_base_PKT3_PKiS7_S2_PS3_PiS9_,"axG",@progbits,_ZN9rocsparseL44csr2gebsr_wavefront_per_row_multipass_kernelILi256ELi8ELi16ELi32EfEEv20rocsparse_direction_iiiiii21rocsparse_index_base_PKT3_PKiS7_S2_PS3_PiS9_,comdat
	.globl	_ZN9rocsparseL44csr2gebsr_wavefront_per_row_multipass_kernelILi256ELi8ELi16ELi32EfEEv20rocsparse_direction_iiiiii21rocsparse_index_base_PKT3_PKiS7_S2_PS3_PiS9_ ; -- Begin function _ZN9rocsparseL44csr2gebsr_wavefront_per_row_multipass_kernelILi256ELi8ELi16ELi32EfEEv20rocsparse_direction_iiiiii21rocsparse_index_base_PKT3_PKiS7_S2_PS3_PiS9_
	.p2align	8
	.type	_ZN9rocsparseL44csr2gebsr_wavefront_per_row_multipass_kernelILi256ELi8ELi16ELi32EfEEv20rocsparse_direction_iiiiii21rocsparse_index_base_PKT3_PKiS7_S2_PS3_PiS9_,@function
_ZN9rocsparseL44csr2gebsr_wavefront_per_row_multipass_kernelILi256ELi8ELi16ELi32EfEEv20rocsparse_direction_iiiiii21rocsparse_index_base_PKT3_PKiS7_S2_PS3_PiS9_: ; @_ZN9rocsparseL44csr2gebsr_wavefront_per_row_multipass_kernelILi256ELi8ELi16ELi32EfEEv20rocsparse_direction_iiiiii21rocsparse_index_base_PKT3_PKiS7_S2_PS3_PiS9_
; %bb.0:
	s_clause 0x1
	s_load_b128 s[4:7], s[0:1], 0xc
	s_load_b64 s[14:15], s[0:1], 0x0
	s_bfe_u32 s2, ttmp6, 0x4000c
	s_and_b32 s3, ttmp6, 15
	s_add_co_i32 s2, s2, 1
	s_getreg_b32 s8, hwreg(HW_REG_IB_STS2, 6, 4)
	s_mul_i32 s2, ttmp9, s2
	v_dual_lshrrev_b32 v24, 5, v0 :: v_dual_mov_b32 v2, 0
	s_add_co_i32 s3, s3, s2
	s_cmp_eq_u32 s8, 0
	v_bfe_u32 v1, v0, 2, 3
	s_cselect_b32 s2, ttmp9, s3
	s_clause 0x1
	s_load_b32 s20, s[0:1], 0x1c
	s_load_b64 s[8:9], s[0:1], 0x28
	v_lshl_or_b32 v3, s2, 3, v24
	v_mov_b32_e32 v10, 0
	s_wait_kmcnt 0x0
	s_delay_alu instid0(VALU_DEP_2) | instskip(SKIP_1) | instid1(VALU_DEP_2)
	v_mad_u32 v4, v3, s6, v1
	v_cmp_gt_i32_e32 vcc_lo, s6, v1
	v_cmp_gt_i32_e64 s2, s15, v4
	s_and_b32 s2, vcc_lo, s2
	s_delay_alu instid0(SALU_CYCLE_1)
	s_and_saveexec_b32 s3, s2
	s_cbranch_execz .LBB41_2
; %bb.1:
	global_load_b32 v5, v4, s[8:9] scale_offset
	s_wait_loadcnt 0x0
	v_subrev_nc_u32_e32 v10, s20, v5
.LBB41_2:
	s_or_b32 exec_lo, exec_lo, s3
	v_mov_b32_e32 v25, 0
	s_and_saveexec_b32 s3, s2
	s_cbranch_execz .LBB41_4
; %bb.3:
	global_load_b32 v4, v4, s[8:9] offset:4 scale_offset
	s_wait_loadcnt 0x0
	v_subrev_nc_u32_e32 v25, s20, v4
.LBB41_4:
	s_or_b32 exec_lo, exec_lo, s3
	s_load_b32 s21, s[0:1], 0x38
	s_mov_b32 s3, exec_lo
	v_cmpx_gt_i32_e64 s4, v3
	s_cbranch_execz .LBB41_6
; %bb.5:
	s_load_b64 s[8:9], s[0:1], 0x48
	s_wait_kmcnt 0x0
	global_load_b32 v2, v3, s[8:9] scale_offset
	s_wait_loadcnt 0x0
	v_subrev_nc_u32_e32 v2, s21, v2
.LBB41_6:
	s_or_b32 exec_lo, exec_lo, s3
	s_cmp_lt_i32 s5, 1
	s_cbranch_scc1 .LBB41_39
; %bb.7:
	v_mbcnt_lo_u32_b32 v3, -1, 0
	s_clause 0x3
	s_load_b64 s[8:9], s[0:1], 0x50
	s_load_b64 s[2:3], s[0:1], 0x40
	s_load_b64 s[10:11], s[0:1], 0x20
	s_load_b64 s[12:13], s[0:1], 0x30
	v_mul_lo_u32 v12, s7, v1
	s_cmp_lg_u32 s14, 0
	s_mov_b32 s15, 0
	v_dual_lshlrev_b32 v6, 6, v1 :: v_dual_bitop2_b32 v4, 2, v3 bitop3:0x14
	s_cselect_b32 s4, -1, 0
	s_mov_b32 s14, s6
	s_ashr_i32 s17, s7, 31
	s_wait_xcnt 0x0
	v_cmp_gt_i32_e64 s0, 32, v4
	v_xor_b32_e32 v5, 1, v3
	v_lshl_or_b32 v26, v24, 9, v6
	s_mov_b32 s16, s7
	v_lshl_or_b32 v29, v3, 2, 12
	v_cndmask_b32_e64 v4, v3, v4, s0
	v_cmp_gt_i32_e64 s0, 32, v5
	v_and_b32_e32 v0, 3, v0
	s_mul_u64 s[18:19], s[16:17], s[14:15]
	s_abs_i32 s16, s7
	v_dual_mov_b32 v37, 0 :: v_dual_cndmask_b32 v5, v3, v5, s0
	s_delay_alu instid0(VALU_DEP_2) | instskip(SKIP_2) | instid1(VALU_DEP_2)
	v_lshlrev_b32_e32 v8, 2, v0
	v_dual_lshlrev_b32 v27, 2, v4 :: v_dual_lshlrev_b32 v4, 2, v1
	s_cvt_f32_u32 s1, s16
	v_dual_lshlrev_b32 v28, 2, v5 :: v_dual_bitop2_b32 v30, v26, v8 bitop3:0x54
	v_dual_mov_b32 v5, 0 :: v_dual_ashrrev_i32 v13, 31, v12
	v_mov_b32_e32 v35, 1
	s_mov_b32 s22, s15
	v_mov_b32_e32 v34, 0x7c
	s_wait_kmcnt 0x0
	v_add_nc_u64_e32 v[6:7], s[2:3], v[4:5]
	v_dual_mov_b32 v9, v5 :: v_dual_bitop2_b32 v4, 16, v3 bitop3:0x14
	v_mov_b32_e32 v1, v5
	v_lshl_add_u64 v[12:13], v[12:13], 2, s[2:3]
	v_mov_b32_e32 v19, v5
	s_delay_alu instid0(VALU_DEP_4) | instskip(SKIP_1) | instid1(VALU_DEP_4)
	v_cmp_gt_i32_e64 s0, 32, v4
	v_dual_mov_b32 v15, v5 :: v_dual_bitop2_b32 v11, 8, v3 bitop3:0x14
	v_add_nc_u64_e32 v[8:9], v[12:13], v[8:9]
	v_mul_lo_u32 v12, v0, s6
	s_delay_alu instid0(VALU_DEP_4) | instskip(NEXT) | instid1(VALU_DEP_4)
	v_dual_cndmask_b32 v4, v3, v4, s0 :: v_dual_bitop2_b32 v14, 4, v3 bitop3:0x14
	v_cmp_gt_i32_e64 s0, 32, v11
	s_lshl_b32 s6, s6, 2
	v_dual_mov_b32 v13, v5 :: v_dual_lshlrev_b32 v31, 2, v4
	v_rcp_iflag_f32_e32 v4, s1
	v_cndmask_b32_e64 v11, v3, v11, s0
	v_cmp_gt_i32_e64 s0, 32, v14
	s_delay_alu instid0(VALU_DEP_1) | instskip(NEXT) | instid1(TRANS32_DEP_1)
	v_cndmask_b32_e64 v3, v3, v14, s0
	v_readfirstlane_b32 s3, v4
	s_delay_alu instid0(VALU_DEP_4) | instskip(SKIP_1) | instid1(VALU_DEP_4)
	v_dual_add_nc_u32 v14, s6, v12 :: v_dual_lshlrev_b32 v32, 2, v11
	v_cmp_gt_u32_e64 s0, s7, v0
	v_dual_lshlrev_b32 v33, 2, v3 :: v_dual_bitop2_b32 v3, 4, v0 bitop3:0x54
	s_mul_f32 s14, s3, 0x4f7ffffe
	v_dual_add_nc_u32 v16, s6, v14 :: v_dual_bitop2_b32 v4, 12, v0 bitop3:0x54
	v_mov_b32_e32 v17, v5
	s_delay_alu instid0(VALU_DEP_3)
	v_cmp_gt_u32_e64 s1, s7, v3
	v_or_b32_e32 v3, 8, v0
	s_cvt_u32_f32 s14, s14
	v_add_nc_u32_e32 v18, s6, v16
	s_and_b32 s6, s0, vcc_lo
	s_sub_co_i32 s0, 0, s16
	v_cmp_gt_u32_e64 s2, s7, v3
	v_cmp_gt_u32_e64 s3, s7, v4
	s_mul_i32 s0, s0, s14
	s_and_b32 s1, vcc_lo, s1
	s_mul_hi_u32 s0, s14, s0
	s_and_b32 s2, vcc_lo, s2
	s_and_b32 s3, vcc_lo, s3
	s_add_co_i32 s14, s14, s0
	s_branch .LBB41_10
.LBB41_8:                               ;   in Loop: Header=BB41_10 Depth=1
	s_wait_xcnt 0x0
	s_or_b32 exec_lo, exec_lo, s23
	s_wait_dscnt 0x0
	v_mov_b32_e32 v3, 1
.LBB41_9:                               ;   in Loop: Header=BB41_10 Depth=1
	s_or_b32 exec_lo, exec_lo, s0
	ds_bpermute_b32 v4, v31, v36
	s_wait_storecnt_dscnt 0x0
	v_dual_add_nc_u32 v2, v3, v2 :: v_dual_min_i32 v4, v4, v36
	ds_bpermute_b32 v11, v32, v4
	s_wait_dscnt 0x0
	v_min_i32_e32 v4, v11, v4
	ds_bpermute_b32 v11, v33, v4
	s_wait_dscnt 0x0
	v_min_i32_e32 v4, v11, v4
	;; [unrolled: 3-line block ×4, first 2 shown]
	ds_bpermute_b32 v37, v34, v4
	s_wait_dscnt 0x0
	v_cmp_le_i32_e32 vcc_lo, s5, v37
	s_or_b32 s22, vcc_lo, s22
	s_delay_alu instid0(SALU_CYCLE_1)
	s_and_not1_b32 exec_lo, exec_lo, s22
	s_cbranch_execz .LBB41_39
.LBB41_10:                              ; =>This Loop Header: Depth=1
                                        ;     Child Loop BB41_13 Depth 2
	v_dual_mov_b32 v36, s5 :: v_dual_add_nc_u32 v3, v10, v0
	v_mov_b32_e32 v23, v25
	s_mov_b32 s23, exec_lo
	ds_store_b8 v24, v5 offset:4096
	ds_store_2addr_b32 v30, v5, v5 offset1:4
	ds_store_2addr_b32 v30, v5, v5 offset0:8 offset1:12
	s_wait_dscnt 0x0
	v_cmpx_lt_i32_e64 v3, v25
	s_cbranch_execz .LBB41_18
; %bb.11:                               ;   in Loop: Header=BB41_10 Depth=1
	v_dual_mov_b32 v36, s5 :: v_dual_ashrrev_i32 v11, 31, v10
	v_mul_lo_u32 v22, v37, s7
	v_mov_b32_e32 v23, v25
	s_mov_b32 s24, 0
	s_delay_alu instid0(VALU_DEP_3) | instskip(NEXT) | instid1(VALU_DEP_1)
	v_add_nc_u64_e32 v[10:11], v[0:1], v[10:11]
	v_lshlrev_b64_e32 v[20:21], 2, v[10:11]
	s_delay_alu instid0(VALU_DEP_1)
	v_add_nc_u64_e32 v[10:11], s[12:13], v[20:21]
	v_add_nc_u64_e32 v[20:21], s[10:11], v[20:21]
	s_branch .LBB41_13
.LBB41_12:                              ;   in Loop: Header=BB41_13 Depth=2
	s_wait_xcnt 0x0
	s_or_b32 exec_lo, exec_lo, s0
	v_add_nc_u32_e32 v3, 4, v3
	s_xor_b32 s25, vcc_lo, -1
	v_add_nc_u64_e32 v[10:11], 16, v[10:11]
	v_add_nc_u64_e32 v[20:21], 16, v[20:21]
	s_delay_alu instid0(VALU_DEP_3) | instskip(SKIP_1) | instid1(SALU_CYCLE_1)
	v_cmp_ge_i32_e64 s0, v3, v25
	s_or_b32 s0, s25, s0
	s_and_b32 s0, exec_lo, s0
	s_delay_alu instid0(SALU_CYCLE_1) | instskip(NEXT) | instid1(SALU_CYCLE_1)
	s_or_b32 s24, s0, s24
	s_and_not1_b32 exec_lo, exec_lo, s24
	s_cbranch_execz .LBB41_17
.LBB41_13:                              ;   Parent Loop BB41_10 Depth=1
                                        ; =>  This Inner Loop Header: Depth=2
	global_load_b32 v4, v[10:11], off
	s_wait_loadcnt 0x0
	v_subrev_nc_u32_e32 v38, s20, v4
	s_delay_alu instid0(VALU_DEP_1) | instskip(NEXT) | instid1(VALU_DEP_1)
	v_sub_nc_u32_e32 v4, 0, v38
	v_max_i32_e32 v4, v38, v4
	s_delay_alu instid0(VALU_DEP_1) | instskip(NEXT) | instid1(VALU_DEP_1)
	v_mul_u64_e32 v[40:41], s[14:15], v[4:5]
	v_mul_lo_u32 v39, v41, s16
	s_delay_alu instid0(VALU_DEP_1) | instskip(NEXT) | instid1(VALU_DEP_1)
	v_dual_sub_nc_u32 v4, v4, v39 :: v_dual_add_nc_u32 v39, 1, v41
	v_cmp_le_u32_e32 vcc_lo, s16, v4
	s_delay_alu instid0(VALU_DEP_2) | instskip(SKIP_1) | instid1(VALU_DEP_1)
	v_dual_cndmask_b32 v39, v41, v39, vcc_lo :: v_dual_ashrrev_i32 v41, 31, v38
	v_subrev_nc_u32_e32 v40, s16, v4
	v_dual_cndmask_b32 v4, v4, v40, vcc_lo :: v_dual_add_nc_u32 v40, 1, v39
	s_delay_alu instid0(VALU_DEP_1) | instskip(NEXT) | instid1(VALU_DEP_2)
	v_cmp_le_u32_e32 vcc_lo, s16, v4
	v_dual_cndmask_b32 v4, v39, v40, vcc_lo :: v_dual_bitop2_b32 v41, s17, v41 bitop3:0x14
	s_delay_alu instid0(VALU_DEP_1) | instskip(NEXT) | instid1(VALU_DEP_1)
	v_xor_b32_e32 v4, v4, v41
	v_dual_mov_b32 v4, v23 :: v_dual_sub_nc_u32 v39, v4, v41
	s_delay_alu instid0(VALU_DEP_1) | instskip(SKIP_3) | instid1(SALU_CYCLE_1)
	v_cmp_ne_u32_e64 s0, v39, v37
	v_cmp_eq_u32_e32 vcc_lo, v39, v37
	s_wait_xcnt 0x0
	s_and_saveexec_b32 s25, s0
	s_xor_b32 s0, exec_lo, s25
; %bb.14:                               ;   in Loop: Header=BB41_13 Depth=2
	v_min_i32_e32 v36, v39, v36
                                        ; implicit-def: $vgpr38
                                        ; implicit-def: $vgpr4
; %bb.15:                               ;   in Loop: Header=BB41_13 Depth=2
	s_or_saveexec_b32 s0, s0
	v_mov_b32_e32 v23, v3
	s_xor_b32 exec_lo, exec_lo, s0
	s_cbranch_execz .LBB41_12
; %bb.16:                               ;   in Loop: Header=BB41_13 Depth=2
	global_load_b32 v39, v[20:21], off
	v_sub_nc_u32_e32 v23, v38, v22
	s_delay_alu instid0(VALU_DEP_1)
	v_lshl_add_u32 v38, v23, 2, v26
	v_mov_b32_e32 v23, v4
	ds_store_b8 v24, v35 offset:4096
	s_wait_loadcnt 0x0
	ds_store_b32 v38, v39
	s_branch .LBB41_12
.LBB41_17:                              ;   in Loop: Header=BB41_10 Depth=1
	s_or_b32 exec_lo, exec_lo, s24
.LBB41_18:                              ;   in Loop: Header=BB41_10 Depth=1
	s_delay_alu instid0(SALU_CYCLE_1)
	s_or_b32 exec_lo, exec_lo, s23
	ds_bpermute_b32 v3, v27, v23
	s_wait_dscnt 0x0
	ds_load_u8 v11, v24 offset:4096
	v_min_i32_e32 v3, v3, v23
	ds_bpermute_b32 v4, v28, v3
	s_wait_dscnt 0x0
	v_min_i32_e32 v3, v4, v3
	ds_bpermute_b32 v10, v29, v3
	v_and_b32_e32 v3, 1, v11
	s_delay_alu instid0(VALU_DEP_1)
	v_cmp_eq_u32_e32 vcc_lo, 1, v3
	v_mov_b32_e32 v3, 0
	s_and_saveexec_b32 s0, vcc_lo
	s_cbranch_execz .LBB41_9
; %bb.19:                               ;   in Loop: Header=BB41_10 Depth=1
	v_ashrrev_i32_e32 v3, 31, v2
	s_delay_alu instid0(VALU_DEP_1) | instskip(SKIP_3) | instid1(VALU_DEP_1)
	v_mul_u64_e32 v[20:21], s[18:19], v[2:3]
	v_add_nc_u32_e32 v3, s21, v37
	global_store_b32 v2, v3, s[8:9] scale_offset
	v_lshlrev_b64_e32 v[20:21], 2, v[20:21]
	v_add_nc_u64_e32 v[22:23], v[6:7], v[20:21]
	v_add_nc_u64_e32 v[20:21], v[8:9], v[20:21]
	s_wait_xcnt 0x0
	s_and_saveexec_b32 s23, s6
	s_cbranch_execz .LBB41_23
; %bb.20:                               ;   in Loop: Header=BB41_10 Depth=1
	ds_load_b32 v3, v30
	s_and_b32 vcc_lo, exec_lo, s4
	s_cbranch_vccz .LBB41_34
; %bb.21:                               ;   in Loop: Header=BB41_10 Depth=1
	v_lshl_add_u64 v[38:39], v[12:13], 2, v[22:23]
	s_wait_dscnt 0x0
	global_store_b32 v[38:39], v3, off
	s_cbranch_execnz .LBB41_23
.LBB41_22:                              ;   in Loop: Header=BB41_10 Depth=1
	s_wait_dscnt 0x0
	global_store_b32 v[20:21], v3, off
.LBB41_23:                              ;   in Loop: Header=BB41_10 Depth=1
	s_wait_xcnt 0x0
	s_or_b32 exec_lo, exec_lo, s23
	s_and_saveexec_b32 s23, s1
	s_cbranch_execz .LBB41_27
; %bb.24:                               ;   in Loop: Header=BB41_10 Depth=1
	s_and_not1_b32 vcc_lo, exec_lo, s4
	s_cbranch_vccnz .LBB41_35
; %bb.25:                               ;   in Loop: Header=BB41_10 Depth=1
	s_wait_dscnt 0x0
	ds_load_b32 v3, v30 offset:16
	v_lshl_add_u64 v[38:39], v[14:15], 2, v[22:23]
	s_wait_dscnt 0x0
	global_store_b32 v[38:39], v3, off
	s_cbranch_execnz .LBB41_27
.LBB41_26:                              ;   in Loop: Header=BB41_10 Depth=1
	s_wait_dscnt 0x0
	s_wait_xcnt 0x0
	ds_load_b32 v3, v30 offset:16
	s_wait_dscnt 0x0
	global_store_b32 v[20:21], v3, off offset:16
.LBB41_27:                              ;   in Loop: Header=BB41_10 Depth=1
	s_wait_xcnt 0x0
	s_or_b32 exec_lo, exec_lo, s23
	s_and_saveexec_b32 s23, s2
	s_cbranch_execz .LBB41_31
; %bb.28:                               ;   in Loop: Header=BB41_10 Depth=1
	s_and_not1_b32 vcc_lo, exec_lo, s4
	s_cbranch_vccnz .LBB41_36
; %bb.29:                               ;   in Loop: Header=BB41_10 Depth=1
	s_wait_dscnt 0x0
	ds_load_b32 v3, v30 offset:32
	v_lshl_add_u64 v[38:39], v[16:17], 2, v[22:23]
	s_wait_dscnt 0x0
	global_store_b32 v[38:39], v3, off
	s_cbranch_execnz .LBB41_31
.LBB41_30:                              ;   in Loop: Header=BB41_10 Depth=1
	s_wait_dscnt 0x0
	s_wait_xcnt 0x0
	ds_load_b32 v3, v30 offset:32
	s_wait_dscnt 0x0
	global_store_b32 v[20:21], v3, off offset:32
.LBB41_31:                              ;   in Loop: Header=BB41_10 Depth=1
	s_wait_xcnt 0x0
	s_or_b32 exec_lo, exec_lo, s23
	s_and_saveexec_b32 s23, s3
	s_cbranch_execz .LBB41_8
; %bb.32:                               ;   in Loop: Header=BB41_10 Depth=1
	s_and_not1_b32 vcc_lo, exec_lo, s4
	s_cbranch_vccnz .LBB41_37
; %bb.33:                               ;   in Loop: Header=BB41_10 Depth=1
	s_wait_dscnt 0x0
	ds_load_b32 v3, v30 offset:48
	v_lshl_add_u64 v[22:23], v[18:19], 2, v[22:23]
	s_wait_dscnt 0x0
	global_store_b32 v[22:23], v3, off
	s_cbranch_execnz .LBB41_8
	s_branch .LBB41_38
.LBB41_34:                              ;   in Loop: Header=BB41_10 Depth=1
	s_branch .LBB41_22
.LBB41_35:                              ;   in Loop: Header=BB41_10 Depth=1
	s_branch .LBB41_26
.LBB41_36:                              ;   in Loop: Header=BB41_10 Depth=1
	s_branch .LBB41_30
.LBB41_37:                              ;   in Loop: Header=BB41_10 Depth=1
.LBB41_38:                              ;   in Loop: Header=BB41_10 Depth=1
	s_wait_dscnt 0x0
	s_wait_xcnt 0x0
	ds_load_b32 v3, v30 offset:48
	s_wait_dscnt 0x0
	global_store_b32 v[20:21], v3, off offset:48
	s_branch .LBB41_8
.LBB41_39:
	s_endpgm
	.section	.rodata,"a",@progbits
	.p2align	6, 0x0
	.amdhsa_kernel _ZN9rocsparseL44csr2gebsr_wavefront_per_row_multipass_kernelILi256ELi8ELi16ELi32EfEEv20rocsparse_direction_iiiiii21rocsparse_index_base_PKT3_PKiS7_S2_PS3_PiS9_
		.amdhsa_group_segment_fixed_size 4104
		.amdhsa_private_segment_fixed_size 0
		.amdhsa_kernarg_size 88
		.amdhsa_user_sgpr_count 2
		.amdhsa_user_sgpr_dispatch_ptr 0
		.amdhsa_user_sgpr_queue_ptr 0
		.amdhsa_user_sgpr_kernarg_segment_ptr 1
		.amdhsa_user_sgpr_dispatch_id 0
		.amdhsa_user_sgpr_kernarg_preload_length 0
		.amdhsa_user_sgpr_kernarg_preload_offset 0
		.amdhsa_user_sgpr_private_segment_size 0
		.amdhsa_wavefront_size32 1
		.amdhsa_uses_dynamic_stack 0
		.amdhsa_enable_private_segment 0
		.amdhsa_system_sgpr_workgroup_id_x 1
		.amdhsa_system_sgpr_workgroup_id_y 0
		.amdhsa_system_sgpr_workgroup_id_z 0
		.amdhsa_system_sgpr_workgroup_info 0
		.amdhsa_system_vgpr_workitem_id 0
		.amdhsa_next_free_vgpr 42
		.amdhsa_next_free_sgpr 26
		.amdhsa_named_barrier_count 0
		.amdhsa_reserve_vcc 1
		.amdhsa_float_round_mode_32 0
		.amdhsa_float_round_mode_16_64 0
		.amdhsa_float_denorm_mode_32 3
		.amdhsa_float_denorm_mode_16_64 3
		.amdhsa_fp16_overflow 0
		.amdhsa_memory_ordered 1
		.amdhsa_forward_progress 1
		.amdhsa_inst_pref_size 15
		.amdhsa_round_robin_scheduling 0
		.amdhsa_exception_fp_ieee_invalid_op 0
		.amdhsa_exception_fp_denorm_src 0
		.amdhsa_exception_fp_ieee_div_zero 0
		.amdhsa_exception_fp_ieee_overflow 0
		.amdhsa_exception_fp_ieee_underflow 0
		.amdhsa_exception_fp_ieee_inexact 0
		.amdhsa_exception_int_div_zero 0
	.end_amdhsa_kernel
	.section	.text._ZN9rocsparseL44csr2gebsr_wavefront_per_row_multipass_kernelILi256ELi8ELi16ELi32EfEEv20rocsparse_direction_iiiiii21rocsparse_index_base_PKT3_PKiS7_S2_PS3_PiS9_,"axG",@progbits,_ZN9rocsparseL44csr2gebsr_wavefront_per_row_multipass_kernelILi256ELi8ELi16ELi32EfEEv20rocsparse_direction_iiiiii21rocsparse_index_base_PKT3_PKiS7_S2_PS3_PiS9_,comdat
.Lfunc_end41:
	.size	_ZN9rocsparseL44csr2gebsr_wavefront_per_row_multipass_kernelILi256ELi8ELi16ELi32EfEEv20rocsparse_direction_iiiiii21rocsparse_index_base_PKT3_PKiS7_S2_PS3_PiS9_, .Lfunc_end41-_ZN9rocsparseL44csr2gebsr_wavefront_per_row_multipass_kernelILi256ELi8ELi16ELi32EfEEv20rocsparse_direction_iiiiii21rocsparse_index_base_PKT3_PKiS7_S2_PS3_PiS9_
                                        ; -- End function
	.set _ZN9rocsparseL44csr2gebsr_wavefront_per_row_multipass_kernelILi256ELi8ELi16ELi32EfEEv20rocsparse_direction_iiiiii21rocsparse_index_base_PKT3_PKiS7_S2_PS3_PiS9_.num_vgpr, 42
	.set _ZN9rocsparseL44csr2gebsr_wavefront_per_row_multipass_kernelILi256ELi8ELi16ELi32EfEEv20rocsparse_direction_iiiiii21rocsparse_index_base_PKT3_PKiS7_S2_PS3_PiS9_.num_agpr, 0
	.set _ZN9rocsparseL44csr2gebsr_wavefront_per_row_multipass_kernelILi256ELi8ELi16ELi32EfEEv20rocsparse_direction_iiiiii21rocsparse_index_base_PKT3_PKiS7_S2_PS3_PiS9_.numbered_sgpr, 26
	.set _ZN9rocsparseL44csr2gebsr_wavefront_per_row_multipass_kernelILi256ELi8ELi16ELi32EfEEv20rocsparse_direction_iiiiii21rocsparse_index_base_PKT3_PKiS7_S2_PS3_PiS9_.num_named_barrier, 0
	.set _ZN9rocsparseL44csr2gebsr_wavefront_per_row_multipass_kernelILi256ELi8ELi16ELi32EfEEv20rocsparse_direction_iiiiii21rocsparse_index_base_PKT3_PKiS7_S2_PS3_PiS9_.private_seg_size, 0
	.set _ZN9rocsparseL44csr2gebsr_wavefront_per_row_multipass_kernelILi256ELi8ELi16ELi32EfEEv20rocsparse_direction_iiiiii21rocsparse_index_base_PKT3_PKiS7_S2_PS3_PiS9_.uses_vcc, 1
	.set _ZN9rocsparseL44csr2gebsr_wavefront_per_row_multipass_kernelILi256ELi8ELi16ELi32EfEEv20rocsparse_direction_iiiiii21rocsparse_index_base_PKT3_PKiS7_S2_PS3_PiS9_.uses_flat_scratch, 0
	.set _ZN9rocsparseL44csr2gebsr_wavefront_per_row_multipass_kernelILi256ELi8ELi16ELi32EfEEv20rocsparse_direction_iiiiii21rocsparse_index_base_PKT3_PKiS7_S2_PS3_PiS9_.has_dyn_sized_stack, 0
	.set _ZN9rocsparseL44csr2gebsr_wavefront_per_row_multipass_kernelILi256ELi8ELi16ELi32EfEEv20rocsparse_direction_iiiiii21rocsparse_index_base_PKT3_PKiS7_S2_PS3_PiS9_.has_recursion, 0
	.set _ZN9rocsparseL44csr2gebsr_wavefront_per_row_multipass_kernelILi256ELi8ELi16ELi32EfEEv20rocsparse_direction_iiiiii21rocsparse_index_base_PKT3_PKiS7_S2_PS3_PiS9_.has_indirect_call, 0
	.section	.AMDGPU.csdata,"",@progbits
; Kernel info:
; codeLenInByte = 1844
; TotalNumSgprs: 28
; NumVgprs: 42
; ScratchSize: 0
; MemoryBound: 0
; FloatMode: 240
; IeeeMode: 1
; LDSByteSize: 4104 bytes/workgroup (compile time only)
; SGPRBlocks: 0
; VGPRBlocks: 2
; NumSGPRsForWavesPerEU: 28
; NumVGPRsForWavesPerEU: 42
; NamedBarCnt: 0
; Occupancy: 16
; WaveLimiterHint : 0
; COMPUTE_PGM_RSRC2:SCRATCH_EN: 0
; COMPUTE_PGM_RSRC2:USER_SGPR: 2
; COMPUTE_PGM_RSRC2:TRAP_HANDLER: 0
; COMPUTE_PGM_RSRC2:TGID_X_EN: 1
; COMPUTE_PGM_RSRC2:TGID_Y_EN: 0
; COMPUTE_PGM_RSRC2:TGID_Z_EN: 0
; COMPUTE_PGM_RSRC2:TIDIG_COMP_CNT: 0
	.section	.text._ZN9rocsparseL44csr2gebsr_wavefront_per_row_multipass_kernelILi256ELi8ELi32ELi64EfEEv20rocsparse_direction_iiiiii21rocsparse_index_base_PKT3_PKiS7_S2_PS3_PiS9_,"axG",@progbits,_ZN9rocsparseL44csr2gebsr_wavefront_per_row_multipass_kernelILi256ELi8ELi32ELi64EfEEv20rocsparse_direction_iiiiii21rocsparse_index_base_PKT3_PKiS7_S2_PS3_PiS9_,comdat
	.globl	_ZN9rocsparseL44csr2gebsr_wavefront_per_row_multipass_kernelILi256ELi8ELi32ELi64EfEEv20rocsparse_direction_iiiiii21rocsparse_index_base_PKT3_PKiS7_S2_PS3_PiS9_ ; -- Begin function _ZN9rocsparseL44csr2gebsr_wavefront_per_row_multipass_kernelILi256ELi8ELi32ELi64EfEEv20rocsparse_direction_iiiiii21rocsparse_index_base_PKT3_PKiS7_S2_PS3_PiS9_
	.p2align	8
	.type	_ZN9rocsparseL44csr2gebsr_wavefront_per_row_multipass_kernelILi256ELi8ELi32ELi64EfEEv20rocsparse_direction_iiiiii21rocsparse_index_base_PKT3_PKiS7_S2_PS3_PiS9_,@function
_ZN9rocsparseL44csr2gebsr_wavefront_per_row_multipass_kernelILi256ELi8ELi32ELi64EfEEv20rocsparse_direction_iiiiii21rocsparse_index_base_PKT3_PKiS7_S2_PS3_PiS9_: ; @_ZN9rocsparseL44csr2gebsr_wavefront_per_row_multipass_kernelILi256ELi8ELi32ELi64EfEEv20rocsparse_direction_iiiiii21rocsparse_index_base_PKT3_PKiS7_S2_PS3_PiS9_
; %bb.0:
	s_clause 0x1
	s_load_b128 s[4:7], s[0:1], 0xc
	s_load_b64 s[14:15], s[0:1], 0x0
	s_bfe_u32 s2, ttmp6, 0x4000c
	s_and_b32 s3, ttmp6, 15
	s_add_co_i32 s2, s2, 1
	s_getreg_b32 s8, hwreg(HW_REG_IB_STS2, 6, 4)
	s_mul_i32 s2, ttmp9, s2
	v_dual_lshrrev_b32 v24, 6, v0 :: v_dual_mov_b32 v2, 0
	s_add_co_i32 s3, s3, s2
	s_cmp_eq_u32 s8, 0
	v_bfe_u32 v1, v0, 3, 3
	s_cselect_b32 s2, ttmp9, s3
	s_clause 0x1
	s_load_b32 s20, s[0:1], 0x1c
	s_load_b64 s[8:9], s[0:1], 0x28
	v_lshl_or_b32 v3, s2, 2, v24
	v_mov_b32_e32 v10, 0
	s_wait_kmcnt 0x0
	s_delay_alu instid0(VALU_DEP_2) | instskip(SKIP_1) | instid1(VALU_DEP_2)
	v_mad_u32 v4, v3, s6, v1
	v_cmp_gt_i32_e32 vcc_lo, s6, v1
	v_cmp_gt_i32_e64 s2, s15, v4
	s_and_b32 s2, vcc_lo, s2
	s_delay_alu instid0(SALU_CYCLE_1)
	s_and_saveexec_b32 s3, s2
	s_cbranch_execz .LBB42_2
; %bb.1:
	global_load_b32 v5, v4, s[8:9] scale_offset
	s_wait_loadcnt 0x0
	v_subrev_nc_u32_e32 v10, s20, v5
.LBB42_2:
	s_or_b32 exec_lo, exec_lo, s3
	v_mov_b32_e32 v25, 0
	s_and_saveexec_b32 s3, s2
	s_cbranch_execz .LBB42_4
; %bb.3:
	global_load_b32 v4, v4, s[8:9] offset:4 scale_offset
	s_wait_loadcnt 0x0
	v_subrev_nc_u32_e32 v25, s20, v4
.LBB42_4:
	s_or_b32 exec_lo, exec_lo, s3
	s_load_b32 s21, s[0:1], 0x38
	s_mov_b32 s3, exec_lo
	v_cmpx_gt_i32_e64 s4, v3
	s_cbranch_execz .LBB42_6
; %bb.5:
	s_load_b64 s[8:9], s[0:1], 0x48
	s_wait_kmcnt 0x0
	global_load_b32 v2, v3, s[8:9] scale_offset
	s_wait_loadcnt 0x0
	v_subrev_nc_u32_e32 v2, s21, v2
.LBB42_6:
	s_or_b32 exec_lo, exec_lo, s3
	s_cmp_lt_i32 s5, 1
	s_cbranch_scc1 .LBB42_39
; %bb.7:
	v_mbcnt_lo_u32_b32 v11, -1, 0
	v_lshlrev_b32_e32 v3, 7, v1
	s_clause 0x3
	s_load_b64 s[8:9], s[0:1], 0x50
	s_load_b64 s[2:3], s[0:1], 0x40
	;; [unrolled: 1-line block ×4, first 2 shown]
	v_mul_lo_u32 v12, s7, v1
	s_cmp_lg_u32 s14, 0
	v_xor_b32_e32 v4, 4, v11
	v_lshl_or_b32 v26, v24, 10, v3
	s_mov_b32 s15, 0
	s_cselect_b32 s4, -1, 0
	s_mov_b32 s14, s6
	s_wait_xcnt 0x0
	v_cmp_gt_i32_e64 s0, 32, v4
	v_xor_b32_e32 v5, 2, v11
	s_ashr_i32 s17, s7, 31
	s_mov_b32 s16, s7
	v_lshl_or_b32 v30, v11, 2, 28
	v_dual_cndmask_b32 v4, v11, v4, s0 :: v_dual_bitop2_b32 v3, 1, v11 bitop3:0x14
	v_cmp_gt_i32_e64 s0, 32, v5
	v_and_b32_e32 v0, 7, v0
	s_mul_u64 s[18:19], s[16:17], s[14:15]
	v_lshlrev_b32_e32 v27, 2, v4
	s_abs_i32 s16, s7
	v_cndmask_b32_e64 v5, v11, v5, s0
	v_cmp_gt_i32_e64 s0, 32, v3
	s_cvt_f32_u32 s1, s16
	v_ashrrev_i32_e32 v13, 31, v12
	v_bfrev_b32_e32 v35, 0.5
	v_dual_lshlrev_b32 v28, 2, v5 :: v_dual_cndmask_b32 v3, v11, v3, s0
	v_dual_mov_b32 v5, 0 :: v_dual_lshlrev_b32 v8, 2, v0
	v_lshlrev_b32_e32 v4, 2, v1
	s_wait_kmcnt 0x0
	v_lshl_add_u64 v[12:13], v[12:13], 2, s[2:3]
	s_delay_alu instid0(VALU_DEP_3) | instskip(SKIP_4) | instid1(VALU_DEP_4)
	v_dual_lshlrev_b32 v29, 2, v3 :: v_dual_bitop2_b32 v31, v26, v8 bitop3:0x54
	v_dual_mov_b32 v1, v5 :: v_dual_bitop2_b32 v3, 32, v11 bitop3:0x54
	v_add_nc_u64_e32 v[6:7], s[2:3], v[4:5]
	v_dual_mov_b32 v9, v5 :: v_dual_bitop2_b32 v4, 16, v11 bitop3:0x14
	v_dual_mov_b32 v19, v5 :: v_dual_mov_b32 v36, 1
	v_cmp_gt_i32_e64 s0, 32, v3
	v_mov_b32_e32 v38, 0
	s_delay_alu instid0(VALU_DEP_4)
	v_add_nc_u64_e32 v[8:9], v[12:13], v[8:9]
	v_mul_lo_u32 v12, v0, s6
	s_lshl_b32 s6, s6, 3
	v_cndmask_b32_e64 v3, v11, v3, s0
	v_cmp_gt_i32_e64 s0, 32, v4
	v_dual_mov_b32 v13, v5 :: v_dual_bitop2_b32 v14, 8, v11 bitop3:0x14
	s_mov_b32 s22, s15
	v_dual_mov_b32 v15, v5 :: v_dual_cndmask_b32 v4, v11, v4, s0
	s_delay_alu instid0(VALU_DEP_2) | instskip(NEXT) | instid1(VALU_DEP_1)
	v_cmp_gt_i32_e64 s0, 32, v14
	v_dual_lshlrev_b32 v33, 2, v4 :: v_dual_cndmask_b32 v11, v11, v14, s0
	v_lshlrev_b32_e32 v32, 2, v3
	v_rcp_iflag_f32_e32 v4, s1
	v_add_nc_u32_e32 v14, s6, v12
	s_delay_alu instid0(VALU_DEP_3) | instskip(SKIP_1) | instid1(VALU_DEP_3)
	v_dual_lshlrev_b32 v34, 2, v11 :: v_dual_bitop2_b32 v3, 8, v0 bitop3:0x54
	v_cmp_gt_u32_e64 s0, s7, v0
	v_add_nc_u32_e32 v16, s6, v14
	s_delay_alu instid0(TRANS32_DEP_1)
	v_readfirstlane_b32 s3, v4
	v_or_b32_e32 v4, 24, v0
	v_cmp_gt_u32_e64 s1, s7, v3
	v_dual_mov_b32 v17, v5 :: v_dual_bitop2_b32 v3, 16, v0 bitop3:0x54
	v_add_nc_u32_e32 v18, s6, v16
	s_mul_f32 s14, s3, 0x4f7ffffe
	s_and_b32 s6, s0, vcc_lo
	s_sub_co_i32 s0, 0, s16
	v_cmp_gt_u32_e64 s2, s7, v3
	s_cvt_u32_f32 s14, s14
	v_cmp_gt_u32_e64 s3, s7, v4
	s_and_b32 s1, vcc_lo, s1
	s_delay_alu instid0(SALU_CYCLE_1)
	s_mul_i32 s0, s0, s14
	s_and_b32 s2, vcc_lo, s2
	s_mul_hi_u32 s0, s14, s0
	s_and_b32 s3, vcc_lo, s3
	s_add_co_i32 s14, s14, s0
	s_branch .LBB42_10
.LBB42_8:                               ;   in Loop: Header=BB42_10 Depth=1
	s_wait_xcnt 0x0
	s_or_b32 exec_lo, exec_lo, s23
	s_wait_dscnt 0x0
	v_mov_b32_e32 v3, 1
.LBB42_9:                               ;   in Loop: Header=BB42_10 Depth=1
	s_or_b32 exec_lo, exec_lo, s0
	ds_bpermute_b32 v4, v32, v37
	s_wait_storecnt_dscnt 0x0
	v_dual_add_nc_u32 v2, v3, v2 :: v_dual_min_i32 v4, v4, v37
	ds_bpermute_b32 v11, v33, v4
	s_wait_dscnt 0x0
	v_min_i32_e32 v4, v11, v4
	ds_bpermute_b32 v11, v34, v4
	s_wait_dscnt 0x0
	v_min_i32_e32 v4, v11, v4
	ds_bpermute_b32 v11, v27, v4
	s_wait_dscnt 0x0
	v_min_i32_e32 v4, v11, v4
	ds_bpermute_b32 v11, v28, v4
	s_wait_dscnt 0x0
	v_min_i32_e32 v4, v11, v4
	ds_bpermute_b32 v11, v29, v4
	s_wait_dscnt 0x0
	v_min_i32_e32 v4, v11, v4
	ds_bpermute_b32 v38, v35, v4
	s_wait_dscnt 0x0
	v_cmp_le_i32_e32 vcc_lo, s5, v38
	s_or_b32 s22, vcc_lo, s22
	s_delay_alu instid0(SALU_CYCLE_1)
	s_and_not1_b32 exec_lo, exec_lo, s22
	s_cbranch_execz .LBB42_39
.LBB42_10:                              ; =>This Loop Header: Depth=1
                                        ;     Child Loop BB42_13 Depth 2
	v_dual_add_nc_u32 v3, v10, v0 :: v_dual_mov_b32 v37, s5
	v_mov_b32_e32 v23, v25
	s_mov_b32 s23, exec_lo
	ds_store_b8 v24, v5 offset:4096
	ds_store_2addr_b32 v31, v5, v5 offset1:8
	ds_store_2addr_b32 v31, v5, v5 offset0:16 offset1:24
	s_wait_dscnt 0x0
	v_cmpx_lt_i32_e64 v3, v25
	s_cbranch_execz .LBB42_18
; %bb.11:                               ;   in Loop: Header=BB42_10 Depth=1
	v_dual_ashrrev_i32 v11, 31, v10 :: v_dual_mov_b32 v37, s5
	v_mul_lo_u32 v22, v38, s7
	v_mov_b32_e32 v23, v25
	s_mov_b32 s24, 0
	s_delay_alu instid0(VALU_DEP_3) | instskip(NEXT) | instid1(VALU_DEP_1)
	v_add_nc_u64_e32 v[10:11], v[0:1], v[10:11]
	v_lshlrev_b64_e32 v[20:21], 2, v[10:11]
	s_delay_alu instid0(VALU_DEP_1)
	v_add_nc_u64_e32 v[10:11], s[12:13], v[20:21]
	v_add_nc_u64_e32 v[20:21], s[10:11], v[20:21]
	s_branch .LBB42_13
.LBB42_12:                              ;   in Loop: Header=BB42_13 Depth=2
	s_wait_xcnt 0x0
	s_or_b32 exec_lo, exec_lo, s0
	v_add_nc_u32_e32 v3, 8, v3
	s_xor_b32 s25, vcc_lo, -1
	v_add_nc_u64_e32 v[10:11], 32, v[10:11]
	v_add_nc_u64_e32 v[20:21], 32, v[20:21]
	s_delay_alu instid0(VALU_DEP_3) | instskip(SKIP_1) | instid1(SALU_CYCLE_1)
	v_cmp_ge_i32_e64 s0, v3, v25
	s_or_b32 s0, s25, s0
	s_and_b32 s0, exec_lo, s0
	s_delay_alu instid0(SALU_CYCLE_1) | instskip(NEXT) | instid1(SALU_CYCLE_1)
	s_or_b32 s24, s0, s24
	s_and_not1_b32 exec_lo, exec_lo, s24
	s_cbranch_execz .LBB42_17
.LBB42_13:                              ;   Parent Loop BB42_10 Depth=1
                                        ; =>  This Inner Loop Header: Depth=2
	global_load_b32 v4, v[10:11], off
	s_wait_loadcnt 0x0
	v_subrev_nc_u32_e32 v39, s20, v4
	s_delay_alu instid0(VALU_DEP_1) | instskip(NEXT) | instid1(VALU_DEP_1)
	v_sub_nc_u32_e32 v4, 0, v39
	v_max_i32_e32 v4, v39, v4
	s_delay_alu instid0(VALU_DEP_1) | instskip(NEXT) | instid1(VALU_DEP_1)
	v_mul_u64_e32 v[40:41], s[14:15], v[4:5]
	v_mul_lo_u32 v40, v41, s16
	s_delay_alu instid0(VALU_DEP_1) | instskip(NEXT) | instid1(VALU_DEP_1)
	v_dual_sub_nc_u32 v4, v4, v40 :: v_dual_add_nc_u32 v40, 1, v41
	v_cmp_le_u32_e32 vcc_lo, s16, v4
	s_delay_alu instid0(VALU_DEP_2) | instskip(SKIP_1) | instid1(VALU_DEP_1)
	v_cndmask_b32_e32 v40, v41, v40, vcc_lo
	v_subrev_nc_u32_e32 v42, s16, v4
	v_dual_cndmask_b32 v4, v4, v42 :: v_dual_ashrrev_i32 v41, 31, v39
	s_delay_alu instid0(VALU_DEP_3) | instskip(NEXT) | instid1(VALU_DEP_2)
	v_add_nc_u32_e32 v42, 1, v40
	v_cmp_le_u32_e32 vcc_lo, s16, v4
	s_delay_alu instid0(VALU_DEP_2) | instskip(NEXT) | instid1(VALU_DEP_1)
	v_dual_cndmask_b32 v4, v40, v42, vcc_lo :: v_dual_bitop2_b32 v41, s17, v41 bitop3:0x14
	v_xor_b32_e32 v4, v4, v41
	s_delay_alu instid0(VALU_DEP_1) | instskip(NEXT) | instid1(VALU_DEP_1)
	v_dual_sub_nc_u32 v40, v4, v41 :: v_dual_mov_b32 v4, v23
	v_cmp_ne_u32_e64 s0, v40, v38
	v_cmp_eq_u32_e32 vcc_lo, v40, v38
	s_wait_xcnt 0x0
	s_and_saveexec_b32 s25, s0
	s_delay_alu instid0(SALU_CYCLE_1)
	s_xor_b32 s0, exec_lo, s25
; %bb.14:                               ;   in Loop: Header=BB42_13 Depth=2
	v_min_i32_e32 v37, v40, v37
                                        ; implicit-def: $vgpr39
                                        ; implicit-def: $vgpr4
; %bb.15:                               ;   in Loop: Header=BB42_13 Depth=2
	s_or_saveexec_b32 s0, s0
	v_mov_b32_e32 v23, v3
	s_xor_b32 exec_lo, exec_lo, s0
	s_cbranch_execz .LBB42_12
; %bb.16:                               ;   in Loop: Header=BB42_13 Depth=2
	global_load_b32 v40, v[20:21], off
	v_sub_nc_u32_e32 v23, v39, v22
	s_delay_alu instid0(VALU_DEP_1)
	v_lshl_add_u32 v39, v23, 2, v26
	v_mov_b32_e32 v23, v4
	ds_store_b8 v24, v36 offset:4096
	s_wait_loadcnt 0x0
	ds_store_b32 v39, v40
	s_branch .LBB42_12
.LBB42_17:                              ;   in Loop: Header=BB42_10 Depth=1
	s_or_b32 exec_lo, exec_lo, s24
.LBB42_18:                              ;   in Loop: Header=BB42_10 Depth=1
	s_delay_alu instid0(SALU_CYCLE_1)
	s_or_b32 exec_lo, exec_lo, s23
	ds_bpermute_b32 v3, v27, v23
	s_wait_dscnt 0x0
	ds_load_u8 v11, v24 offset:4096
	v_min_i32_e32 v3, v3, v23
	ds_bpermute_b32 v4, v28, v3
	s_wait_dscnt 0x0
	v_min_i32_e32 v3, v4, v3
	ds_bpermute_b32 v4, v29, v3
	s_wait_dscnt 0x0
	v_min_i32_e32 v3, v4, v3
	ds_bpermute_b32 v10, v30, v3
	v_and_b32_e32 v3, 1, v11
	s_delay_alu instid0(VALU_DEP_1)
	v_cmp_eq_u32_e32 vcc_lo, 1, v3
	v_mov_b32_e32 v3, 0
	s_and_saveexec_b32 s0, vcc_lo
	s_cbranch_execz .LBB42_9
; %bb.19:                               ;   in Loop: Header=BB42_10 Depth=1
	v_ashrrev_i32_e32 v3, 31, v2
	s_delay_alu instid0(VALU_DEP_1) | instskip(SKIP_3) | instid1(VALU_DEP_1)
	v_mul_u64_e32 v[20:21], s[18:19], v[2:3]
	v_add_nc_u32_e32 v3, s21, v38
	global_store_b32 v2, v3, s[8:9] scale_offset
	v_lshlrev_b64_e32 v[20:21], 2, v[20:21]
	v_add_nc_u64_e32 v[22:23], v[6:7], v[20:21]
	v_add_nc_u64_e32 v[20:21], v[8:9], v[20:21]
	s_wait_xcnt 0x0
	s_and_saveexec_b32 s23, s6
	s_cbranch_execz .LBB42_23
; %bb.20:                               ;   in Loop: Header=BB42_10 Depth=1
	ds_load_b32 v3, v31
	s_and_b32 vcc_lo, exec_lo, s4
	s_cbranch_vccz .LBB42_34
; %bb.21:                               ;   in Loop: Header=BB42_10 Depth=1
	v_lshl_add_u64 v[38:39], v[12:13], 2, v[22:23]
	s_wait_dscnt 0x0
	global_store_b32 v[38:39], v3, off
	s_cbranch_execnz .LBB42_23
.LBB42_22:                              ;   in Loop: Header=BB42_10 Depth=1
	s_wait_dscnt 0x0
	global_store_b32 v[20:21], v3, off
.LBB42_23:                              ;   in Loop: Header=BB42_10 Depth=1
	s_wait_xcnt 0x0
	s_or_b32 exec_lo, exec_lo, s23
	s_and_saveexec_b32 s23, s1
	s_cbranch_execz .LBB42_27
; %bb.24:                               ;   in Loop: Header=BB42_10 Depth=1
	s_and_not1_b32 vcc_lo, exec_lo, s4
	s_cbranch_vccnz .LBB42_35
; %bb.25:                               ;   in Loop: Header=BB42_10 Depth=1
	s_wait_dscnt 0x0
	ds_load_b32 v3, v31 offset:32
	v_lshl_add_u64 v[38:39], v[14:15], 2, v[22:23]
	s_wait_dscnt 0x0
	global_store_b32 v[38:39], v3, off
	s_cbranch_execnz .LBB42_27
.LBB42_26:                              ;   in Loop: Header=BB42_10 Depth=1
	s_wait_dscnt 0x0
	s_wait_xcnt 0x0
	ds_load_b32 v3, v31 offset:32
	s_wait_dscnt 0x0
	global_store_b32 v[20:21], v3, off offset:32
.LBB42_27:                              ;   in Loop: Header=BB42_10 Depth=1
	s_wait_xcnt 0x0
	s_or_b32 exec_lo, exec_lo, s23
	s_and_saveexec_b32 s23, s2
	s_cbranch_execz .LBB42_31
; %bb.28:                               ;   in Loop: Header=BB42_10 Depth=1
	s_and_not1_b32 vcc_lo, exec_lo, s4
	s_cbranch_vccnz .LBB42_36
; %bb.29:                               ;   in Loop: Header=BB42_10 Depth=1
	s_wait_dscnt 0x0
	ds_load_b32 v3, v31 offset:64
	v_lshl_add_u64 v[38:39], v[16:17], 2, v[22:23]
	s_wait_dscnt 0x0
	global_store_b32 v[38:39], v3, off
	s_cbranch_execnz .LBB42_31
.LBB42_30:                              ;   in Loop: Header=BB42_10 Depth=1
	s_wait_dscnt 0x0
	s_wait_xcnt 0x0
	ds_load_b32 v3, v31 offset:64
	s_wait_dscnt 0x0
	global_store_b32 v[20:21], v3, off offset:64
.LBB42_31:                              ;   in Loop: Header=BB42_10 Depth=1
	s_wait_xcnt 0x0
	s_or_b32 exec_lo, exec_lo, s23
	s_and_saveexec_b32 s23, s3
	s_cbranch_execz .LBB42_8
; %bb.32:                               ;   in Loop: Header=BB42_10 Depth=1
	s_and_not1_b32 vcc_lo, exec_lo, s4
	s_cbranch_vccnz .LBB42_37
; %bb.33:                               ;   in Loop: Header=BB42_10 Depth=1
	s_wait_dscnt 0x0
	ds_load_b32 v3, v31 offset:96
	v_lshl_add_u64 v[22:23], v[18:19], 2, v[22:23]
	s_wait_dscnt 0x0
	global_store_b32 v[22:23], v3, off
	s_cbranch_execnz .LBB42_8
	s_branch .LBB42_38
.LBB42_34:                              ;   in Loop: Header=BB42_10 Depth=1
	s_branch .LBB42_22
.LBB42_35:                              ;   in Loop: Header=BB42_10 Depth=1
	s_branch .LBB42_26
.LBB42_36:                              ;   in Loop: Header=BB42_10 Depth=1
	s_branch .LBB42_30
.LBB42_37:                              ;   in Loop: Header=BB42_10 Depth=1
.LBB42_38:                              ;   in Loop: Header=BB42_10 Depth=1
	s_wait_dscnt 0x0
	s_wait_xcnt 0x0
	ds_load_b32 v3, v31 offset:96
	s_wait_dscnt 0x0
	global_store_b32 v[20:21], v3, off offset:96
	s_branch .LBB42_8
.LBB42_39:
	s_endpgm
	.section	.rodata,"a",@progbits
	.p2align	6, 0x0
	.amdhsa_kernel _ZN9rocsparseL44csr2gebsr_wavefront_per_row_multipass_kernelILi256ELi8ELi32ELi64EfEEv20rocsparse_direction_iiiiii21rocsparse_index_base_PKT3_PKiS7_S2_PS3_PiS9_
		.amdhsa_group_segment_fixed_size 4100
		.amdhsa_private_segment_fixed_size 0
		.amdhsa_kernarg_size 88
		.amdhsa_user_sgpr_count 2
		.amdhsa_user_sgpr_dispatch_ptr 0
		.amdhsa_user_sgpr_queue_ptr 0
		.amdhsa_user_sgpr_kernarg_segment_ptr 1
		.amdhsa_user_sgpr_dispatch_id 0
		.amdhsa_user_sgpr_kernarg_preload_length 0
		.amdhsa_user_sgpr_kernarg_preload_offset 0
		.amdhsa_user_sgpr_private_segment_size 0
		.amdhsa_wavefront_size32 1
		.amdhsa_uses_dynamic_stack 0
		.amdhsa_enable_private_segment 0
		.amdhsa_system_sgpr_workgroup_id_x 1
		.amdhsa_system_sgpr_workgroup_id_y 0
		.amdhsa_system_sgpr_workgroup_id_z 0
		.amdhsa_system_sgpr_workgroup_info 0
		.amdhsa_system_vgpr_workitem_id 0
		.amdhsa_next_free_vgpr 43
		.amdhsa_next_free_sgpr 26
		.amdhsa_named_barrier_count 0
		.amdhsa_reserve_vcc 1
		.amdhsa_float_round_mode_32 0
		.amdhsa_float_round_mode_16_64 0
		.amdhsa_float_denorm_mode_32 3
		.amdhsa_float_denorm_mode_16_64 3
		.amdhsa_fp16_overflow 0
		.amdhsa_memory_ordered 1
		.amdhsa_forward_progress 1
		.amdhsa_inst_pref_size 15
		.amdhsa_round_robin_scheduling 0
		.amdhsa_exception_fp_ieee_invalid_op 0
		.amdhsa_exception_fp_denorm_src 0
		.amdhsa_exception_fp_ieee_div_zero 0
		.amdhsa_exception_fp_ieee_overflow 0
		.amdhsa_exception_fp_ieee_underflow 0
		.amdhsa_exception_fp_ieee_inexact 0
		.amdhsa_exception_int_div_zero 0
	.end_amdhsa_kernel
	.section	.text._ZN9rocsparseL44csr2gebsr_wavefront_per_row_multipass_kernelILi256ELi8ELi32ELi64EfEEv20rocsparse_direction_iiiiii21rocsparse_index_base_PKT3_PKiS7_S2_PS3_PiS9_,"axG",@progbits,_ZN9rocsparseL44csr2gebsr_wavefront_per_row_multipass_kernelILi256ELi8ELi32ELi64EfEEv20rocsparse_direction_iiiiii21rocsparse_index_base_PKT3_PKiS7_S2_PS3_PiS9_,comdat
.Lfunc_end42:
	.size	_ZN9rocsparseL44csr2gebsr_wavefront_per_row_multipass_kernelILi256ELi8ELi32ELi64EfEEv20rocsparse_direction_iiiiii21rocsparse_index_base_PKT3_PKiS7_S2_PS3_PiS9_, .Lfunc_end42-_ZN9rocsparseL44csr2gebsr_wavefront_per_row_multipass_kernelILi256ELi8ELi32ELi64EfEEv20rocsparse_direction_iiiiii21rocsparse_index_base_PKT3_PKiS7_S2_PS3_PiS9_
                                        ; -- End function
	.set _ZN9rocsparseL44csr2gebsr_wavefront_per_row_multipass_kernelILi256ELi8ELi32ELi64EfEEv20rocsparse_direction_iiiiii21rocsparse_index_base_PKT3_PKiS7_S2_PS3_PiS9_.num_vgpr, 43
	.set _ZN9rocsparseL44csr2gebsr_wavefront_per_row_multipass_kernelILi256ELi8ELi32ELi64EfEEv20rocsparse_direction_iiiiii21rocsparse_index_base_PKT3_PKiS7_S2_PS3_PiS9_.num_agpr, 0
	.set _ZN9rocsparseL44csr2gebsr_wavefront_per_row_multipass_kernelILi256ELi8ELi32ELi64EfEEv20rocsparse_direction_iiiiii21rocsparse_index_base_PKT3_PKiS7_S2_PS3_PiS9_.numbered_sgpr, 26
	.set _ZN9rocsparseL44csr2gebsr_wavefront_per_row_multipass_kernelILi256ELi8ELi32ELi64EfEEv20rocsparse_direction_iiiiii21rocsparse_index_base_PKT3_PKiS7_S2_PS3_PiS9_.num_named_barrier, 0
	.set _ZN9rocsparseL44csr2gebsr_wavefront_per_row_multipass_kernelILi256ELi8ELi32ELi64EfEEv20rocsparse_direction_iiiiii21rocsparse_index_base_PKT3_PKiS7_S2_PS3_PiS9_.private_seg_size, 0
	.set _ZN9rocsparseL44csr2gebsr_wavefront_per_row_multipass_kernelILi256ELi8ELi32ELi64EfEEv20rocsparse_direction_iiiiii21rocsparse_index_base_PKT3_PKiS7_S2_PS3_PiS9_.uses_vcc, 1
	.set _ZN9rocsparseL44csr2gebsr_wavefront_per_row_multipass_kernelILi256ELi8ELi32ELi64EfEEv20rocsparse_direction_iiiiii21rocsparse_index_base_PKT3_PKiS7_S2_PS3_PiS9_.uses_flat_scratch, 0
	.set _ZN9rocsparseL44csr2gebsr_wavefront_per_row_multipass_kernelILi256ELi8ELi32ELi64EfEEv20rocsparse_direction_iiiiii21rocsparse_index_base_PKT3_PKiS7_S2_PS3_PiS9_.has_dyn_sized_stack, 0
	.set _ZN9rocsparseL44csr2gebsr_wavefront_per_row_multipass_kernelILi256ELi8ELi32ELi64EfEEv20rocsparse_direction_iiiiii21rocsparse_index_base_PKT3_PKiS7_S2_PS3_PiS9_.has_recursion, 0
	.set _ZN9rocsparseL44csr2gebsr_wavefront_per_row_multipass_kernelILi256ELi8ELi32ELi64EfEEv20rocsparse_direction_iiiiii21rocsparse_index_base_PKT3_PKiS7_S2_PS3_PiS9_.has_indirect_call, 0
	.section	.AMDGPU.csdata,"",@progbits
; Kernel info:
; codeLenInByte = 1888
; TotalNumSgprs: 28
; NumVgprs: 43
; ScratchSize: 0
; MemoryBound: 0
; FloatMode: 240
; IeeeMode: 1
; LDSByteSize: 4100 bytes/workgroup (compile time only)
; SGPRBlocks: 0
; VGPRBlocks: 2
; NumSGPRsForWavesPerEU: 28
; NumVGPRsForWavesPerEU: 43
; NamedBarCnt: 0
; Occupancy: 16
; WaveLimiterHint : 0
; COMPUTE_PGM_RSRC2:SCRATCH_EN: 0
; COMPUTE_PGM_RSRC2:USER_SGPR: 2
; COMPUTE_PGM_RSRC2:TRAP_HANDLER: 0
; COMPUTE_PGM_RSRC2:TGID_X_EN: 1
; COMPUTE_PGM_RSRC2:TGID_Y_EN: 0
; COMPUTE_PGM_RSRC2:TGID_Z_EN: 0
; COMPUTE_PGM_RSRC2:TIDIG_COMP_CNT: 0
	.section	.text._ZN9rocsparseL44csr2gebsr_wavefront_per_row_multipass_kernelILi256ELi8ELi32ELi32EfEEv20rocsparse_direction_iiiiii21rocsparse_index_base_PKT3_PKiS7_S2_PS3_PiS9_,"axG",@progbits,_ZN9rocsparseL44csr2gebsr_wavefront_per_row_multipass_kernelILi256ELi8ELi32ELi32EfEEv20rocsparse_direction_iiiiii21rocsparse_index_base_PKT3_PKiS7_S2_PS3_PiS9_,comdat
	.globl	_ZN9rocsparseL44csr2gebsr_wavefront_per_row_multipass_kernelILi256ELi8ELi32ELi32EfEEv20rocsparse_direction_iiiiii21rocsparse_index_base_PKT3_PKiS7_S2_PS3_PiS9_ ; -- Begin function _ZN9rocsparseL44csr2gebsr_wavefront_per_row_multipass_kernelILi256ELi8ELi32ELi32EfEEv20rocsparse_direction_iiiiii21rocsparse_index_base_PKT3_PKiS7_S2_PS3_PiS9_
	.p2align	8
	.type	_ZN9rocsparseL44csr2gebsr_wavefront_per_row_multipass_kernelILi256ELi8ELi32ELi32EfEEv20rocsparse_direction_iiiiii21rocsparse_index_base_PKT3_PKiS7_S2_PS3_PiS9_,@function
_ZN9rocsparseL44csr2gebsr_wavefront_per_row_multipass_kernelILi256ELi8ELi32ELi32EfEEv20rocsparse_direction_iiiiii21rocsparse_index_base_PKT3_PKiS7_S2_PS3_PiS9_: ; @_ZN9rocsparseL44csr2gebsr_wavefront_per_row_multipass_kernelILi256ELi8ELi32ELi32EfEEv20rocsparse_direction_iiiiii21rocsparse_index_base_PKT3_PKiS7_S2_PS3_PiS9_
; %bb.0:
	s_clause 0x1
	s_load_b128 s[8:11], s[0:1], 0xc
	s_load_b64 s[4:5], s[0:1], 0x0
	s_bfe_u32 s2, ttmp6, 0x4000c
	s_and_b32 s3, ttmp6, 15
	s_add_co_i32 s2, s2, 1
	s_getreg_b32 s6, hwreg(HW_REG_IB_STS2, 6, 4)
	s_mul_i32 s2, ttmp9, s2
	v_dual_lshrrev_b32 v32, 5, v0 :: v_dual_mov_b32 v2, 0
	s_add_co_i32 s3, s3, s2
	s_cmp_eq_u32 s6, 0
	v_bfe_u32 v1, v0, 2, 3
	s_cselect_b32 s2, ttmp9, s3
	s_clause 0x1
	s_load_b32 s24, s[0:1], 0x1c
	s_load_b64 s[6:7], s[0:1], 0x28
	v_lshl_or_b32 v3, s2, 3, v32
	v_mov_b32_e32 v8, 0
	s_wait_kmcnt 0x0
	s_delay_alu instid0(VALU_DEP_2) | instskip(SKIP_1) | instid1(VALU_DEP_2)
	v_mad_u32 v4, v3, s10, v1
	v_cmp_gt_i32_e32 vcc_lo, s10, v1
	v_cmp_gt_i32_e64 s2, s5, v4
	s_and_b32 s2, vcc_lo, s2
	s_delay_alu instid0(SALU_CYCLE_1)
	s_and_saveexec_b32 s3, s2
	s_cbranch_execz .LBB43_2
; %bb.1:
	global_load_b32 v5, v4, s[6:7] scale_offset
	s_wait_loadcnt 0x0
	v_subrev_nc_u32_e32 v8, s24, v5
.LBB43_2:
	s_or_b32 exec_lo, exec_lo, s3
	v_mov_b32_e32 v33, 0
	s_and_saveexec_b32 s3, s2
	s_cbranch_execz .LBB43_4
; %bb.3:
	global_load_b32 v4, v4, s[6:7] offset:4 scale_offset
	s_wait_loadcnt 0x0
	v_subrev_nc_u32_e32 v33, s24, v4
.LBB43_4:
	s_or_b32 exec_lo, exec_lo, s3
	s_load_b32 s25, s[0:1], 0x38
	s_mov_b32 s3, exec_lo
	v_cmpx_gt_i32_e64 s8, v3
	s_cbranch_execz .LBB43_6
; %bb.5:
	s_load_b64 s[6:7], s[0:1], 0x48
	s_wait_kmcnt 0x0
	global_load_b32 v2, v3, s[6:7] scale_offset
	s_wait_loadcnt 0x0
	v_subrev_nc_u32_e32 v2, s25, v2
.LBB43_6:
	s_or_b32 exec_lo, exec_lo, s3
	s_cmp_lt_i32 s9, 1
	s_cbranch_scc1 .LBB43_59
; %bb.7:
	v_mbcnt_lo_u32_b32 v3, -1, 0
	s_clause 0x3
	s_load_b64 s[12:13], s[0:1], 0x50
	s_load_b64 s[2:3], s[0:1], 0x40
	;; [unrolled: 1-line block ×4, first 2 shown]
	v_mul_lo_u32 v10, s11, v1
	s_cmp_lg_u32 s4, 0
	s_mov_b32 s19, 0
	v_dual_lshlrev_b32 v6, 7, v1 :: v_dual_bitop2_b32 v4, 2, v3 bitop3:0x14
	v_lshl_or_b32 v37, v3, 2, 12
	s_cselect_b32 s8, -1, 0
	s_mov_b32 s18, s10
	s_wait_xcnt 0x0
	v_cmp_gt_i32_e64 s0, 32, v4
	v_xor_b32_e32 v5, 1, v3
	v_lshl_or_b32 v34, v32, 10, v6
	s_ashr_i32 s21, s11, 31
	s_mov_b32 s20, s11
	v_cndmask_b32_e64 v4, v3, v4, s0
	v_cmp_gt_i32_e64 s0, 32, v5
	v_and_b32_e32 v0, 3, v0
	s_mul_u64 s[22:23], s[20:21], s[18:19]
	s_lshl_b32 s18, s10, 2
	v_dual_mov_b32 v45, 0 :: v_dual_cndmask_b32 v5, v3, v5, s0
	v_lshlrev_b32_e32 v35, 2, v4
	v_dual_lshlrev_b32 v12, 2, v0 :: v_dual_lshlrev_b32 v4, 2, v1
	s_delay_alu instid0(VALU_DEP_3) | instskip(SKIP_1) | instid1(VALU_DEP_3)
	v_dual_ashrrev_i32 v11, 31, v10 :: v_dual_lshlrev_b32 v36, 2, v5
	v_dual_mov_b32 v5, 0 :: v_dual_bitop2_b32 v9, 4, v3 bitop3:0x14
	v_or_b32_e32 v38, v34, v12
	s_wait_kmcnt 0x0
	s_delay_alu instid0(VALU_DEP_3)
	v_lshl_add_u64 v[14:15], v[10:11], 2, s[2:3]
	v_mul_lo_u32 v10, v0, s10
	v_add_nc_u64_e32 v[6:7], s[2:3], v[4:5]
	v_xor_b32_e32 v4, 8, v3
	v_dual_mov_b32 v13, v5 :: v_dual_bitop2_b32 v1, 16, v3 bitop3:0x14
	s_abs_i32 s10, s11
	v_mov_b32_e32 v42, 0x7c
	s_cvt_f32_u32 s5, s10
	s_delay_alu instid0(VALU_DEP_2) | instskip(SKIP_2) | instid1(VALU_DEP_3)
	v_cmp_gt_i32_e64 s0, 32, v1
	v_add_nc_u64_e32 v[12:13], v[14:15], v[12:13]
	v_dual_mov_b32 v15, v5 :: v_dual_mov_b32 v27, v5
	v_dual_mov_b32 v43, 1 :: v_dual_cndmask_b32 v11, v3, v1, s0
	v_cmp_gt_i32_e64 s0, 32, v4
	v_dual_mov_b32 v1, v5 :: v_dual_add_nc_u32 v14, s18, v10
	s_delay_alu instid0(VALU_DEP_3) | instskip(NEXT) | instid1(VALU_DEP_3)
	v_dual_mov_b32 v17, v5 :: v_dual_lshlrev_b32 v39, 2, v11
	v_cndmask_b32_e64 v4, v3, v4, s0
	v_cmp_gt_i32_e64 s0, 32, v9
	s_delay_alu instid0(VALU_DEP_4) | instskip(SKIP_1) | instid1(VALU_DEP_3)
	v_dual_mov_b32 v11, v5 :: v_dual_add_nc_u32 v16, s18, v14
	v_dual_mov_b32 v19, v5 :: v_dual_mov_b32 v23, v5
	v_dual_cndmask_b32 v3, v3, v9, s0 :: v_dual_lshlrev_b32 v40, 2, v4
	v_or_b32_e32 v4, 8, v0
	s_delay_alu instid0(VALU_DEP_4) | instskip(SKIP_1) | instid1(VALU_DEP_3)
	v_add_nc_u32_e32 v18, s18, v16
	v_rcp_iflag_f32_e32 v9, s5
	v_dual_lshlrev_b32 v41, 2, v3 :: v_dual_bitop2_b32 v3, 4, v0 bitop3:0x54
	v_cmp_gt_u32_e64 s0, s11, v0
	v_cmp_gt_u32_e64 s2, s11, v4
	v_dual_add_nc_u32 v20, s18, v18 :: v_dual_bitop2_b32 v4, 16, v0 bitop3:0x54
	s_delay_alu instid0(VALU_DEP_4)
	v_cmp_gt_u32_e64 s1, s11, v3
	v_or_b32_e32 v3, 12, v0
	v_readfirstlane_b32 s26, v9
	s_and_b32 s20, s0, vcc_lo
	v_cmp_gt_u32_e64 s4, s11, v4
	v_or_b32_e32 v4, 24, v0
	v_cmp_gt_u32_e64 s3, s11, v3
	v_dual_mov_b32 v21, v5 :: v_dual_bitop2_b32 v3, 20, v0 bitop3:0x54
	v_add_nc_u32_e32 v22, s18, v20
	s_mul_f32 s0, s26, 0x4f7ffffe
	v_cmp_gt_u32_e64 s6, s11, v4
	s_delay_alu instid0(VALU_DEP_3) | instskip(NEXT) | instid1(VALU_DEP_3)
	v_cmp_gt_u32_e64 s5, s11, v3
	v_dual_add_nc_u32 v24, s18, v22 :: v_dual_bitop2_b32 v3, 28, v0 bitop3:0x54
	s_cvt_u32_f32 s0, s0
	v_mov_b32_e32 v25, v5
	s_and_b32 s1, vcc_lo, s1
	s_delay_alu instid0(VALU_DEP_2)
	v_cmp_gt_u32_e64 s7, s11, v3
	v_add_nc_u32_e32 v26, s18, v24
	s_sub_co_i32 s18, 0, s10
	s_and_b32 s2, vcc_lo, s2
	s_mul_i32 s18, s18, s0
	s_and_b32 s3, vcc_lo, s3
	s_mul_hi_u32 s18, s0, s18
	s_and_b32 s4, vcc_lo, s4
	s_and_b32 s5, vcc_lo, s5
	;; [unrolled: 1-line block ×4, first 2 shown]
	s_add_co_i32 s18, s0, s18
	s_mov_b32 s26, s19
	s_branch .LBB43_10
.LBB43_8:                               ;   in Loop: Header=BB43_10 Depth=1
	s_wait_xcnt 0x0
	s_or_b32 exec_lo, exec_lo, s27
	s_wait_dscnt 0x0
	v_mov_b32_e32 v3, 1
.LBB43_9:                               ;   in Loop: Header=BB43_10 Depth=1
	s_or_b32 exec_lo, exec_lo, s0
	ds_bpermute_b32 v4, v39, v44
	s_wait_storecnt_dscnt 0x0
	v_dual_add_nc_u32 v2, v3, v2 :: v_dual_min_i32 v4, v4, v44
	ds_bpermute_b32 v9, v40, v4
	s_wait_dscnt 0x0
	v_min_i32_e32 v4, v9, v4
	ds_bpermute_b32 v9, v41, v4
	s_wait_dscnt 0x0
	v_min_i32_e32 v4, v9, v4
	;; [unrolled: 3-line block ×4, first 2 shown]
	ds_bpermute_b32 v45, v42, v4
	s_wait_dscnt 0x0
	v_cmp_le_i32_e32 vcc_lo, s9, v45
	s_or_b32 s26, vcc_lo, s26
	s_delay_alu instid0(SALU_CYCLE_1)
	s_and_not1_b32 exec_lo, exec_lo, s26
	s_cbranch_execz .LBB43_59
.LBB43_10:                              ; =>This Loop Header: Depth=1
                                        ;     Child Loop BB43_13 Depth 2
	v_dual_mov_b32 v44, s9 :: v_dual_add_nc_u32 v3, v8, v0
	v_mov_b32_e32 v31, v33
	s_mov_b32 s27, exec_lo
	ds_store_b8 v32, v5 offset:8192
	ds_store_2addr_b32 v38, v5, v5 offset1:4
	ds_store_2addr_b32 v38, v5, v5 offset0:8 offset1:12
	ds_store_2addr_b32 v38, v5, v5 offset0:16 offset1:20
	;; [unrolled: 1-line block ×3, first 2 shown]
	s_wait_dscnt 0x0
	v_cmpx_lt_i32_e64 v3, v33
	s_cbranch_execz .LBB43_18
; %bb.11:                               ;   in Loop: Header=BB43_10 Depth=1
	v_dual_mov_b32 v44, s9 :: v_dual_ashrrev_i32 v9, 31, v8
	v_mul_lo_u32 v30, v45, s11
	v_mov_b32_e32 v31, v33
	s_mov_b32 s28, 0
	s_delay_alu instid0(VALU_DEP_3) | instskip(NEXT) | instid1(VALU_DEP_1)
	v_add_nc_u64_e32 v[8:9], v[0:1], v[8:9]
	v_lshlrev_b64_e32 v[28:29], 2, v[8:9]
	s_delay_alu instid0(VALU_DEP_1)
	v_add_nc_u64_e32 v[8:9], s[16:17], v[28:29]
	v_add_nc_u64_e32 v[28:29], s[14:15], v[28:29]
	s_branch .LBB43_13
.LBB43_12:                              ;   in Loop: Header=BB43_13 Depth=2
	s_wait_xcnt 0x0
	s_or_b32 exec_lo, exec_lo, s0
	v_add_nc_u32_e32 v3, 4, v3
	s_xor_b32 s29, vcc_lo, -1
	v_add_nc_u64_e32 v[8:9], 16, v[8:9]
	v_add_nc_u64_e32 v[28:29], 16, v[28:29]
	s_delay_alu instid0(VALU_DEP_3) | instskip(SKIP_1) | instid1(SALU_CYCLE_1)
	v_cmp_ge_i32_e64 s0, v3, v33
	s_or_b32 s0, s29, s0
	s_and_b32 s0, exec_lo, s0
	s_delay_alu instid0(SALU_CYCLE_1) | instskip(NEXT) | instid1(SALU_CYCLE_1)
	s_or_b32 s28, s0, s28
	s_and_not1_b32 exec_lo, exec_lo, s28
	s_cbranch_execz .LBB43_17
.LBB43_13:                              ;   Parent Loop BB43_10 Depth=1
                                        ; =>  This Inner Loop Header: Depth=2
	global_load_b32 v4, v[8:9], off
	s_wait_loadcnt 0x0
	v_subrev_nc_u32_e32 v46, s24, v4
	s_delay_alu instid0(VALU_DEP_1) | instskip(NEXT) | instid1(VALU_DEP_1)
	v_sub_nc_u32_e32 v4, 0, v46
	v_max_i32_e32 v4, v46, v4
	s_delay_alu instid0(VALU_DEP_1) | instskip(NEXT) | instid1(VALU_DEP_1)
	v_mul_u64_e32 v[48:49], s[18:19], v[4:5]
	v_mul_lo_u32 v47, v49, s10
	s_delay_alu instid0(VALU_DEP_1) | instskip(NEXT) | instid1(VALU_DEP_1)
	v_dual_sub_nc_u32 v4, v4, v47 :: v_dual_add_nc_u32 v47, 1, v49
	v_cmp_le_u32_e32 vcc_lo, s10, v4
	s_delay_alu instid0(VALU_DEP_2) | instskip(SKIP_1) | instid1(VALU_DEP_1)
	v_dual_cndmask_b32 v47, v49, v47, vcc_lo :: v_dual_ashrrev_i32 v49, 31, v46
	v_subrev_nc_u32_e32 v48, s10, v4
	v_dual_cndmask_b32 v4, v4, v48, vcc_lo :: v_dual_add_nc_u32 v48, 1, v47
	s_delay_alu instid0(VALU_DEP_1) | instskip(NEXT) | instid1(VALU_DEP_2)
	v_cmp_le_u32_e32 vcc_lo, s10, v4
	v_dual_cndmask_b32 v4, v47, v48, vcc_lo :: v_dual_bitop2_b32 v49, s21, v49 bitop3:0x14
	s_delay_alu instid0(VALU_DEP_1) | instskip(NEXT) | instid1(VALU_DEP_1)
	v_xor_b32_e32 v4, v4, v49
	v_dual_mov_b32 v4, v31 :: v_dual_sub_nc_u32 v47, v4, v49
	s_delay_alu instid0(VALU_DEP_1) | instskip(SKIP_3) | instid1(SALU_CYCLE_1)
	v_cmp_ne_u32_e64 s0, v47, v45
	v_cmp_eq_u32_e32 vcc_lo, v47, v45
	s_wait_xcnt 0x0
	s_and_saveexec_b32 s29, s0
	s_xor_b32 s0, exec_lo, s29
; %bb.14:                               ;   in Loop: Header=BB43_13 Depth=2
	v_min_i32_e32 v44, v47, v44
                                        ; implicit-def: $vgpr46
                                        ; implicit-def: $vgpr4
; %bb.15:                               ;   in Loop: Header=BB43_13 Depth=2
	s_or_saveexec_b32 s0, s0
	v_mov_b32_e32 v31, v3
	s_xor_b32 exec_lo, exec_lo, s0
	s_cbranch_execz .LBB43_12
; %bb.16:                               ;   in Loop: Header=BB43_13 Depth=2
	global_load_b32 v47, v[28:29], off
	v_sub_nc_u32_e32 v31, v46, v30
	s_delay_alu instid0(VALU_DEP_1)
	v_lshl_add_u32 v46, v31, 2, v34
	v_mov_b32_e32 v31, v4
	ds_store_b8 v32, v43 offset:8192
	s_wait_loadcnt 0x0
	ds_store_b32 v46, v47
	s_branch .LBB43_12
.LBB43_17:                              ;   in Loop: Header=BB43_10 Depth=1
	s_or_b32 exec_lo, exec_lo, s28
.LBB43_18:                              ;   in Loop: Header=BB43_10 Depth=1
	s_delay_alu instid0(SALU_CYCLE_1)
	s_or_b32 exec_lo, exec_lo, s27
	ds_bpermute_b32 v3, v35, v31
	s_wait_dscnt 0x0
	ds_load_u8 v9, v32 offset:8192
	v_min_i32_e32 v3, v3, v31
	ds_bpermute_b32 v4, v36, v3
	s_wait_dscnt 0x0
	v_min_i32_e32 v3, v4, v3
	ds_bpermute_b32 v8, v37, v3
	v_and_b32_e32 v3, 1, v9
	s_delay_alu instid0(VALU_DEP_1)
	v_cmp_eq_u32_e32 vcc_lo, 1, v3
	v_mov_b32_e32 v3, 0
	s_and_saveexec_b32 s0, vcc_lo
	s_cbranch_execz .LBB43_9
; %bb.19:                               ;   in Loop: Header=BB43_10 Depth=1
	v_ashrrev_i32_e32 v3, 31, v2
	s_delay_alu instid0(VALU_DEP_1) | instskip(SKIP_3) | instid1(VALU_DEP_1)
	v_mul_u64_e32 v[28:29], s[22:23], v[2:3]
	v_add_nc_u32_e32 v3, s25, v45
	global_store_b32 v2, v3, s[12:13] scale_offset
	v_lshlrev_b64_e32 v[28:29], 2, v[28:29]
	v_add_nc_u64_e32 v[30:31], v[6:7], v[28:29]
	v_add_nc_u64_e32 v[28:29], v[12:13], v[28:29]
	s_wait_xcnt 0x0
	s_and_saveexec_b32 s27, s20
	s_cbranch_execz .LBB43_23
; %bb.20:                               ;   in Loop: Header=BB43_10 Depth=1
	ds_load_b32 v3, v38
	s_and_b32 vcc_lo, exec_lo, s8
	s_cbranch_vccz .LBB43_50
; %bb.21:                               ;   in Loop: Header=BB43_10 Depth=1
	v_lshl_add_u64 v[46:47], v[10:11], 2, v[30:31]
	s_wait_dscnt 0x0
	global_store_b32 v[46:47], v3, off
	s_cbranch_execnz .LBB43_23
.LBB43_22:                              ;   in Loop: Header=BB43_10 Depth=1
	s_wait_dscnt 0x0
	global_store_b32 v[28:29], v3, off
.LBB43_23:                              ;   in Loop: Header=BB43_10 Depth=1
	s_wait_xcnt 0x0
	s_or_b32 exec_lo, exec_lo, s27
	s_and_saveexec_b32 s27, s1
	s_cbranch_execz .LBB43_27
; %bb.24:                               ;   in Loop: Header=BB43_10 Depth=1
	s_and_not1_b32 vcc_lo, exec_lo, s8
	s_cbranch_vccnz .LBB43_51
; %bb.25:                               ;   in Loop: Header=BB43_10 Depth=1
	s_wait_dscnt 0x0
	ds_load_b32 v3, v38 offset:16
	v_lshl_add_u64 v[46:47], v[14:15], 2, v[30:31]
	s_wait_dscnt 0x0
	global_store_b32 v[46:47], v3, off
	s_cbranch_execnz .LBB43_27
.LBB43_26:                              ;   in Loop: Header=BB43_10 Depth=1
	s_wait_dscnt 0x0
	s_wait_xcnt 0x0
	ds_load_b32 v3, v38 offset:16
	s_wait_dscnt 0x0
	global_store_b32 v[28:29], v3, off offset:16
.LBB43_27:                              ;   in Loop: Header=BB43_10 Depth=1
	s_wait_xcnt 0x0
	s_or_b32 exec_lo, exec_lo, s27
	s_and_saveexec_b32 s27, s2
	s_cbranch_execz .LBB43_31
; %bb.28:                               ;   in Loop: Header=BB43_10 Depth=1
	s_and_not1_b32 vcc_lo, exec_lo, s8
	s_cbranch_vccnz .LBB43_52
; %bb.29:                               ;   in Loop: Header=BB43_10 Depth=1
	s_wait_dscnt 0x0
	ds_load_b32 v3, v38 offset:32
	v_lshl_add_u64 v[46:47], v[16:17], 2, v[30:31]
	s_wait_dscnt 0x0
	global_store_b32 v[46:47], v3, off
	s_cbranch_execnz .LBB43_31
.LBB43_30:                              ;   in Loop: Header=BB43_10 Depth=1
	s_wait_dscnt 0x0
	s_wait_xcnt 0x0
	ds_load_b32 v3, v38 offset:32
	s_wait_dscnt 0x0
	global_store_b32 v[28:29], v3, off offset:32
.LBB43_31:                              ;   in Loop: Header=BB43_10 Depth=1
	s_wait_xcnt 0x0
	s_or_b32 exec_lo, exec_lo, s27
	s_and_saveexec_b32 s27, s3
	s_cbranch_execz .LBB43_35
; %bb.32:                               ;   in Loop: Header=BB43_10 Depth=1
	s_and_not1_b32 vcc_lo, exec_lo, s8
	s_cbranch_vccnz .LBB43_53
; %bb.33:                               ;   in Loop: Header=BB43_10 Depth=1
	s_wait_dscnt 0x0
	ds_load_b32 v3, v38 offset:48
	v_lshl_add_u64 v[46:47], v[18:19], 2, v[30:31]
	s_wait_dscnt 0x0
	global_store_b32 v[46:47], v3, off
	s_cbranch_execnz .LBB43_35
.LBB43_34:                              ;   in Loop: Header=BB43_10 Depth=1
	s_wait_dscnt 0x0
	s_wait_xcnt 0x0
	ds_load_b32 v3, v38 offset:48
	s_wait_dscnt 0x0
	global_store_b32 v[28:29], v3, off offset:48
.LBB43_35:                              ;   in Loop: Header=BB43_10 Depth=1
	s_wait_xcnt 0x0
	s_or_b32 exec_lo, exec_lo, s27
	s_and_saveexec_b32 s27, s4
	s_cbranch_execz .LBB43_39
; %bb.36:                               ;   in Loop: Header=BB43_10 Depth=1
	s_and_not1_b32 vcc_lo, exec_lo, s8
	s_cbranch_vccnz .LBB43_54
; %bb.37:                               ;   in Loop: Header=BB43_10 Depth=1
	s_wait_dscnt 0x0
	ds_load_b32 v3, v38 offset:64
	v_lshl_add_u64 v[46:47], v[20:21], 2, v[30:31]
	s_wait_dscnt 0x0
	global_store_b32 v[46:47], v3, off
	s_cbranch_execnz .LBB43_39
.LBB43_38:                              ;   in Loop: Header=BB43_10 Depth=1
	s_wait_dscnt 0x0
	s_wait_xcnt 0x0
	ds_load_b32 v3, v38 offset:64
	s_wait_dscnt 0x0
	global_store_b32 v[28:29], v3, off offset:64
.LBB43_39:                              ;   in Loop: Header=BB43_10 Depth=1
	s_wait_xcnt 0x0
	s_or_b32 exec_lo, exec_lo, s27
	s_and_saveexec_b32 s27, s5
	s_cbranch_execz .LBB43_43
; %bb.40:                               ;   in Loop: Header=BB43_10 Depth=1
	s_and_not1_b32 vcc_lo, exec_lo, s8
	s_cbranch_vccnz .LBB43_55
; %bb.41:                               ;   in Loop: Header=BB43_10 Depth=1
	s_wait_dscnt 0x0
	ds_load_b32 v3, v38 offset:80
	v_lshl_add_u64 v[46:47], v[22:23], 2, v[30:31]
	s_wait_dscnt 0x0
	global_store_b32 v[46:47], v3, off
	s_cbranch_execnz .LBB43_43
.LBB43_42:                              ;   in Loop: Header=BB43_10 Depth=1
	s_wait_dscnt 0x0
	s_wait_xcnt 0x0
	ds_load_b32 v3, v38 offset:80
	s_wait_dscnt 0x0
	global_store_b32 v[28:29], v3, off offset:80
.LBB43_43:                              ;   in Loop: Header=BB43_10 Depth=1
	s_wait_xcnt 0x0
	s_or_b32 exec_lo, exec_lo, s27
	s_and_saveexec_b32 s27, s6
	s_cbranch_execz .LBB43_47
; %bb.44:                               ;   in Loop: Header=BB43_10 Depth=1
	s_and_not1_b32 vcc_lo, exec_lo, s8
	s_cbranch_vccnz .LBB43_56
; %bb.45:                               ;   in Loop: Header=BB43_10 Depth=1
	s_wait_dscnt 0x0
	ds_load_b32 v3, v38 offset:96
	v_lshl_add_u64 v[46:47], v[24:25], 2, v[30:31]
	s_wait_dscnt 0x0
	global_store_b32 v[46:47], v3, off
	s_cbranch_execnz .LBB43_47
.LBB43_46:                              ;   in Loop: Header=BB43_10 Depth=1
	s_wait_dscnt 0x0
	s_wait_xcnt 0x0
	ds_load_b32 v3, v38 offset:96
	s_wait_dscnt 0x0
	global_store_b32 v[28:29], v3, off offset:96
.LBB43_47:                              ;   in Loop: Header=BB43_10 Depth=1
	s_wait_xcnt 0x0
	s_or_b32 exec_lo, exec_lo, s27
	s_and_saveexec_b32 s27, s7
	s_cbranch_execz .LBB43_8
; %bb.48:                               ;   in Loop: Header=BB43_10 Depth=1
	s_and_not1_b32 vcc_lo, exec_lo, s8
	s_cbranch_vccnz .LBB43_57
; %bb.49:                               ;   in Loop: Header=BB43_10 Depth=1
	s_wait_dscnt 0x0
	ds_load_b32 v3, v38 offset:112
	v_lshl_add_u64 v[30:31], v[26:27], 2, v[30:31]
	s_wait_dscnt 0x0
	global_store_b32 v[30:31], v3, off
	s_cbranch_execnz .LBB43_8
	s_branch .LBB43_58
.LBB43_50:                              ;   in Loop: Header=BB43_10 Depth=1
	s_branch .LBB43_22
.LBB43_51:                              ;   in Loop: Header=BB43_10 Depth=1
	s_branch .LBB43_26
.LBB43_52:                              ;   in Loop: Header=BB43_10 Depth=1
	s_branch .LBB43_30
.LBB43_53:                              ;   in Loop: Header=BB43_10 Depth=1
	s_branch .LBB43_34
.LBB43_54:                              ;   in Loop: Header=BB43_10 Depth=1
	s_branch .LBB43_38
.LBB43_55:                              ;   in Loop: Header=BB43_10 Depth=1
	s_branch .LBB43_42
.LBB43_56:                              ;   in Loop: Header=BB43_10 Depth=1
	s_branch .LBB43_46
.LBB43_57:                              ;   in Loop: Header=BB43_10 Depth=1
.LBB43_58:                              ;   in Loop: Header=BB43_10 Depth=1
	s_wait_dscnt 0x0
	s_wait_xcnt 0x0
	ds_load_b32 v3, v38 offset:112
	s_wait_dscnt 0x0
	global_store_b32 v[28:29], v3, off offset:112
	s_branch .LBB43_8
.LBB43_59:
	s_endpgm
	.section	.rodata,"a",@progbits
	.p2align	6, 0x0
	.amdhsa_kernel _ZN9rocsparseL44csr2gebsr_wavefront_per_row_multipass_kernelILi256ELi8ELi32ELi32EfEEv20rocsparse_direction_iiiiii21rocsparse_index_base_PKT3_PKiS7_S2_PS3_PiS9_
		.amdhsa_group_segment_fixed_size 8200
		.amdhsa_private_segment_fixed_size 0
		.amdhsa_kernarg_size 88
		.amdhsa_user_sgpr_count 2
		.amdhsa_user_sgpr_dispatch_ptr 0
		.amdhsa_user_sgpr_queue_ptr 0
		.amdhsa_user_sgpr_kernarg_segment_ptr 1
		.amdhsa_user_sgpr_dispatch_id 0
		.amdhsa_user_sgpr_kernarg_preload_length 0
		.amdhsa_user_sgpr_kernarg_preload_offset 0
		.amdhsa_user_sgpr_private_segment_size 0
		.amdhsa_wavefront_size32 1
		.amdhsa_uses_dynamic_stack 0
		.amdhsa_enable_private_segment 0
		.amdhsa_system_sgpr_workgroup_id_x 1
		.amdhsa_system_sgpr_workgroup_id_y 0
		.amdhsa_system_sgpr_workgroup_id_z 0
		.amdhsa_system_sgpr_workgroup_info 0
		.amdhsa_system_vgpr_workitem_id 0
		.amdhsa_next_free_vgpr 50
		.amdhsa_next_free_sgpr 30
		.amdhsa_named_barrier_count 0
		.amdhsa_reserve_vcc 1
		.amdhsa_float_round_mode_32 0
		.amdhsa_float_round_mode_16_64 0
		.amdhsa_float_denorm_mode_32 3
		.amdhsa_float_denorm_mode_16_64 3
		.amdhsa_fp16_overflow 0
		.amdhsa_memory_ordered 1
		.amdhsa_forward_progress 1
		.amdhsa_inst_pref_size 19
		.amdhsa_round_robin_scheduling 0
		.amdhsa_exception_fp_ieee_invalid_op 0
		.amdhsa_exception_fp_denorm_src 0
		.amdhsa_exception_fp_ieee_div_zero 0
		.amdhsa_exception_fp_ieee_overflow 0
		.amdhsa_exception_fp_ieee_underflow 0
		.amdhsa_exception_fp_ieee_inexact 0
		.amdhsa_exception_int_div_zero 0
	.end_amdhsa_kernel
	.section	.text._ZN9rocsparseL44csr2gebsr_wavefront_per_row_multipass_kernelILi256ELi8ELi32ELi32EfEEv20rocsparse_direction_iiiiii21rocsparse_index_base_PKT3_PKiS7_S2_PS3_PiS9_,"axG",@progbits,_ZN9rocsparseL44csr2gebsr_wavefront_per_row_multipass_kernelILi256ELi8ELi32ELi32EfEEv20rocsparse_direction_iiiiii21rocsparse_index_base_PKT3_PKiS7_S2_PS3_PiS9_,comdat
.Lfunc_end43:
	.size	_ZN9rocsparseL44csr2gebsr_wavefront_per_row_multipass_kernelILi256ELi8ELi32ELi32EfEEv20rocsparse_direction_iiiiii21rocsparse_index_base_PKT3_PKiS7_S2_PS3_PiS9_, .Lfunc_end43-_ZN9rocsparseL44csr2gebsr_wavefront_per_row_multipass_kernelILi256ELi8ELi32ELi32EfEEv20rocsparse_direction_iiiiii21rocsparse_index_base_PKT3_PKiS7_S2_PS3_PiS9_
                                        ; -- End function
	.set _ZN9rocsparseL44csr2gebsr_wavefront_per_row_multipass_kernelILi256ELi8ELi32ELi32EfEEv20rocsparse_direction_iiiiii21rocsparse_index_base_PKT3_PKiS7_S2_PS3_PiS9_.num_vgpr, 50
	.set _ZN9rocsparseL44csr2gebsr_wavefront_per_row_multipass_kernelILi256ELi8ELi32ELi32EfEEv20rocsparse_direction_iiiiii21rocsparse_index_base_PKT3_PKiS7_S2_PS3_PiS9_.num_agpr, 0
	.set _ZN9rocsparseL44csr2gebsr_wavefront_per_row_multipass_kernelILi256ELi8ELi32ELi32EfEEv20rocsparse_direction_iiiiii21rocsparse_index_base_PKT3_PKiS7_S2_PS3_PiS9_.numbered_sgpr, 30
	.set _ZN9rocsparseL44csr2gebsr_wavefront_per_row_multipass_kernelILi256ELi8ELi32ELi32EfEEv20rocsparse_direction_iiiiii21rocsparse_index_base_PKT3_PKiS7_S2_PS3_PiS9_.num_named_barrier, 0
	.set _ZN9rocsparseL44csr2gebsr_wavefront_per_row_multipass_kernelILi256ELi8ELi32ELi32EfEEv20rocsparse_direction_iiiiii21rocsparse_index_base_PKT3_PKiS7_S2_PS3_PiS9_.private_seg_size, 0
	.set _ZN9rocsparseL44csr2gebsr_wavefront_per_row_multipass_kernelILi256ELi8ELi32ELi32EfEEv20rocsparse_direction_iiiiii21rocsparse_index_base_PKT3_PKiS7_S2_PS3_PiS9_.uses_vcc, 1
	.set _ZN9rocsparseL44csr2gebsr_wavefront_per_row_multipass_kernelILi256ELi8ELi32ELi32EfEEv20rocsparse_direction_iiiiii21rocsparse_index_base_PKT3_PKiS7_S2_PS3_PiS9_.uses_flat_scratch, 0
	.set _ZN9rocsparseL44csr2gebsr_wavefront_per_row_multipass_kernelILi256ELi8ELi32ELi32EfEEv20rocsparse_direction_iiiiii21rocsparse_index_base_PKT3_PKiS7_S2_PS3_PiS9_.has_dyn_sized_stack, 0
	.set _ZN9rocsparseL44csr2gebsr_wavefront_per_row_multipass_kernelILi256ELi8ELi32ELi32EfEEv20rocsparse_direction_iiiiii21rocsparse_index_base_PKT3_PKiS7_S2_PS3_PiS9_.has_recursion, 0
	.set _ZN9rocsparseL44csr2gebsr_wavefront_per_row_multipass_kernelILi256ELi8ELi32ELi32EfEEv20rocsparse_direction_iiiiii21rocsparse_index_base_PKT3_PKiS7_S2_PS3_PiS9_.has_indirect_call, 0
	.section	.AMDGPU.csdata,"",@progbits
; Kernel info:
; codeLenInByte = 2376
; TotalNumSgprs: 32
; NumVgprs: 50
; ScratchSize: 0
; MemoryBound: 0
; FloatMode: 240
; IeeeMode: 1
; LDSByteSize: 8200 bytes/workgroup (compile time only)
; SGPRBlocks: 0
; VGPRBlocks: 3
; NumSGPRsForWavesPerEU: 32
; NumVGPRsForWavesPerEU: 50
; NamedBarCnt: 0
; Occupancy: 16
; WaveLimiterHint : 0
; COMPUTE_PGM_RSRC2:SCRATCH_EN: 0
; COMPUTE_PGM_RSRC2:USER_SGPR: 2
; COMPUTE_PGM_RSRC2:TRAP_HANDLER: 0
; COMPUTE_PGM_RSRC2:TGID_X_EN: 1
; COMPUTE_PGM_RSRC2:TGID_Y_EN: 0
; COMPUTE_PGM_RSRC2:TGID_Z_EN: 0
; COMPUTE_PGM_RSRC2:TIDIG_COMP_CNT: 0
	.section	.text._ZN9rocsparseL44csr2gebsr_wavefront_per_row_multipass_kernelILi256ELi8ELi64ELi64EfEEv20rocsparse_direction_iiiiii21rocsparse_index_base_PKT3_PKiS7_S2_PS3_PiS9_,"axG",@progbits,_ZN9rocsparseL44csr2gebsr_wavefront_per_row_multipass_kernelILi256ELi8ELi64ELi64EfEEv20rocsparse_direction_iiiiii21rocsparse_index_base_PKT3_PKiS7_S2_PS3_PiS9_,comdat
	.globl	_ZN9rocsparseL44csr2gebsr_wavefront_per_row_multipass_kernelILi256ELi8ELi64ELi64EfEEv20rocsparse_direction_iiiiii21rocsparse_index_base_PKT3_PKiS7_S2_PS3_PiS9_ ; -- Begin function _ZN9rocsparseL44csr2gebsr_wavefront_per_row_multipass_kernelILi256ELi8ELi64ELi64EfEEv20rocsparse_direction_iiiiii21rocsparse_index_base_PKT3_PKiS7_S2_PS3_PiS9_
	.p2align	8
	.type	_ZN9rocsparseL44csr2gebsr_wavefront_per_row_multipass_kernelILi256ELi8ELi64ELi64EfEEv20rocsparse_direction_iiiiii21rocsparse_index_base_PKT3_PKiS7_S2_PS3_PiS9_,@function
_ZN9rocsparseL44csr2gebsr_wavefront_per_row_multipass_kernelILi256ELi8ELi64ELi64EfEEv20rocsparse_direction_iiiiii21rocsparse_index_base_PKT3_PKiS7_S2_PS3_PiS9_: ; @_ZN9rocsparseL44csr2gebsr_wavefront_per_row_multipass_kernelILi256ELi8ELi64ELi64EfEEv20rocsparse_direction_iiiiii21rocsparse_index_base_PKT3_PKiS7_S2_PS3_PiS9_
; %bb.0:
	s_clause 0x1
	s_load_b128 s[8:11], s[0:1], 0xc
	s_load_b64 s[4:5], s[0:1], 0x0
	s_bfe_u32 s2, ttmp6, 0x4000c
	s_and_b32 s3, ttmp6, 15
	s_add_co_i32 s2, s2, 1
	s_getreg_b32 s6, hwreg(HW_REG_IB_STS2, 6, 4)
	s_mul_i32 s2, ttmp9, s2
	v_dual_lshrrev_b32 v32, 6, v0 :: v_dual_mov_b32 v2, 0
	s_add_co_i32 s3, s3, s2
	s_cmp_eq_u32 s6, 0
	v_bfe_u32 v1, v0, 3, 3
	s_cselect_b32 s2, ttmp9, s3
	s_clause 0x1
	s_load_b32 s24, s[0:1], 0x1c
	s_load_b64 s[6:7], s[0:1], 0x28
	v_lshl_or_b32 v3, s2, 2, v32
	v_mov_b32_e32 v8, 0
	s_wait_kmcnt 0x0
	s_delay_alu instid0(VALU_DEP_2) | instskip(SKIP_1) | instid1(VALU_DEP_2)
	v_mad_u32 v4, v3, s10, v1
	v_cmp_gt_i32_e32 vcc_lo, s10, v1
	v_cmp_gt_i32_e64 s2, s5, v4
	s_and_b32 s2, vcc_lo, s2
	s_delay_alu instid0(SALU_CYCLE_1)
	s_and_saveexec_b32 s3, s2
	s_cbranch_execz .LBB44_2
; %bb.1:
	global_load_b32 v5, v4, s[6:7] scale_offset
	s_wait_loadcnt 0x0
	v_subrev_nc_u32_e32 v8, s24, v5
.LBB44_2:
	s_or_b32 exec_lo, exec_lo, s3
	v_mov_b32_e32 v33, 0
	s_and_saveexec_b32 s3, s2
	s_cbranch_execz .LBB44_4
; %bb.3:
	global_load_b32 v4, v4, s[6:7] offset:4 scale_offset
	s_wait_loadcnt 0x0
	v_subrev_nc_u32_e32 v33, s24, v4
.LBB44_4:
	s_or_b32 exec_lo, exec_lo, s3
	s_load_b32 s25, s[0:1], 0x38
	s_mov_b32 s3, exec_lo
	v_cmpx_gt_i32_e64 s8, v3
	s_cbranch_execz .LBB44_6
; %bb.5:
	s_load_b64 s[6:7], s[0:1], 0x48
	s_wait_kmcnt 0x0
	global_load_b32 v2, v3, s[6:7] scale_offset
	s_wait_loadcnt 0x0
	v_subrev_nc_u32_e32 v2, s25, v2
.LBB44_6:
	s_or_b32 exec_lo, exec_lo, s3
	s_cmp_lt_i32 s9, 1
	s_cbranch_scc1 .LBB44_59
; %bb.7:
	v_dual_lshlrev_b32 v3, 8, v1 :: v_dual_bitop2_b32 v0, 7, v0 bitop3:0x40
	v_mbcnt_lo_u32_b32 v9, -1, 0
	s_clause 0x3
	s_load_b64 s[12:13], s[0:1], 0x50
	s_load_b64 s[2:3], s[0:1], 0x40
	;; [unrolled: 1-line block ×4, first 2 shown]
	v_mul_lo_u32 v10, s11, v1
	v_lshl_or_b32 v34, v32, 11, v3
	s_cmp_lg_u32 s4, 0
	v_xor_b32_e32 v3, 1, v9
	v_xor_b32_e32 v4, 4, v9
	s_mov_b32 s19, 0
	s_cselect_b32 s8, -1, 0
	s_mov_b32 s18, s10
	s_ashr_i32 s21, s11, 31
	s_wait_xcnt 0x0
	v_cmp_gt_i32_e64 s0, 32, v4
	v_xor_b32_e32 v5, 2, v9
	s_mov_b32 s20, s11
	v_lshl_or_b32 v38, v9, 2, 28
	s_mul_u64 s[22:23], s[20:21], s[18:19]
	v_cndmask_b32_e64 v4, v9, v4, s0
	v_cmp_gt_i32_e64 s0, 32, v5
	s_lshl_b32 s18, s10, 3
	v_bfrev_b32_e32 v43, 0.5
	v_dual_mov_b32 v46, 0 :: v_dual_lshlrev_b32 v35, 2, v4
	v_cndmask_b32_e64 v5, v9, v5, s0
	v_cmp_gt_i32_e64 s0, 32, v3
	v_dual_lshlrev_b32 v4, 2, v1 :: v_dual_lshlrev_b32 v12, 2, v0
	v_dual_mov_b32 v44, 1 :: v_dual_ashrrev_i32 v11, 31, v10
	s_delay_alu instid0(VALU_DEP_2) | instskip(SKIP_1) | instid1(VALU_DEP_2)
	v_dual_cndmask_b32 v3, v9, v3, s0 :: v_dual_bitop2_b32 v39, v34, v12 bitop3:0x54
	s_wait_kmcnt 0x0
	v_lshl_add_u64 v[14:15], v[10:11], 2, s[2:3]
	v_mul_lo_u32 v10, v0, s10
	s_delay_alu instid0(VALU_DEP_3) | instskip(SKIP_2) | instid1(SALU_CYCLE_1)
	v_dual_lshlrev_b32 v37, 2, v3 :: v_dual_lshlrev_b32 v36, 2, v5
	v_dual_mov_b32 v5, 0 :: v_dual_bitop2_b32 v1, 32, v9 bitop3:0x54
	s_abs_i32 s10, s11
	s_cvt_f32_u32 s5, s10
	s_delay_alu instid0(VALU_DEP_1) | instskip(SKIP_4) | instid1(VALU_DEP_4)
	v_add_nc_u64_e32 v[6:7], s[2:3], v[4:5]
	v_dual_mov_b32 v13, v5 :: v_dual_bitop2_b32 v4, 8, v9 bitop3:0x14
	v_xor_b32_e32 v3, 16, v9
	v_cmp_gt_i32_e64 s0, 32, v1
	v_mov_b32_e32 v27, v5
	v_add_nc_u64_e32 v[12:13], v[14:15], v[12:13]
	v_dual_mov_b32 v15, v5 :: v_dual_add_nc_u32 v14, s18, v10
	s_delay_alu instid0(VALU_DEP_4) | instskip(SKIP_2) | instid1(VALU_DEP_4)
	v_cndmask_b32_e64 v11, v9, v1, s0
	v_cmp_gt_i32_e64 s0, 32, v3
	v_dual_mov_b32 v17, v5 :: v_dual_mov_b32 v19, v5
	v_dual_mov_b32 v23, v5 :: v_dual_add_nc_u32 v16, s18, v14
	s_delay_alu instid0(VALU_DEP_3) | instskip(SKIP_1) | instid1(VALU_DEP_2)
	v_cndmask_b32_e64 v3, v9, v3, s0
	v_cmp_gt_i32_e64 s0, 32, v4
	v_dual_add_nc_u32 v18, s18, v16 :: v_dual_lshlrev_b32 v41, 2, v3
	s_delay_alu instid0(VALU_DEP_2) | instskip(SKIP_3) | instid1(VALU_DEP_3)
	v_cndmask_b32_e64 v4, v9, v4, s0
	v_or_b32_e32 v3, 8, v0
	v_rcp_iflag_f32_e32 v9, s5
	v_dual_mov_b32 v1, v5 :: v_dual_lshlrev_b32 v40, 2, v11
	v_lshlrev_b32_e32 v42, 2, v4
	v_dual_mov_b32 v11, v5 :: v_dual_bitop2_b32 v4, 16, v0 bitop3:0x54
	v_cmp_gt_u32_e64 s1, s11, v3
	v_dual_add_nc_u32 v20, s18, v18 :: v_dual_bitop2_b32 v3, 24, v0 bitop3:0x54
	v_cmp_gt_u32_e64 s0, s11, v0
	v_readfirstlane_b32 s26, v9
	v_cmp_gt_u32_e64 s2, s11, v4
	s_delay_alu instid0(VALU_DEP_4)
	v_cmp_gt_u32_e64 s3, s11, v3
	v_dual_mov_b32 v21, v5 :: v_dual_bitop2_b32 v3, 40, v0 bitop3:0x54
	v_add_nc_u32_e32 v22, s18, v20
	v_or_b32_e32 v4, 32, v0
	s_and_b32 s20, s0, vcc_lo
	s_mul_f32 s0, s26, 0x4f7ffffe
	v_cmp_gt_u32_e64 s5, s11, v3
	v_dual_add_nc_u32 v24, s18, v22 :: v_dual_bitop2_b32 v3, 56, v0 bitop3:0x54
	v_cmp_gt_u32_e64 s4, s11, v4
	v_or_b32_e32 v4, 48, v0
	s_cvt_u32_f32 s0, s0
	v_dual_mov_b32 v25, v5 :: v_dual_add_nc_u32 v26, s18, v24
	s_sub_co_i32 s18, 0, s10
	s_delay_alu instid0(VALU_DEP_2)
	v_cmp_gt_u32_e64 s6, s11, v4
	v_cmp_gt_u32_e64 s7, s11, v3
	s_mul_i32 s18, s18, s0
	s_and_b32 s1, vcc_lo, s1
	s_mul_hi_u32 s18, s0, s18
	s_and_b32 s2, vcc_lo, s2
	s_and_b32 s3, vcc_lo, s3
	s_and_b32 s4, vcc_lo, s4
	s_and_b32 s5, vcc_lo, s5
	s_and_b32 s6, vcc_lo, s6
	s_and_b32 s7, vcc_lo, s7
	s_add_co_i32 s18, s0, s18
	s_mov_b32 s26, s19
	s_branch .LBB44_10
.LBB44_8:                               ;   in Loop: Header=BB44_10 Depth=1
	s_wait_xcnt 0x0
	s_or_b32 exec_lo, exec_lo, s27
	s_wait_dscnt 0x0
	v_mov_b32_e32 v3, 1
.LBB44_9:                               ;   in Loop: Header=BB44_10 Depth=1
	s_or_b32 exec_lo, exec_lo, s0
	ds_bpermute_b32 v4, v40, v45
	s_wait_storecnt_dscnt 0x0
	v_dual_add_nc_u32 v2, v3, v2 :: v_dual_min_i32 v4, v4, v45
	ds_bpermute_b32 v9, v41, v4
	s_wait_dscnt 0x0
	v_min_i32_e32 v4, v9, v4
	ds_bpermute_b32 v9, v42, v4
	s_wait_dscnt 0x0
	v_min_i32_e32 v4, v9, v4
	ds_bpermute_b32 v9, v35, v4
	s_wait_dscnt 0x0
	v_min_i32_e32 v4, v9, v4
	ds_bpermute_b32 v9, v36, v4
	s_wait_dscnt 0x0
	v_min_i32_e32 v4, v9, v4
	ds_bpermute_b32 v9, v37, v4
	s_wait_dscnt 0x0
	v_min_i32_e32 v4, v9, v4
	ds_bpermute_b32 v46, v43, v4
	s_wait_dscnt 0x0
	v_cmp_le_i32_e32 vcc_lo, s9, v46
	s_or_b32 s26, vcc_lo, s26
	s_delay_alu instid0(SALU_CYCLE_1)
	s_and_not1_b32 exec_lo, exec_lo, s26
	s_cbranch_execz .LBB44_59
.LBB44_10:                              ; =>This Loop Header: Depth=1
                                        ;     Child Loop BB44_13 Depth 2
	v_dual_add_nc_u32 v3, v8, v0 :: v_dual_mov_b32 v45, s9
	v_mov_b32_e32 v31, v33
	s_mov_b32 s27, exec_lo
	ds_store_b8 v32, v5 offset:8192
	ds_store_2addr_b32 v39, v5, v5 offset1:8
	ds_store_2addr_b32 v39, v5, v5 offset0:16 offset1:24
	ds_store_2addr_b32 v39, v5, v5 offset0:32 offset1:40
	;; [unrolled: 1-line block ×3, first 2 shown]
	s_wait_dscnt 0x0
	v_cmpx_lt_i32_e64 v3, v33
	s_cbranch_execz .LBB44_18
; %bb.11:                               ;   in Loop: Header=BB44_10 Depth=1
	v_dual_ashrrev_i32 v9, 31, v8 :: v_dual_mov_b32 v45, s9
	v_mul_lo_u32 v30, v46, s11
	v_mov_b32_e32 v31, v33
	s_mov_b32 s28, 0
	s_delay_alu instid0(VALU_DEP_3) | instskip(NEXT) | instid1(VALU_DEP_1)
	v_add_nc_u64_e32 v[8:9], v[0:1], v[8:9]
	v_lshlrev_b64_e32 v[28:29], 2, v[8:9]
	s_delay_alu instid0(VALU_DEP_1)
	v_add_nc_u64_e32 v[8:9], s[16:17], v[28:29]
	v_add_nc_u64_e32 v[28:29], s[14:15], v[28:29]
	s_branch .LBB44_13
.LBB44_12:                              ;   in Loop: Header=BB44_13 Depth=2
	s_wait_xcnt 0x0
	s_or_b32 exec_lo, exec_lo, s0
	v_add_nc_u32_e32 v3, 8, v3
	s_xor_b32 s29, vcc_lo, -1
	v_add_nc_u64_e32 v[8:9], 32, v[8:9]
	v_add_nc_u64_e32 v[28:29], 32, v[28:29]
	s_delay_alu instid0(VALU_DEP_3) | instskip(SKIP_1) | instid1(SALU_CYCLE_1)
	v_cmp_ge_i32_e64 s0, v3, v33
	s_or_b32 s0, s29, s0
	s_and_b32 s0, exec_lo, s0
	s_delay_alu instid0(SALU_CYCLE_1) | instskip(NEXT) | instid1(SALU_CYCLE_1)
	s_or_b32 s28, s0, s28
	s_and_not1_b32 exec_lo, exec_lo, s28
	s_cbranch_execz .LBB44_17
.LBB44_13:                              ;   Parent Loop BB44_10 Depth=1
                                        ; =>  This Inner Loop Header: Depth=2
	global_load_b32 v4, v[8:9], off
	s_wait_loadcnt 0x0
	v_subrev_nc_u32_e32 v47, s24, v4
	s_delay_alu instid0(VALU_DEP_1) | instskip(NEXT) | instid1(VALU_DEP_1)
	v_sub_nc_u32_e32 v4, 0, v47
	v_max_i32_e32 v4, v47, v4
	s_delay_alu instid0(VALU_DEP_1) | instskip(NEXT) | instid1(VALU_DEP_1)
	v_mul_u64_e32 v[48:49], s[18:19], v[4:5]
	v_mul_lo_u32 v48, v49, s10
	s_delay_alu instid0(VALU_DEP_1) | instskip(NEXT) | instid1(VALU_DEP_1)
	v_dual_sub_nc_u32 v4, v4, v48 :: v_dual_add_nc_u32 v48, 1, v49
	v_cmp_le_u32_e32 vcc_lo, s10, v4
	s_delay_alu instid0(VALU_DEP_2) | instskip(SKIP_1) | instid1(VALU_DEP_1)
	v_cndmask_b32_e32 v48, v49, v48, vcc_lo
	v_subrev_nc_u32_e32 v50, s10, v4
	v_dual_cndmask_b32 v4, v4, v50 :: v_dual_ashrrev_i32 v49, 31, v47
	s_delay_alu instid0(VALU_DEP_3) | instskip(NEXT) | instid1(VALU_DEP_2)
	v_add_nc_u32_e32 v50, 1, v48
	v_cmp_le_u32_e32 vcc_lo, s10, v4
	s_delay_alu instid0(VALU_DEP_2) | instskip(NEXT) | instid1(VALU_DEP_1)
	v_dual_cndmask_b32 v4, v48, v50, vcc_lo :: v_dual_bitop2_b32 v49, s21, v49 bitop3:0x14
	v_xor_b32_e32 v4, v4, v49
	s_delay_alu instid0(VALU_DEP_1) | instskip(NEXT) | instid1(VALU_DEP_1)
	v_dual_sub_nc_u32 v48, v4, v49 :: v_dual_mov_b32 v4, v31
	v_cmp_ne_u32_e64 s0, v48, v46
	v_cmp_eq_u32_e32 vcc_lo, v48, v46
	s_wait_xcnt 0x0
	s_and_saveexec_b32 s29, s0
	s_delay_alu instid0(SALU_CYCLE_1)
	s_xor_b32 s0, exec_lo, s29
; %bb.14:                               ;   in Loop: Header=BB44_13 Depth=2
	v_min_i32_e32 v45, v48, v45
                                        ; implicit-def: $vgpr47
                                        ; implicit-def: $vgpr4
; %bb.15:                               ;   in Loop: Header=BB44_13 Depth=2
	s_or_saveexec_b32 s0, s0
	v_mov_b32_e32 v31, v3
	s_xor_b32 exec_lo, exec_lo, s0
	s_cbranch_execz .LBB44_12
; %bb.16:                               ;   in Loop: Header=BB44_13 Depth=2
	global_load_b32 v48, v[28:29], off
	v_sub_nc_u32_e32 v31, v47, v30
	s_delay_alu instid0(VALU_DEP_1)
	v_lshl_add_u32 v47, v31, 2, v34
	v_mov_b32_e32 v31, v4
	ds_store_b8 v32, v44 offset:8192
	s_wait_loadcnt 0x0
	ds_store_b32 v47, v48
	s_branch .LBB44_12
.LBB44_17:                              ;   in Loop: Header=BB44_10 Depth=1
	s_or_b32 exec_lo, exec_lo, s28
.LBB44_18:                              ;   in Loop: Header=BB44_10 Depth=1
	s_delay_alu instid0(SALU_CYCLE_1)
	s_or_b32 exec_lo, exec_lo, s27
	ds_bpermute_b32 v3, v35, v31
	s_wait_dscnt 0x0
	ds_load_u8 v9, v32 offset:8192
	v_min_i32_e32 v3, v3, v31
	ds_bpermute_b32 v4, v36, v3
	s_wait_dscnt 0x0
	v_min_i32_e32 v3, v4, v3
	ds_bpermute_b32 v4, v37, v3
	s_wait_dscnt 0x0
	v_min_i32_e32 v3, v4, v3
	ds_bpermute_b32 v8, v38, v3
	v_and_b32_e32 v3, 1, v9
	s_delay_alu instid0(VALU_DEP_1)
	v_cmp_eq_u32_e32 vcc_lo, 1, v3
	v_mov_b32_e32 v3, 0
	s_and_saveexec_b32 s0, vcc_lo
	s_cbranch_execz .LBB44_9
; %bb.19:                               ;   in Loop: Header=BB44_10 Depth=1
	v_ashrrev_i32_e32 v3, 31, v2
	s_delay_alu instid0(VALU_DEP_1) | instskip(SKIP_3) | instid1(VALU_DEP_1)
	v_mul_u64_e32 v[28:29], s[22:23], v[2:3]
	v_add_nc_u32_e32 v3, s25, v46
	global_store_b32 v2, v3, s[12:13] scale_offset
	v_lshlrev_b64_e32 v[28:29], 2, v[28:29]
	v_add_nc_u64_e32 v[30:31], v[6:7], v[28:29]
	v_add_nc_u64_e32 v[28:29], v[12:13], v[28:29]
	s_wait_xcnt 0x0
	s_and_saveexec_b32 s27, s20
	s_cbranch_execz .LBB44_23
; %bb.20:                               ;   in Loop: Header=BB44_10 Depth=1
	ds_load_b32 v3, v39
	s_and_b32 vcc_lo, exec_lo, s8
	s_cbranch_vccz .LBB44_50
; %bb.21:                               ;   in Loop: Header=BB44_10 Depth=1
	v_lshl_add_u64 v[46:47], v[10:11], 2, v[30:31]
	s_wait_dscnt 0x0
	global_store_b32 v[46:47], v3, off
	s_cbranch_execnz .LBB44_23
.LBB44_22:                              ;   in Loop: Header=BB44_10 Depth=1
	s_wait_dscnt 0x0
	global_store_b32 v[28:29], v3, off
.LBB44_23:                              ;   in Loop: Header=BB44_10 Depth=1
	s_wait_xcnt 0x0
	s_or_b32 exec_lo, exec_lo, s27
	s_and_saveexec_b32 s27, s1
	s_cbranch_execz .LBB44_27
; %bb.24:                               ;   in Loop: Header=BB44_10 Depth=1
	s_and_not1_b32 vcc_lo, exec_lo, s8
	s_cbranch_vccnz .LBB44_51
; %bb.25:                               ;   in Loop: Header=BB44_10 Depth=1
	s_wait_dscnt 0x0
	ds_load_b32 v3, v39 offset:32
	v_lshl_add_u64 v[46:47], v[14:15], 2, v[30:31]
	s_wait_dscnt 0x0
	global_store_b32 v[46:47], v3, off
	s_cbranch_execnz .LBB44_27
.LBB44_26:                              ;   in Loop: Header=BB44_10 Depth=1
	s_wait_dscnt 0x0
	s_wait_xcnt 0x0
	ds_load_b32 v3, v39 offset:32
	s_wait_dscnt 0x0
	global_store_b32 v[28:29], v3, off offset:32
.LBB44_27:                              ;   in Loop: Header=BB44_10 Depth=1
	s_wait_xcnt 0x0
	s_or_b32 exec_lo, exec_lo, s27
	s_and_saveexec_b32 s27, s2
	s_cbranch_execz .LBB44_31
; %bb.28:                               ;   in Loop: Header=BB44_10 Depth=1
	s_and_not1_b32 vcc_lo, exec_lo, s8
	s_cbranch_vccnz .LBB44_52
; %bb.29:                               ;   in Loop: Header=BB44_10 Depth=1
	s_wait_dscnt 0x0
	ds_load_b32 v3, v39 offset:64
	v_lshl_add_u64 v[46:47], v[16:17], 2, v[30:31]
	s_wait_dscnt 0x0
	global_store_b32 v[46:47], v3, off
	s_cbranch_execnz .LBB44_31
.LBB44_30:                              ;   in Loop: Header=BB44_10 Depth=1
	s_wait_dscnt 0x0
	s_wait_xcnt 0x0
	ds_load_b32 v3, v39 offset:64
	s_wait_dscnt 0x0
	global_store_b32 v[28:29], v3, off offset:64
.LBB44_31:                              ;   in Loop: Header=BB44_10 Depth=1
	s_wait_xcnt 0x0
	s_or_b32 exec_lo, exec_lo, s27
	s_and_saveexec_b32 s27, s3
	s_cbranch_execz .LBB44_35
; %bb.32:                               ;   in Loop: Header=BB44_10 Depth=1
	s_and_not1_b32 vcc_lo, exec_lo, s8
	s_cbranch_vccnz .LBB44_53
; %bb.33:                               ;   in Loop: Header=BB44_10 Depth=1
	s_wait_dscnt 0x0
	ds_load_b32 v3, v39 offset:96
	v_lshl_add_u64 v[46:47], v[18:19], 2, v[30:31]
	s_wait_dscnt 0x0
	global_store_b32 v[46:47], v3, off
	s_cbranch_execnz .LBB44_35
.LBB44_34:                              ;   in Loop: Header=BB44_10 Depth=1
	s_wait_dscnt 0x0
	s_wait_xcnt 0x0
	ds_load_b32 v3, v39 offset:96
	s_wait_dscnt 0x0
	global_store_b32 v[28:29], v3, off offset:96
.LBB44_35:                              ;   in Loop: Header=BB44_10 Depth=1
	s_wait_xcnt 0x0
	s_or_b32 exec_lo, exec_lo, s27
	s_and_saveexec_b32 s27, s4
	s_cbranch_execz .LBB44_39
; %bb.36:                               ;   in Loop: Header=BB44_10 Depth=1
	s_and_not1_b32 vcc_lo, exec_lo, s8
	s_cbranch_vccnz .LBB44_54
; %bb.37:                               ;   in Loop: Header=BB44_10 Depth=1
	s_wait_dscnt 0x0
	ds_load_b32 v3, v39 offset:128
	v_lshl_add_u64 v[46:47], v[20:21], 2, v[30:31]
	s_wait_dscnt 0x0
	global_store_b32 v[46:47], v3, off
	s_cbranch_execnz .LBB44_39
.LBB44_38:                              ;   in Loop: Header=BB44_10 Depth=1
	s_wait_dscnt 0x0
	s_wait_xcnt 0x0
	ds_load_b32 v3, v39 offset:128
	s_wait_dscnt 0x0
	global_store_b32 v[28:29], v3, off offset:128
.LBB44_39:                              ;   in Loop: Header=BB44_10 Depth=1
	s_wait_xcnt 0x0
	s_or_b32 exec_lo, exec_lo, s27
	s_and_saveexec_b32 s27, s5
	s_cbranch_execz .LBB44_43
; %bb.40:                               ;   in Loop: Header=BB44_10 Depth=1
	s_and_not1_b32 vcc_lo, exec_lo, s8
	s_cbranch_vccnz .LBB44_55
; %bb.41:                               ;   in Loop: Header=BB44_10 Depth=1
	s_wait_dscnt 0x0
	ds_load_b32 v3, v39 offset:160
	v_lshl_add_u64 v[46:47], v[22:23], 2, v[30:31]
	s_wait_dscnt 0x0
	global_store_b32 v[46:47], v3, off
	s_cbranch_execnz .LBB44_43
.LBB44_42:                              ;   in Loop: Header=BB44_10 Depth=1
	s_wait_dscnt 0x0
	s_wait_xcnt 0x0
	ds_load_b32 v3, v39 offset:160
	s_wait_dscnt 0x0
	global_store_b32 v[28:29], v3, off offset:160
.LBB44_43:                              ;   in Loop: Header=BB44_10 Depth=1
	s_wait_xcnt 0x0
	s_or_b32 exec_lo, exec_lo, s27
	s_and_saveexec_b32 s27, s6
	s_cbranch_execz .LBB44_47
; %bb.44:                               ;   in Loop: Header=BB44_10 Depth=1
	s_and_not1_b32 vcc_lo, exec_lo, s8
	s_cbranch_vccnz .LBB44_56
; %bb.45:                               ;   in Loop: Header=BB44_10 Depth=1
	s_wait_dscnt 0x0
	ds_load_b32 v3, v39 offset:192
	v_lshl_add_u64 v[46:47], v[24:25], 2, v[30:31]
	s_wait_dscnt 0x0
	global_store_b32 v[46:47], v3, off
	s_cbranch_execnz .LBB44_47
.LBB44_46:                              ;   in Loop: Header=BB44_10 Depth=1
	s_wait_dscnt 0x0
	s_wait_xcnt 0x0
	ds_load_b32 v3, v39 offset:192
	s_wait_dscnt 0x0
	global_store_b32 v[28:29], v3, off offset:192
.LBB44_47:                              ;   in Loop: Header=BB44_10 Depth=1
	s_wait_xcnt 0x0
	s_or_b32 exec_lo, exec_lo, s27
	s_and_saveexec_b32 s27, s7
	s_cbranch_execz .LBB44_8
; %bb.48:                               ;   in Loop: Header=BB44_10 Depth=1
	s_and_not1_b32 vcc_lo, exec_lo, s8
	s_cbranch_vccnz .LBB44_57
; %bb.49:                               ;   in Loop: Header=BB44_10 Depth=1
	s_wait_dscnt 0x0
	ds_load_b32 v3, v39 offset:224
	v_lshl_add_u64 v[30:31], v[26:27], 2, v[30:31]
	s_wait_dscnt 0x0
	global_store_b32 v[30:31], v3, off
	s_cbranch_execnz .LBB44_8
	s_branch .LBB44_58
.LBB44_50:                              ;   in Loop: Header=BB44_10 Depth=1
	s_branch .LBB44_22
.LBB44_51:                              ;   in Loop: Header=BB44_10 Depth=1
	s_branch .LBB44_26
.LBB44_52:                              ;   in Loop: Header=BB44_10 Depth=1
	s_branch .LBB44_30
.LBB44_53:                              ;   in Loop: Header=BB44_10 Depth=1
	s_branch .LBB44_34
.LBB44_54:                              ;   in Loop: Header=BB44_10 Depth=1
	s_branch .LBB44_38
.LBB44_55:                              ;   in Loop: Header=BB44_10 Depth=1
	s_branch .LBB44_42
.LBB44_56:                              ;   in Loop: Header=BB44_10 Depth=1
	s_branch .LBB44_46
.LBB44_57:                              ;   in Loop: Header=BB44_10 Depth=1
.LBB44_58:                              ;   in Loop: Header=BB44_10 Depth=1
	s_wait_dscnt 0x0
	s_wait_xcnt 0x0
	ds_load_b32 v3, v39 offset:224
	s_wait_dscnt 0x0
	global_store_b32 v[28:29], v3, off offset:224
	s_branch .LBB44_8
.LBB44_59:
	s_endpgm
	.section	.rodata,"a",@progbits
	.p2align	6, 0x0
	.amdhsa_kernel _ZN9rocsparseL44csr2gebsr_wavefront_per_row_multipass_kernelILi256ELi8ELi64ELi64EfEEv20rocsparse_direction_iiiiii21rocsparse_index_base_PKT3_PKiS7_S2_PS3_PiS9_
		.amdhsa_group_segment_fixed_size 8196
		.amdhsa_private_segment_fixed_size 0
		.amdhsa_kernarg_size 88
		.amdhsa_user_sgpr_count 2
		.amdhsa_user_sgpr_dispatch_ptr 0
		.amdhsa_user_sgpr_queue_ptr 0
		.amdhsa_user_sgpr_kernarg_segment_ptr 1
		.amdhsa_user_sgpr_dispatch_id 0
		.amdhsa_user_sgpr_kernarg_preload_length 0
		.amdhsa_user_sgpr_kernarg_preload_offset 0
		.amdhsa_user_sgpr_private_segment_size 0
		.amdhsa_wavefront_size32 1
		.amdhsa_uses_dynamic_stack 0
		.amdhsa_enable_private_segment 0
		.amdhsa_system_sgpr_workgroup_id_x 1
		.amdhsa_system_sgpr_workgroup_id_y 0
		.amdhsa_system_sgpr_workgroup_id_z 0
		.amdhsa_system_sgpr_workgroup_info 0
		.amdhsa_system_vgpr_workitem_id 0
		.amdhsa_next_free_vgpr 51
		.amdhsa_next_free_sgpr 30
		.amdhsa_named_barrier_count 0
		.amdhsa_reserve_vcc 1
		.amdhsa_float_round_mode_32 0
		.amdhsa_float_round_mode_16_64 0
		.amdhsa_float_denorm_mode_32 3
		.amdhsa_float_denorm_mode_16_64 3
		.amdhsa_fp16_overflow 0
		.amdhsa_memory_ordered 1
		.amdhsa_forward_progress 1
		.amdhsa_inst_pref_size 19
		.amdhsa_round_robin_scheduling 0
		.amdhsa_exception_fp_ieee_invalid_op 0
		.amdhsa_exception_fp_denorm_src 0
		.amdhsa_exception_fp_ieee_div_zero 0
		.amdhsa_exception_fp_ieee_overflow 0
		.amdhsa_exception_fp_ieee_underflow 0
		.amdhsa_exception_fp_ieee_inexact 0
		.amdhsa_exception_int_div_zero 0
	.end_amdhsa_kernel
	.section	.text._ZN9rocsparseL44csr2gebsr_wavefront_per_row_multipass_kernelILi256ELi8ELi64ELi64EfEEv20rocsparse_direction_iiiiii21rocsparse_index_base_PKT3_PKiS7_S2_PS3_PiS9_,"axG",@progbits,_ZN9rocsparseL44csr2gebsr_wavefront_per_row_multipass_kernelILi256ELi8ELi64ELi64EfEEv20rocsparse_direction_iiiiii21rocsparse_index_base_PKT3_PKiS7_S2_PS3_PiS9_,comdat
.Lfunc_end44:
	.size	_ZN9rocsparseL44csr2gebsr_wavefront_per_row_multipass_kernelILi256ELi8ELi64ELi64EfEEv20rocsparse_direction_iiiiii21rocsparse_index_base_PKT3_PKiS7_S2_PS3_PiS9_, .Lfunc_end44-_ZN9rocsparseL44csr2gebsr_wavefront_per_row_multipass_kernelILi256ELi8ELi64ELi64EfEEv20rocsparse_direction_iiiiii21rocsparse_index_base_PKT3_PKiS7_S2_PS3_PiS9_
                                        ; -- End function
	.set _ZN9rocsparseL44csr2gebsr_wavefront_per_row_multipass_kernelILi256ELi8ELi64ELi64EfEEv20rocsparse_direction_iiiiii21rocsparse_index_base_PKT3_PKiS7_S2_PS3_PiS9_.num_vgpr, 51
	.set _ZN9rocsparseL44csr2gebsr_wavefront_per_row_multipass_kernelILi256ELi8ELi64ELi64EfEEv20rocsparse_direction_iiiiii21rocsparse_index_base_PKT3_PKiS7_S2_PS3_PiS9_.num_agpr, 0
	.set _ZN9rocsparseL44csr2gebsr_wavefront_per_row_multipass_kernelILi256ELi8ELi64ELi64EfEEv20rocsparse_direction_iiiiii21rocsparse_index_base_PKT3_PKiS7_S2_PS3_PiS9_.numbered_sgpr, 30
	.set _ZN9rocsparseL44csr2gebsr_wavefront_per_row_multipass_kernelILi256ELi8ELi64ELi64EfEEv20rocsparse_direction_iiiiii21rocsparse_index_base_PKT3_PKiS7_S2_PS3_PiS9_.num_named_barrier, 0
	.set _ZN9rocsparseL44csr2gebsr_wavefront_per_row_multipass_kernelILi256ELi8ELi64ELi64EfEEv20rocsparse_direction_iiiiii21rocsparse_index_base_PKT3_PKiS7_S2_PS3_PiS9_.private_seg_size, 0
	.set _ZN9rocsparseL44csr2gebsr_wavefront_per_row_multipass_kernelILi256ELi8ELi64ELi64EfEEv20rocsparse_direction_iiiiii21rocsparse_index_base_PKT3_PKiS7_S2_PS3_PiS9_.uses_vcc, 1
	.set _ZN9rocsparseL44csr2gebsr_wavefront_per_row_multipass_kernelILi256ELi8ELi64ELi64EfEEv20rocsparse_direction_iiiiii21rocsparse_index_base_PKT3_PKiS7_S2_PS3_PiS9_.uses_flat_scratch, 0
	.set _ZN9rocsparseL44csr2gebsr_wavefront_per_row_multipass_kernelILi256ELi8ELi64ELi64EfEEv20rocsparse_direction_iiiiii21rocsparse_index_base_PKT3_PKiS7_S2_PS3_PiS9_.has_dyn_sized_stack, 0
	.set _ZN9rocsparseL44csr2gebsr_wavefront_per_row_multipass_kernelILi256ELi8ELi64ELi64EfEEv20rocsparse_direction_iiiiii21rocsparse_index_base_PKT3_PKiS7_S2_PS3_PiS9_.has_recursion, 0
	.set _ZN9rocsparseL44csr2gebsr_wavefront_per_row_multipass_kernelILi256ELi8ELi64ELi64EfEEv20rocsparse_direction_iiiiii21rocsparse_index_base_PKT3_PKiS7_S2_PS3_PiS9_.has_indirect_call, 0
	.section	.AMDGPU.csdata,"",@progbits
; Kernel info:
; codeLenInByte = 2428
; TotalNumSgprs: 32
; NumVgprs: 51
; ScratchSize: 0
; MemoryBound: 0
; FloatMode: 240
; IeeeMode: 1
; LDSByteSize: 8196 bytes/workgroup (compile time only)
; SGPRBlocks: 0
; VGPRBlocks: 3
; NumSGPRsForWavesPerEU: 32
; NumVGPRsForWavesPerEU: 51
; NamedBarCnt: 0
; Occupancy: 16
; WaveLimiterHint : 0
; COMPUTE_PGM_RSRC2:SCRATCH_EN: 0
; COMPUTE_PGM_RSRC2:USER_SGPR: 2
; COMPUTE_PGM_RSRC2:TRAP_HANDLER: 0
; COMPUTE_PGM_RSRC2:TGID_X_EN: 1
; COMPUTE_PGM_RSRC2:TGID_Y_EN: 0
; COMPUTE_PGM_RSRC2:TGID_Z_EN: 0
; COMPUTE_PGM_RSRC2:TIDIG_COMP_CNT: 0
	.section	.text._ZN9rocsparseL44csr2gebsr_wavefront_per_row_multipass_kernelILi128ELi8ELi64ELi32EfEEv20rocsparse_direction_iiiiii21rocsparse_index_base_PKT3_PKiS7_S2_PS3_PiS9_,"axG",@progbits,_ZN9rocsparseL44csr2gebsr_wavefront_per_row_multipass_kernelILi128ELi8ELi64ELi32EfEEv20rocsparse_direction_iiiiii21rocsparse_index_base_PKT3_PKiS7_S2_PS3_PiS9_,comdat
	.globl	_ZN9rocsparseL44csr2gebsr_wavefront_per_row_multipass_kernelILi128ELi8ELi64ELi32EfEEv20rocsparse_direction_iiiiii21rocsparse_index_base_PKT3_PKiS7_S2_PS3_PiS9_ ; -- Begin function _ZN9rocsparseL44csr2gebsr_wavefront_per_row_multipass_kernelILi128ELi8ELi64ELi32EfEEv20rocsparse_direction_iiiiii21rocsparse_index_base_PKT3_PKiS7_S2_PS3_PiS9_
	.p2align	8
	.type	_ZN9rocsparseL44csr2gebsr_wavefront_per_row_multipass_kernelILi128ELi8ELi64ELi32EfEEv20rocsparse_direction_iiiiii21rocsparse_index_base_PKT3_PKiS7_S2_PS3_PiS9_,@function
_ZN9rocsparseL44csr2gebsr_wavefront_per_row_multipass_kernelILi128ELi8ELi64ELi32EfEEv20rocsparse_direction_iiiiii21rocsparse_index_base_PKT3_PKiS7_S2_PS3_PiS9_: ; @_ZN9rocsparseL44csr2gebsr_wavefront_per_row_multipass_kernelILi128ELi8ELi64ELi32EfEEv20rocsparse_direction_iiiiii21rocsparse_index_base_PKT3_PKiS7_S2_PS3_PiS9_
; %bb.0:
	s_clause 0x1
	s_load_b128 s[16:19], s[0:1], 0xc
	s_load_b64 s[4:5], s[0:1], 0x0
	s_bfe_u32 s2, ttmp6, 0x4000c
	s_and_b32 s3, ttmp6, 15
	s_add_co_i32 s2, s2, 1
	s_getreg_b32 s6, hwreg(HW_REG_IB_STS2, 6, 4)
	s_mul_i32 s2, ttmp9, s2
	v_dual_lshrrev_b32 v46, 5, v0 :: v_dual_mov_b32 v2, 0
	s_add_co_i32 s3, s3, s2
	s_cmp_eq_u32 s6, 0
	v_bfe_u32 v1, v0, 2, 3
	s_cselect_b32 s2, ttmp9, s3
	s_clause 0x1
	s_load_b32 s33, s[0:1], 0x1c
	s_load_b64 s[6:7], s[0:1], 0x28
	v_lshl_or_b32 v3, s2, 2, v46
	v_mov_b32_e32 v44, 0
	s_wait_kmcnt 0x0
	s_delay_alu instid0(VALU_DEP_2) | instskip(SKIP_1) | instid1(VALU_DEP_2)
	v_mad_u32 v4, v3, s18, v1
	v_cmp_gt_i32_e32 vcc_lo, s18, v1
	v_cmp_gt_i32_e64 s2, s5, v4
	s_and_b32 s2, vcc_lo, s2
	s_delay_alu instid0(SALU_CYCLE_1)
	s_and_saveexec_b32 s3, s2
	s_cbranch_execz .LBB45_2
; %bb.1:
	global_load_b32 v5, v4, s[6:7] scale_offset
	s_wait_loadcnt 0x0
	v_subrev_nc_u32_e32 v44, s33, v5
.LBB45_2:
	s_or_b32 exec_lo, exec_lo, s3
	v_mov_b32_e32 v47, 0
	s_and_saveexec_b32 s3, s2
	s_cbranch_execz .LBB45_4
; %bb.3:
	global_load_b32 v4, v4, s[6:7] offset:4 scale_offset
	s_wait_loadcnt 0x0
	v_subrev_nc_u32_e32 v47, s33, v4
.LBB45_4:
	s_or_b32 exec_lo, exec_lo, s3
	s_load_b32 s34, s[0:1], 0x38
	s_mov_b32 s3, exec_lo
	v_cmpx_gt_i32_e64 s16, v3
	s_cbranch_execz .LBB45_6
; %bb.5:
	s_load_b64 s[6:7], s[0:1], 0x48
	s_wait_kmcnt 0x0
	global_load_b32 v2, v3, s[6:7] scale_offset
	s_wait_loadcnt 0x0
	v_subrev_nc_u32_e32 v2, s34, v2
.LBB45_6:
	s_or_b32 exec_lo, exec_lo, s3
	s_cmp_lt_i32 s17, 1
	s_cbranch_scc1 .LBB45_101
; %bb.7:
	v_mbcnt_lo_u32_b32 v3, -1, 0
	s_clause 0x3
	s_load_b64 s[20:21], s[0:1], 0x50
	s_load_b64 s[2:3], s[0:1], 0x40
	;; [unrolled: 1-line block ×4, first 2 shown]
	v_and_b32_e32 v48, 3, v0
	v_mul_lo_u32 v8, s19, v1
	s_cmp_lg_u32 s4, 0
	v_dual_lshlrev_b32 v0, 8, v1 :: v_dual_bitop2_b32 v4, 2, v3 bitop3:0x14
	s_mov_b32 s27, 0
	s_cselect_b32 s16, -1, 0
	s_mov_b32 s26, s18
	s_wait_xcnt 0x0
	v_cmp_gt_i32_e64 s0, 32, v4
	v_xor_b32_e32 v5, 1, v3
	v_lshl_or_b32 v49, v46, 11, v0
	s_ashr_i32 s29, s19, 31
	s_mov_b32 s28, s19
	v_cndmask_b32_e64 v4, v3, v4, s0
	v_cmp_gt_i32_e64 s0, 32, v5
	s_mul_u64 s[30:31], s[28:29], s[26:27]
	s_lshl_b32 s26, s18, 2
	v_lshl_or_b32 v52, v3, 2, 12
	v_lshlrev_b32_e32 v0, 2, v1
	v_dual_cndmask_b32 v5, v3, v5, s0 :: v_dual_lshlrev_b32 v12, 2, v48
	v_dual_mov_b32 v1, 0 :: v_dual_ashrrev_i32 v9, 31, v8
	s_delay_alu instid0(VALU_DEP_2) | instskip(SKIP_2) | instid1(VALU_DEP_3)
	v_dual_lshlrev_b32 v50, 2, v4 :: v_dual_lshlrev_b32 v51, 2, v5
	v_mul_lo_u32 v4, v48, s18
	s_wait_kmcnt 0x0
	v_add_nc_u64_e32 v[6:7], s[2:3], v[0:1]
	v_dual_mov_b32 v13, v1 :: v_dual_bitop2_b32 v0, 16, v3 bitop3:0x14
	v_xor_b32_e32 v5, 8, v3
	v_lshl_add_u64 v[14:15], v[8:9], 2, s[2:3]
	v_mov_b32_e32 v21, v1
	s_abs_i32 s18, s19
	v_cmp_gt_i32_e64 s0, 32, v0
	v_xor_b32_e32 v9, 4, v3
	s_cvt_f32_u32 s28, s18
	v_dual_mov_b32 v25, v1 :: v_dual_add_nc_u32 v8, s26, v4
	v_cndmask_b32_e64 v0, v3, v0, s0
	v_cmp_gt_i32_e64 s0, 32, v5
	v_or_b32_e32 v53, v49, v12
	v_add_nc_u64_e32 v[12:13], v[14:15], v[12:13]
	v_dual_mov_b32 v15, v1 :: v_dual_mov_b32 v39, v1
	s_delay_alu instid0(VALU_DEP_4) | instskip(SKIP_4) | instid1(VALU_DEP_2)
	v_dual_mov_b32 v58, 0 :: v_dual_cndmask_b32 v5, v3, v5, s0
	v_cmp_gt_i32_e64 s0, 32, v9
	v_dual_mov_b32 v11, v1 :: v_dual_add_nc_u32 v10, s26, v8
	s_mov_b32 s35, s27
	v_dual_mov_b32 v19, v1 :: v_dual_cndmask_b32 v3, v3, v9, s0
	v_dual_lshlrev_b32 v54, 2, v0 :: v_dual_add_nc_u32 v14, s26, v10
	v_dual_lshlrev_b32 v55, 2, v5 :: v_dual_bitop2_b32 v0, 4, v48 bitop3:0x54
	s_delay_alu instid0(VALU_DEP_3) | instskip(NEXT) | instid1(VALU_DEP_3)
	v_dual_mov_b32 v5, v1 :: v_dual_lshlrev_b32 v56, 2, v3
	v_dual_add_nc_u32 v16, s26, v14 :: v_dual_bitop2_b32 v3, 8, v48 bitop3:0x54
	v_mov_b32_e32 v9, v1
	s_delay_alu instid0(VALU_DEP_4) | instskip(SKIP_1) | instid1(VALU_DEP_4)
	v_cmp_gt_u32_e64 s1, s19, v0
	v_or_b32_e32 v0, 12, v48
	v_cmp_gt_u32_e64 s2, s19, v3
	v_add_nc_u32_e32 v18, s26, v16
	v_dual_mov_b32 v17, v1 :: v_dual_bitop2_b32 v3, 16, v48 bitop3:0x54
	s_delay_alu instid0(VALU_DEP_4) | instskip(NEXT) | instid1(VALU_DEP_3)
	v_cmp_gt_u32_e64 s3, s19, v0
	v_dual_add_nc_u32 v20, s26, v18 :: v_dual_bitop2_b32 v0, 20, v48 bitop3:0x54
	s_delay_alu instid0(VALU_DEP_3) | instskip(SKIP_2) | instid1(VALU_DEP_4)
	v_cmp_gt_u32_e64 s4, s19, v3
	v_or_b32_e32 v3, 24, v48
	v_cmp_gt_u32_e64 s0, s19, v48
	v_cmp_gt_u32_e64 s5, s19, v0
	v_add_nc_u32_e32 v22, s26, v20
	v_dual_mov_b32 v23, v1 :: v_dual_bitop2_b32 v0, 28, v48 bitop3:0x54
	v_cmp_gt_u32_e64 s6, s19, v3
	s_delay_alu instid0(VALU_DEP_3) | instskip(NEXT) | instid1(VALU_DEP_3)
	v_dual_mov_b32 v29, v1 :: v_dual_add_nc_u32 v24, s26, v22
	v_cmp_gt_u32_e64 s7, s19, v0
	v_or_b32_e32 v3, 32, v48
	s_and_b32 s1, vcc_lo, s1
	v_dual_mov_b32 v31, v1 :: v_dual_add_nc_u32 v26, s26, v24
	v_or_b32_e32 v0, 36, v48
	s_delay_alu instid0(VALU_DEP_3) | instskip(SKIP_1) | instid1(VALU_DEP_4)
	v_cmp_gt_u32_e64 s8, s19, v3
	v_dual_mov_b32 v35, v1 :: v_dual_bitop2_b32 v3, 40, v48 bitop3:0x54
	v_add_nc_u32_e32 v28, s26, v26
	s_delay_alu instid0(VALU_DEP_4) | instskip(SKIP_1) | instid1(VALU_DEP_4)
	v_cmp_gt_u32_e64 s9, s19, v0
	v_dual_mov_b32 v27, v1 :: v_dual_bitop2_b32 v0, 44, v48 bitop3:0x54
	v_cmp_gt_u32_e64 s10, s19, v3
	s_delay_alu instid0(VALU_DEP_4) | instskip(SKIP_1) | instid1(VALU_DEP_4)
	v_add_nc_u32_e32 v30, s26, v28
	v_or_b32_e32 v3, 48, v48
	v_cmp_gt_u32_e64 s11, s19, v0
	v_dual_mov_b32 v33, v1 :: v_dual_bitop2_b32 v0, 52, v48 bitop3:0x54
	s_delay_alu instid0(VALU_DEP_4) | instskip(NEXT) | instid1(VALU_DEP_4)
	v_add_nc_u32_e32 v32, s26, v30
	v_cmp_gt_u32_e64 s12, s19, v3
	v_or_b32_e32 v3, 60, v48
	s_delay_alu instid0(VALU_DEP_4)
	v_cmp_gt_u32_e64 s13, s19, v0
	v_or_b32_e32 v0, 56, v48
	v_add_nc_u32_e32 v34, s26, v32
	s_and_b32 s2, vcc_lo, s2
	v_cmp_gt_u32_e64 s15, s19, v3
	s_and_b32 s3, vcc_lo, s3
	v_cmp_gt_u32_e64 s14, s19, v0
	v_rcp_iflag_f32_e32 v0, s28
	s_and_b32 s28, s0, vcc_lo
	v_dual_mov_b32 v37, v1 :: v_dual_add_nc_u32 v36, s26, v34
	s_and_b32 s4, vcc_lo, s4
	s_and_b32 s5, vcc_lo, s5
	;; [unrolled: 1-line block ×3, first 2 shown]
	s_delay_alu instid0(TRANS32_DEP_1)
	v_readfirstlane_b32 s0, v0
	v_add_nc_u32_e32 v38, s26, v36
	s_sub_co_i32 s26, 0, s18
	s_and_b32 s7, vcc_lo, s7
	s_and_b32 s8, vcc_lo, s8
	s_mul_f32 s0, s0, 0x4f7ffffe
	s_and_b32 s9, vcc_lo, s9
	s_and_b32 s10, vcc_lo, s10
	;; [unrolled: 1-line block ×3, first 2 shown]
	s_cvt_u32_f32 s0, s0
	s_and_b32 s12, vcc_lo, s12
	s_and_b32 s13, vcc_lo, s13
	;; [unrolled: 1-line block ×3, first 2 shown]
	s_mul_i32 s26, s26, s0
	s_and_b32 s15, vcc_lo, s15
	s_mul_hi_u32 s26, s0, s26
	s_delay_alu instid0(SALU_CYCLE_1)
	s_add_co_i32 s26, s0, s26
	s_branch .LBB45_10
.LBB45_8:                               ;   in Loop: Header=BB45_10 Depth=1
	s_wait_xcnt 0x0
	s_or_b32 exec_lo, exec_lo, s36
	s_wait_dscnt 0x0
	v_mov_b32_e32 v0, 1
.LBB45_9:                               ;   in Loop: Header=BB45_10 Depth=1
	s_or_b32 exec_lo, exec_lo, s0
	ds_bpermute_b32 v3, v54, v57
	v_add_nc_u32_e32 v2, v0, v2
	s_wait_storecnt_dscnt 0x0
	v_min_i32_e32 v3, v3, v57
	ds_bpermute_b32 v40, v55, v3
	s_wait_dscnt 0x0
	v_min_i32_e32 v3, v40, v3
	ds_bpermute_b32 v40, v56, v3
	s_wait_dscnt 0x0
	;; [unrolled: 3-line block ×4, first 2 shown]
	v_dual_mov_b32 v40, 0x7c :: v_dual_min_i32 v3, v40, v3
	ds_bpermute_b32 v58, v40, v3
	s_wait_dscnt 0x0
	v_cmp_le_i32_e32 vcc_lo, s17, v58
	s_or_b32 s35, vcc_lo, s35
	s_delay_alu instid0(SALU_CYCLE_1)
	s_and_not1_b32 exec_lo, exec_lo, s35
	s_cbranch_execz .LBB45_101
.LBB45_10:                              ; =>This Loop Header: Depth=1
                                        ;     Child Loop BB45_11 Depth 2
                                        ;     Child Loop BB45_15 Depth 2
	v_dual_mov_b32 v0, v53 :: v_dual_bitop2_b32 v3, -4, v48 bitop3:0x54
	s_mov_b32 s0, 0
	ds_store_b8 v46, v1 offset:8192
.LBB45_11:                              ;   Parent Loop BB45_10 Depth=1
                                        ; =>  This Inner Loop Header: Depth=2
	v_add_nc_u32_e32 v3, 4, v3
	ds_store_b32 v0, v1
	v_add_nc_u32_e32 v0, 16, v0
	v_cmp_lt_u32_e32 vcc_lo, 59, v3
	s_or_b32 s0, vcc_lo, s0
	s_delay_alu instid0(SALU_CYCLE_1)
	s_and_not1_b32 exec_lo, exec_lo, s0
	s_cbranch_execnz .LBB45_11
; %bb.12:                               ;   in Loop: Header=BB45_10 Depth=1
	s_or_b32 exec_lo, exec_lo, s0
	v_dual_mov_b32 v57, s17 :: v_dual_add_nc_u32 v40, v44, v48
	v_mov_b32_e32 v41, v47
	s_mov_b32 s36, exec_lo
	s_wait_dscnt 0x0
	s_delay_alu instid0(VALU_DEP_2)
	v_cmpx_lt_i32_e64 v40, v47
	s_cbranch_execz .LBB45_20
; %bb.13:                               ;   in Loop: Header=BB45_10 Depth=1
	v_dual_ashrrev_i32 v41, 31, v40 :: v_dual_mov_b32 v57, s17
	v_mul_lo_u32 v3, v58, s19
	s_mov_b32 s37, 0
	s_delay_alu instid0(VALU_DEP_2) | instskip(SKIP_1) | instid1(VALU_DEP_2)
	v_lshlrev_b64_e32 v[44:45], 2, v[40:41]
	v_mov_b32_e32 v41, v47
	v_add_nc_u64_e32 v[42:43], s[24:25], v[44:45]
	v_add_nc_u64_e32 v[44:45], s[22:23], v[44:45]
	s_branch .LBB45_15
.LBB45_14:                              ;   in Loop: Header=BB45_15 Depth=2
	s_wait_xcnt 0x0
	s_or_b32 exec_lo, exec_lo, s0
	v_add_nc_u32_e32 v40, 4, v40
	s_xor_b32 s38, vcc_lo, -1
	v_add_nc_u64_e32 v[42:43], 16, v[42:43]
	v_add_nc_u64_e32 v[44:45], 16, v[44:45]
	s_delay_alu instid0(VALU_DEP_3) | instskip(SKIP_1) | instid1(SALU_CYCLE_1)
	v_cmp_ge_i32_e64 s0, v40, v47
	s_or_b32 s0, s38, s0
	s_and_b32 s0, exec_lo, s0
	s_delay_alu instid0(SALU_CYCLE_1) | instskip(NEXT) | instid1(SALU_CYCLE_1)
	s_or_b32 s37, s0, s37
	s_and_not1_b32 exec_lo, exec_lo, s37
	s_cbranch_execz .LBB45_19
.LBB45_15:                              ;   Parent Loop BB45_10 Depth=1
                                        ; =>  This Inner Loop Header: Depth=2
	global_load_b32 v0, v[42:43], off
	s_wait_loadcnt 0x0
	v_subrev_nc_u32_e32 v59, s33, v0
	s_delay_alu instid0(VALU_DEP_1) | instskip(NEXT) | instid1(VALU_DEP_1)
	v_sub_nc_u32_e32 v0, 0, v59
	v_max_i32_e32 v0, v59, v0
	s_delay_alu instid0(VALU_DEP_1) | instskip(NEXT) | instid1(VALU_DEP_1)
	v_mul_u64_e32 v[60:61], s[26:27], v[0:1]
	v_mul_lo_u32 v60, v61, s18
	s_delay_alu instid0(VALU_DEP_1) | instskip(NEXT) | instid1(VALU_DEP_1)
	v_dual_sub_nc_u32 v0, v0, v60 :: v_dual_add_nc_u32 v60, 1, v61
	v_cmp_le_u32_e32 vcc_lo, s18, v0
	s_delay_alu instid0(VALU_DEP_2) | instskip(SKIP_1) | instid1(VALU_DEP_1)
	v_cndmask_b32_e32 v60, v61, v60, vcc_lo
	v_subrev_nc_u32_e32 v62, s18, v0
	v_dual_cndmask_b32 v0, v0, v62 :: v_dual_ashrrev_i32 v61, 31, v59
	s_delay_alu instid0(VALU_DEP_3) | instskip(NEXT) | instid1(VALU_DEP_2)
	v_add_nc_u32_e32 v62, 1, v60
	v_cmp_le_u32_e32 vcc_lo, s18, v0
	s_delay_alu instid0(VALU_DEP_2) | instskip(NEXT) | instid1(VALU_DEP_1)
	v_dual_cndmask_b32 v0, v60, v62, vcc_lo :: v_dual_bitop2_b32 v61, s29, v61 bitop3:0x14
	v_xor_b32_e32 v0, v0, v61
	s_delay_alu instid0(VALU_DEP_1) | instskip(NEXT) | instid1(VALU_DEP_1)
	v_dual_sub_nc_u32 v60, v0, v61 :: v_dual_mov_b32 v0, v41
	v_cmp_ne_u32_e64 s0, v60, v58
	v_cmp_eq_u32_e32 vcc_lo, v60, v58
	s_wait_xcnt 0x0
	s_and_saveexec_b32 s38, s0
	s_delay_alu instid0(SALU_CYCLE_1)
	s_xor_b32 s0, exec_lo, s38
; %bb.16:                               ;   in Loop: Header=BB45_15 Depth=2
	v_min_i32_e32 v57, v60, v57
                                        ; implicit-def: $vgpr59
                                        ; implicit-def: $vgpr0
; %bb.17:                               ;   in Loop: Header=BB45_15 Depth=2
	s_or_saveexec_b32 s0, s0
	v_mov_b32_e32 v41, v40
	s_xor_b32 exec_lo, exec_lo, s0
	s_cbranch_execz .LBB45_14
; %bb.18:                               ;   in Loop: Header=BB45_15 Depth=2
	global_load_b32 v60, v[44:45], off
	v_dual_sub_nc_u32 v41, v59, v3 :: v_dual_mov_b32 v59, 1
	s_delay_alu instid0(VALU_DEP_1)
	v_lshl_add_u32 v61, v41, 2, v49
	v_mov_b32_e32 v41, v0
	ds_store_b8 v46, v59 offset:8192
	s_wait_loadcnt 0x0
	ds_store_b32 v61, v60
	s_branch .LBB45_14
.LBB45_19:                              ;   in Loop: Header=BB45_10 Depth=1
	s_or_b32 exec_lo, exec_lo, s37
.LBB45_20:                              ;   in Loop: Header=BB45_10 Depth=1
	s_delay_alu instid0(SALU_CYCLE_1)
	s_or_b32 exec_lo, exec_lo, s36
	ds_bpermute_b32 v0, v50, v41
	s_wait_dscnt 0x0
	ds_load_u8 v40, v46 offset:8192
	v_min_i32_e32 v0, v0, v41
	ds_bpermute_b32 v3, v51, v0
	s_wait_dscnt 0x0
	v_min_i32_e32 v0, v3, v0
	ds_bpermute_b32 v44, v52, v0
	v_and_b32_e32 v0, 1, v40
	s_delay_alu instid0(VALU_DEP_1)
	v_cmp_eq_u32_e32 vcc_lo, 1, v0
	v_mov_b32_e32 v0, 0
	s_and_saveexec_b32 s0, vcc_lo
	s_cbranch_execz .LBB45_9
; %bb.21:                               ;   in Loop: Header=BB45_10 Depth=1
	v_ashrrev_i32_e32 v3, 31, v2
	v_add_nc_u32_e32 v0, s34, v58
	s_delay_alu instid0(VALU_DEP_2) | instskip(SKIP_2) | instid1(VALU_DEP_1)
	v_mul_u64_e32 v[40:41], s[30:31], v[2:3]
	global_store_b32 v2, v0, s[20:21] scale_offset
	v_lshlrev_b64_e32 v[40:41], 2, v[40:41]
	v_add_nc_u64_e32 v[42:43], v[6:7], v[40:41]
	v_add_nc_u64_e32 v[40:41], v[12:13], v[40:41]
	s_wait_xcnt 0x0
	s_and_saveexec_b32 s36, s28
	s_cbranch_execz .LBB45_25
; %bb.22:                               ;   in Loop: Header=BB45_10 Depth=1
	ds_load_b32 v0, v53
	s_and_b32 vcc_lo, exec_lo, s16
	s_cbranch_vccz .LBB45_84
; %bb.23:                               ;   in Loop: Header=BB45_10 Depth=1
	v_lshl_add_u64 v[58:59], v[4:5], 2, v[42:43]
	s_wait_dscnt 0x0
	global_store_b32 v[58:59], v0, off
	s_cbranch_execnz .LBB45_25
.LBB45_24:                              ;   in Loop: Header=BB45_10 Depth=1
	s_wait_dscnt 0x0
	global_store_b32 v[40:41], v0, off
.LBB45_25:                              ;   in Loop: Header=BB45_10 Depth=1
	s_wait_xcnt 0x0
	s_or_b32 exec_lo, exec_lo, s36
	s_and_saveexec_b32 s36, s1
	s_cbranch_execz .LBB45_29
; %bb.26:                               ;   in Loop: Header=BB45_10 Depth=1
	s_and_not1_b32 vcc_lo, exec_lo, s16
	s_cbranch_vccnz .LBB45_85
; %bb.27:                               ;   in Loop: Header=BB45_10 Depth=1
	s_wait_dscnt 0x0
	ds_load_b32 v0, v53 offset:16
	v_lshl_add_u64 v[58:59], v[8:9], 2, v[42:43]
	s_wait_dscnt 0x0
	global_store_b32 v[58:59], v0, off
	s_cbranch_execnz .LBB45_29
.LBB45_28:                              ;   in Loop: Header=BB45_10 Depth=1
	s_wait_dscnt 0x0
	s_wait_xcnt 0x0
	ds_load_b32 v0, v53 offset:16
	s_wait_dscnt 0x0
	global_store_b32 v[40:41], v0, off offset:16
.LBB45_29:                              ;   in Loop: Header=BB45_10 Depth=1
	s_wait_xcnt 0x0
	s_or_b32 exec_lo, exec_lo, s36
	s_and_saveexec_b32 s36, s2
	s_cbranch_execz .LBB45_33
; %bb.30:                               ;   in Loop: Header=BB45_10 Depth=1
	s_and_not1_b32 vcc_lo, exec_lo, s16
	s_cbranch_vccnz .LBB45_86
; %bb.31:                               ;   in Loop: Header=BB45_10 Depth=1
	s_wait_dscnt 0x0
	ds_load_b32 v0, v53 offset:32
	v_lshl_add_u64 v[58:59], v[10:11], 2, v[42:43]
	s_wait_dscnt 0x0
	global_store_b32 v[58:59], v0, off
	s_cbranch_execnz .LBB45_33
.LBB45_32:                              ;   in Loop: Header=BB45_10 Depth=1
	s_wait_dscnt 0x0
	s_wait_xcnt 0x0
	ds_load_b32 v0, v53 offset:32
	s_wait_dscnt 0x0
	global_store_b32 v[40:41], v0, off offset:32
.LBB45_33:                              ;   in Loop: Header=BB45_10 Depth=1
	s_wait_xcnt 0x0
	s_or_b32 exec_lo, exec_lo, s36
	s_and_saveexec_b32 s36, s3
	s_cbranch_execz .LBB45_37
; %bb.34:                               ;   in Loop: Header=BB45_10 Depth=1
	s_and_not1_b32 vcc_lo, exec_lo, s16
	s_cbranch_vccnz .LBB45_87
; %bb.35:                               ;   in Loop: Header=BB45_10 Depth=1
	s_wait_dscnt 0x0
	ds_load_b32 v0, v53 offset:48
	v_lshl_add_u64 v[58:59], v[14:15], 2, v[42:43]
	s_wait_dscnt 0x0
	global_store_b32 v[58:59], v0, off
	s_cbranch_execnz .LBB45_37
.LBB45_36:                              ;   in Loop: Header=BB45_10 Depth=1
	s_wait_dscnt 0x0
	s_wait_xcnt 0x0
	ds_load_b32 v0, v53 offset:48
	s_wait_dscnt 0x0
	global_store_b32 v[40:41], v0, off offset:48
.LBB45_37:                              ;   in Loop: Header=BB45_10 Depth=1
	s_wait_xcnt 0x0
	s_or_b32 exec_lo, exec_lo, s36
	s_and_saveexec_b32 s36, s4
	s_cbranch_execz .LBB45_41
; %bb.38:                               ;   in Loop: Header=BB45_10 Depth=1
	s_and_not1_b32 vcc_lo, exec_lo, s16
	s_cbranch_vccnz .LBB45_88
; %bb.39:                               ;   in Loop: Header=BB45_10 Depth=1
	s_wait_dscnt 0x0
	ds_load_b32 v0, v53 offset:64
	v_lshl_add_u64 v[58:59], v[16:17], 2, v[42:43]
	s_wait_dscnt 0x0
	global_store_b32 v[58:59], v0, off
	s_cbranch_execnz .LBB45_41
.LBB45_40:                              ;   in Loop: Header=BB45_10 Depth=1
	s_wait_dscnt 0x0
	s_wait_xcnt 0x0
	ds_load_b32 v0, v53 offset:64
	s_wait_dscnt 0x0
	global_store_b32 v[40:41], v0, off offset:64
.LBB45_41:                              ;   in Loop: Header=BB45_10 Depth=1
	s_wait_xcnt 0x0
	s_or_b32 exec_lo, exec_lo, s36
	s_and_saveexec_b32 s36, s5
	s_cbranch_execz .LBB45_45
; %bb.42:                               ;   in Loop: Header=BB45_10 Depth=1
	s_and_not1_b32 vcc_lo, exec_lo, s16
	s_cbranch_vccnz .LBB45_89
; %bb.43:                               ;   in Loop: Header=BB45_10 Depth=1
	s_wait_dscnt 0x0
	ds_load_b32 v0, v53 offset:80
	v_lshl_add_u64 v[58:59], v[18:19], 2, v[42:43]
	s_wait_dscnt 0x0
	global_store_b32 v[58:59], v0, off
	s_cbranch_execnz .LBB45_45
.LBB45_44:                              ;   in Loop: Header=BB45_10 Depth=1
	s_wait_dscnt 0x0
	s_wait_xcnt 0x0
	ds_load_b32 v0, v53 offset:80
	s_wait_dscnt 0x0
	global_store_b32 v[40:41], v0, off offset:80
.LBB45_45:                              ;   in Loop: Header=BB45_10 Depth=1
	s_wait_xcnt 0x0
	s_or_b32 exec_lo, exec_lo, s36
	s_and_saveexec_b32 s36, s6
	s_cbranch_execz .LBB45_49
; %bb.46:                               ;   in Loop: Header=BB45_10 Depth=1
	s_and_not1_b32 vcc_lo, exec_lo, s16
	s_cbranch_vccnz .LBB45_90
; %bb.47:                               ;   in Loop: Header=BB45_10 Depth=1
	s_wait_dscnt 0x0
	ds_load_b32 v0, v53 offset:96
	v_lshl_add_u64 v[58:59], v[20:21], 2, v[42:43]
	s_wait_dscnt 0x0
	global_store_b32 v[58:59], v0, off
	s_cbranch_execnz .LBB45_49
.LBB45_48:                              ;   in Loop: Header=BB45_10 Depth=1
	s_wait_dscnt 0x0
	s_wait_xcnt 0x0
	ds_load_b32 v0, v53 offset:96
	s_wait_dscnt 0x0
	global_store_b32 v[40:41], v0, off offset:96
.LBB45_49:                              ;   in Loop: Header=BB45_10 Depth=1
	s_wait_xcnt 0x0
	s_or_b32 exec_lo, exec_lo, s36
	s_and_saveexec_b32 s36, s7
	s_cbranch_execz .LBB45_53
; %bb.50:                               ;   in Loop: Header=BB45_10 Depth=1
	s_and_not1_b32 vcc_lo, exec_lo, s16
	s_cbranch_vccnz .LBB45_91
; %bb.51:                               ;   in Loop: Header=BB45_10 Depth=1
	s_wait_dscnt 0x0
	ds_load_b32 v0, v53 offset:112
	v_lshl_add_u64 v[58:59], v[22:23], 2, v[42:43]
	s_wait_dscnt 0x0
	global_store_b32 v[58:59], v0, off
	s_cbranch_execnz .LBB45_53
.LBB45_52:                              ;   in Loop: Header=BB45_10 Depth=1
	s_wait_dscnt 0x0
	s_wait_xcnt 0x0
	ds_load_b32 v0, v53 offset:112
	s_wait_dscnt 0x0
	global_store_b32 v[40:41], v0, off offset:112
.LBB45_53:                              ;   in Loop: Header=BB45_10 Depth=1
	s_wait_xcnt 0x0
	s_or_b32 exec_lo, exec_lo, s36
	s_and_saveexec_b32 s36, s8
	s_cbranch_execz .LBB45_57
; %bb.54:                               ;   in Loop: Header=BB45_10 Depth=1
	s_and_not1_b32 vcc_lo, exec_lo, s16
	s_cbranch_vccnz .LBB45_92
; %bb.55:                               ;   in Loop: Header=BB45_10 Depth=1
	s_wait_dscnt 0x0
	ds_load_b32 v0, v53 offset:128
	v_lshl_add_u64 v[58:59], v[24:25], 2, v[42:43]
	s_wait_dscnt 0x0
	global_store_b32 v[58:59], v0, off
	s_cbranch_execnz .LBB45_57
.LBB45_56:                              ;   in Loop: Header=BB45_10 Depth=1
	s_wait_dscnt 0x0
	s_wait_xcnt 0x0
	ds_load_b32 v0, v53 offset:128
	s_wait_dscnt 0x0
	global_store_b32 v[40:41], v0, off offset:128
.LBB45_57:                              ;   in Loop: Header=BB45_10 Depth=1
	s_wait_xcnt 0x0
	s_or_b32 exec_lo, exec_lo, s36
	s_and_saveexec_b32 s36, s9
	s_cbranch_execz .LBB45_61
; %bb.58:                               ;   in Loop: Header=BB45_10 Depth=1
	s_and_not1_b32 vcc_lo, exec_lo, s16
	s_cbranch_vccnz .LBB45_93
; %bb.59:                               ;   in Loop: Header=BB45_10 Depth=1
	s_wait_dscnt 0x0
	ds_load_b32 v0, v53 offset:144
	v_lshl_add_u64 v[58:59], v[26:27], 2, v[42:43]
	s_wait_dscnt 0x0
	global_store_b32 v[58:59], v0, off
	s_cbranch_execnz .LBB45_61
.LBB45_60:                              ;   in Loop: Header=BB45_10 Depth=1
	s_wait_dscnt 0x0
	s_wait_xcnt 0x0
	ds_load_b32 v0, v53 offset:144
	s_wait_dscnt 0x0
	global_store_b32 v[40:41], v0, off offset:144
.LBB45_61:                              ;   in Loop: Header=BB45_10 Depth=1
	s_wait_xcnt 0x0
	s_or_b32 exec_lo, exec_lo, s36
	s_and_saveexec_b32 s36, s10
	s_cbranch_execz .LBB45_65
; %bb.62:                               ;   in Loop: Header=BB45_10 Depth=1
	s_and_not1_b32 vcc_lo, exec_lo, s16
	s_cbranch_vccnz .LBB45_94
; %bb.63:                               ;   in Loop: Header=BB45_10 Depth=1
	s_wait_dscnt 0x0
	ds_load_b32 v0, v53 offset:160
	v_lshl_add_u64 v[58:59], v[28:29], 2, v[42:43]
	s_wait_dscnt 0x0
	global_store_b32 v[58:59], v0, off
	s_cbranch_execnz .LBB45_65
.LBB45_64:                              ;   in Loop: Header=BB45_10 Depth=1
	s_wait_dscnt 0x0
	s_wait_xcnt 0x0
	ds_load_b32 v0, v53 offset:160
	s_wait_dscnt 0x0
	global_store_b32 v[40:41], v0, off offset:160
.LBB45_65:                              ;   in Loop: Header=BB45_10 Depth=1
	s_wait_xcnt 0x0
	s_or_b32 exec_lo, exec_lo, s36
	s_and_saveexec_b32 s36, s11
	s_cbranch_execz .LBB45_69
; %bb.66:                               ;   in Loop: Header=BB45_10 Depth=1
	s_and_not1_b32 vcc_lo, exec_lo, s16
	s_cbranch_vccnz .LBB45_95
; %bb.67:                               ;   in Loop: Header=BB45_10 Depth=1
	s_wait_dscnt 0x0
	ds_load_b32 v0, v53 offset:176
	v_lshl_add_u64 v[58:59], v[30:31], 2, v[42:43]
	s_wait_dscnt 0x0
	global_store_b32 v[58:59], v0, off
	s_cbranch_execnz .LBB45_69
.LBB45_68:                              ;   in Loop: Header=BB45_10 Depth=1
	s_wait_dscnt 0x0
	s_wait_xcnt 0x0
	ds_load_b32 v0, v53 offset:176
	s_wait_dscnt 0x0
	global_store_b32 v[40:41], v0, off offset:176
.LBB45_69:                              ;   in Loop: Header=BB45_10 Depth=1
	s_wait_xcnt 0x0
	s_or_b32 exec_lo, exec_lo, s36
	s_and_saveexec_b32 s36, s12
	s_cbranch_execz .LBB45_73
; %bb.70:                               ;   in Loop: Header=BB45_10 Depth=1
	s_and_not1_b32 vcc_lo, exec_lo, s16
	s_cbranch_vccnz .LBB45_96
; %bb.71:                               ;   in Loop: Header=BB45_10 Depth=1
	s_wait_dscnt 0x0
	ds_load_b32 v0, v53 offset:192
	v_lshl_add_u64 v[58:59], v[32:33], 2, v[42:43]
	s_wait_dscnt 0x0
	global_store_b32 v[58:59], v0, off
	s_cbranch_execnz .LBB45_73
.LBB45_72:                              ;   in Loop: Header=BB45_10 Depth=1
	s_wait_dscnt 0x0
	s_wait_xcnt 0x0
	ds_load_b32 v0, v53 offset:192
	s_wait_dscnt 0x0
	global_store_b32 v[40:41], v0, off offset:192
.LBB45_73:                              ;   in Loop: Header=BB45_10 Depth=1
	s_wait_xcnt 0x0
	s_or_b32 exec_lo, exec_lo, s36
	s_and_saveexec_b32 s36, s13
	s_cbranch_execz .LBB45_77
; %bb.74:                               ;   in Loop: Header=BB45_10 Depth=1
	s_and_not1_b32 vcc_lo, exec_lo, s16
	s_cbranch_vccnz .LBB45_97
; %bb.75:                               ;   in Loop: Header=BB45_10 Depth=1
	s_wait_dscnt 0x0
	ds_load_b32 v0, v53 offset:208
	v_lshl_add_u64 v[58:59], v[34:35], 2, v[42:43]
	s_wait_dscnt 0x0
	global_store_b32 v[58:59], v0, off
	s_cbranch_execnz .LBB45_77
.LBB45_76:                              ;   in Loop: Header=BB45_10 Depth=1
	s_wait_dscnt 0x0
	s_wait_xcnt 0x0
	ds_load_b32 v0, v53 offset:208
	s_wait_dscnt 0x0
	global_store_b32 v[40:41], v0, off offset:208
.LBB45_77:                              ;   in Loop: Header=BB45_10 Depth=1
	s_wait_xcnt 0x0
	s_or_b32 exec_lo, exec_lo, s36
	s_and_saveexec_b32 s36, s14
	s_cbranch_execz .LBB45_81
; %bb.78:                               ;   in Loop: Header=BB45_10 Depth=1
	s_and_not1_b32 vcc_lo, exec_lo, s16
	s_cbranch_vccnz .LBB45_98
; %bb.79:                               ;   in Loop: Header=BB45_10 Depth=1
	s_wait_dscnt 0x0
	ds_load_b32 v0, v53 offset:224
	v_lshl_add_u64 v[58:59], v[36:37], 2, v[42:43]
	s_wait_dscnt 0x0
	global_store_b32 v[58:59], v0, off
	s_cbranch_execnz .LBB45_81
.LBB45_80:                              ;   in Loop: Header=BB45_10 Depth=1
	s_wait_dscnt 0x0
	s_wait_xcnt 0x0
	ds_load_b32 v0, v53 offset:224
	s_wait_dscnt 0x0
	global_store_b32 v[40:41], v0, off offset:224
.LBB45_81:                              ;   in Loop: Header=BB45_10 Depth=1
	s_wait_xcnt 0x0
	s_or_b32 exec_lo, exec_lo, s36
	s_and_saveexec_b32 s36, s15
	s_cbranch_execz .LBB45_8
; %bb.82:                               ;   in Loop: Header=BB45_10 Depth=1
	s_and_not1_b32 vcc_lo, exec_lo, s16
	s_cbranch_vccnz .LBB45_99
; %bb.83:                               ;   in Loop: Header=BB45_10 Depth=1
	s_wait_dscnt 0x0
	ds_load_b32 v0, v53 offset:240
	v_lshl_add_u64 v[42:43], v[38:39], 2, v[42:43]
	s_wait_dscnt 0x0
	global_store_b32 v[42:43], v0, off
	s_cbranch_execnz .LBB45_8
	s_branch .LBB45_100
.LBB45_84:                              ;   in Loop: Header=BB45_10 Depth=1
	s_branch .LBB45_24
.LBB45_85:                              ;   in Loop: Header=BB45_10 Depth=1
	s_branch .LBB45_28
.LBB45_86:                              ;   in Loop: Header=BB45_10 Depth=1
	s_branch .LBB45_32
.LBB45_87:                              ;   in Loop: Header=BB45_10 Depth=1
	s_branch .LBB45_36
.LBB45_88:                              ;   in Loop: Header=BB45_10 Depth=1
	s_branch .LBB45_40
.LBB45_89:                              ;   in Loop: Header=BB45_10 Depth=1
	s_branch .LBB45_44
.LBB45_90:                              ;   in Loop: Header=BB45_10 Depth=1
	s_branch .LBB45_48
.LBB45_91:                              ;   in Loop: Header=BB45_10 Depth=1
	s_branch .LBB45_52
.LBB45_92:                              ;   in Loop: Header=BB45_10 Depth=1
	s_branch .LBB45_56
.LBB45_93:                              ;   in Loop: Header=BB45_10 Depth=1
	s_branch .LBB45_60
.LBB45_94:                              ;   in Loop: Header=BB45_10 Depth=1
	s_branch .LBB45_64
.LBB45_95:                              ;   in Loop: Header=BB45_10 Depth=1
	s_branch .LBB45_68
.LBB45_96:                              ;   in Loop: Header=BB45_10 Depth=1
	s_branch .LBB45_72
.LBB45_97:                              ;   in Loop: Header=BB45_10 Depth=1
	s_branch .LBB45_76
.LBB45_98:                              ;   in Loop: Header=BB45_10 Depth=1
	s_branch .LBB45_80
.LBB45_99:                              ;   in Loop: Header=BB45_10 Depth=1
.LBB45_100:                             ;   in Loop: Header=BB45_10 Depth=1
	s_wait_dscnt 0x0
	s_wait_xcnt 0x0
	ds_load_b32 v0, v53 offset:240
	s_wait_dscnt 0x0
	global_store_b32 v[40:41], v0, off offset:240
	s_branch .LBB45_8
.LBB45_101:
	s_endpgm
	.section	.rodata,"a",@progbits
	.p2align	6, 0x0
	.amdhsa_kernel _ZN9rocsparseL44csr2gebsr_wavefront_per_row_multipass_kernelILi128ELi8ELi64ELi32EfEEv20rocsparse_direction_iiiiii21rocsparse_index_base_PKT3_PKiS7_S2_PS3_PiS9_
		.amdhsa_group_segment_fixed_size 8196
		.amdhsa_private_segment_fixed_size 0
		.amdhsa_kernarg_size 88
		.amdhsa_user_sgpr_count 2
		.amdhsa_user_sgpr_dispatch_ptr 0
		.amdhsa_user_sgpr_queue_ptr 0
		.amdhsa_user_sgpr_kernarg_segment_ptr 1
		.amdhsa_user_sgpr_dispatch_id 0
		.amdhsa_user_sgpr_kernarg_preload_length 0
		.amdhsa_user_sgpr_kernarg_preload_offset 0
		.amdhsa_user_sgpr_private_segment_size 0
		.amdhsa_wavefront_size32 1
		.amdhsa_uses_dynamic_stack 0
		.amdhsa_enable_private_segment 0
		.amdhsa_system_sgpr_workgroup_id_x 1
		.amdhsa_system_sgpr_workgroup_id_y 0
		.amdhsa_system_sgpr_workgroup_id_z 0
		.amdhsa_system_sgpr_workgroup_info 0
		.amdhsa_system_vgpr_workitem_id 0
		.amdhsa_next_free_vgpr 63
		.amdhsa_next_free_sgpr 39
		.amdhsa_named_barrier_count 0
		.amdhsa_reserve_vcc 1
		.amdhsa_float_round_mode_32 0
		.amdhsa_float_round_mode_16_64 0
		.amdhsa_float_denorm_mode_32 3
		.amdhsa_float_denorm_mode_16_64 3
		.amdhsa_fp16_overflow 0
		.amdhsa_memory_ordered 1
		.amdhsa_forward_progress 1
		.amdhsa_inst_pref_size 27
		.amdhsa_round_robin_scheduling 0
		.amdhsa_exception_fp_ieee_invalid_op 0
		.amdhsa_exception_fp_denorm_src 0
		.amdhsa_exception_fp_ieee_div_zero 0
		.amdhsa_exception_fp_ieee_overflow 0
		.amdhsa_exception_fp_ieee_underflow 0
		.amdhsa_exception_fp_ieee_inexact 0
		.amdhsa_exception_int_div_zero 0
	.end_amdhsa_kernel
	.section	.text._ZN9rocsparseL44csr2gebsr_wavefront_per_row_multipass_kernelILi128ELi8ELi64ELi32EfEEv20rocsparse_direction_iiiiii21rocsparse_index_base_PKT3_PKiS7_S2_PS3_PiS9_,"axG",@progbits,_ZN9rocsparseL44csr2gebsr_wavefront_per_row_multipass_kernelILi128ELi8ELi64ELi32EfEEv20rocsparse_direction_iiiiii21rocsparse_index_base_PKT3_PKiS7_S2_PS3_PiS9_,comdat
.Lfunc_end45:
	.size	_ZN9rocsparseL44csr2gebsr_wavefront_per_row_multipass_kernelILi128ELi8ELi64ELi32EfEEv20rocsparse_direction_iiiiii21rocsparse_index_base_PKT3_PKiS7_S2_PS3_PiS9_, .Lfunc_end45-_ZN9rocsparseL44csr2gebsr_wavefront_per_row_multipass_kernelILi128ELi8ELi64ELi32EfEEv20rocsparse_direction_iiiiii21rocsparse_index_base_PKT3_PKiS7_S2_PS3_PiS9_
                                        ; -- End function
	.set _ZN9rocsparseL44csr2gebsr_wavefront_per_row_multipass_kernelILi128ELi8ELi64ELi32EfEEv20rocsparse_direction_iiiiii21rocsparse_index_base_PKT3_PKiS7_S2_PS3_PiS9_.num_vgpr, 63
	.set _ZN9rocsparseL44csr2gebsr_wavefront_per_row_multipass_kernelILi128ELi8ELi64ELi32EfEEv20rocsparse_direction_iiiiii21rocsparse_index_base_PKT3_PKiS7_S2_PS3_PiS9_.num_agpr, 0
	.set _ZN9rocsparseL44csr2gebsr_wavefront_per_row_multipass_kernelILi128ELi8ELi64ELi32EfEEv20rocsparse_direction_iiiiii21rocsparse_index_base_PKT3_PKiS7_S2_PS3_PiS9_.numbered_sgpr, 39
	.set _ZN9rocsparseL44csr2gebsr_wavefront_per_row_multipass_kernelILi128ELi8ELi64ELi32EfEEv20rocsparse_direction_iiiiii21rocsparse_index_base_PKT3_PKiS7_S2_PS3_PiS9_.num_named_barrier, 0
	.set _ZN9rocsparseL44csr2gebsr_wavefront_per_row_multipass_kernelILi128ELi8ELi64ELi32EfEEv20rocsparse_direction_iiiiii21rocsparse_index_base_PKT3_PKiS7_S2_PS3_PiS9_.private_seg_size, 0
	.set _ZN9rocsparseL44csr2gebsr_wavefront_per_row_multipass_kernelILi128ELi8ELi64ELi32EfEEv20rocsparse_direction_iiiiii21rocsparse_index_base_PKT3_PKiS7_S2_PS3_PiS9_.uses_vcc, 1
	.set _ZN9rocsparseL44csr2gebsr_wavefront_per_row_multipass_kernelILi128ELi8ELi64ELi32EfEEv20rocsparse_direction_iiiiii21rocsparse_index_base_PKT3_PKiS7_S2_PS3_PiS9_.uses_flat_scratch, 0
	.set _ZN9rocsparseL44csr2gebsr_wavefront_per_row_multipass_kernelILi128ELi8ELi64ELi32EfEEv20rocsparse_direction_iiiiii21rocsparse_index_base_PKT3_PKiS7_S2_PS3_PiS9_.has_dyn_sized_stack, 0
	.set _ZN9rocsparseL44csr2gebsr_wavefront_per_row_multipass_kernelILi128ELi8ELi64ELi32EfEEv20rocsparse_direction_iiiiii21rocsparse_index_base_PKT3_PKiS7_S2_PS3_PiS9_.has_recursion, 0
	.set _ZN9rocsparseL44csr2gebsr_wavefront_per_row_multipass_kernelILi128ELi8ELi64ELi32EfEEv20rocsparse_direction_iiiiii21rocsparse_index_base_PKT3_PKiS7_S2_PS3_PiS9_.has_indirect_call, 0
	.section	.AMDGPU.csdata,"",@progbits
; Kernel info:
; codeLenInByte = 3416
; TotalNumSgprs: 41
; NumVgprs: 63
; ScratchSize: 0
; MemoryBound: 0
; FloatMode: 240
; IeeeMode: 1
; LDSByteSize: 8196 bytes/workgroup (compile time only)
; SGPRBlocks: 0
; VGPRBlocks: 3
; NumSGPRsForWavesPerEU: 41
; NumVGPRsForWavesPerEU: 63
; NamedBarCnt: 0
; Occupancy: 16
; WaveLimiterHint : 0
; COMPUTE_PGM_RSRC2:SCRATCH_EN: 0
; COMPUTE_PGM_RSRC2:USER_SGPR: 2
; COMPUTE_PGM_RSRC2:TRAP_HANDLER: 0
; COMPUTE_PGM_RSRC2:TGID_X_EN: 1
; COMPUTE_PGM_RSRC2:TGID_Y_EN: 0
; COMPUTE_PGM_RSRC2:TGID_Z_EN: 0
; COMPUTE_PGM_RSRC2:TIDIG_COMP_CNT: 0
	.section	.text._ZN9rocsparseL44csr2gebsr_wavefront_per_row_multipass_kernelILi256ELi16ELi2ELi32EfEEv20rocsparse_direction_iiiiii21rocsparse_index_base_PKT3_PKiS7_S2_PS3_PiS9_,"axG",@progbits,_ZN9rocsparseL44csr2gebsr_wavefront_per_row_multipass_kernelILi256ELi16ELi2ELi32EfEEv20rocsparse_direction_iiiiii21rocsparse_index_base_PKT3_PKiS7_S2_PS3_PiS9_,comdat
	.globl	_ZN9rocsparseL44csr2gebsr_wavefront_per_row_multipass_kernelILi256ELi16ELi2ELi32EfEEv20rocsparse_direction_iiiiii21rocsparse_index_base_PKT3_PKiS7_S2_PS3_PiS9_ ; -- Begin function _ZN9rocsparseL44csr2gebsr_wavefront_per_row_multipass_kernelILi256ELi16ELi2ELi32EfEEv20rocsparse_direction_iiiiii21rocsparse_index_base_PKT3_PKiS7_S2_PS3_PiS9_
	.p2align	8
	.type	_ZN9rocsparseL44csr2gebsr_wavefront_per_row_multipass_kernelILi256ELi16ELi2ELi32EfEEv20rocsparse_direction_iiiiii21rocsparse_index_base_PKT3_PKiS7_S2_PS3_PiS9_,@function
_ZN9rocsparseL44csr2gebsr_wavefront_per_row_multipass_kernelILi256ELi16ELi2ELi32EfEEv20rocsparse_direction_iiiiii21rocsparse_index_base_PKT3_PKiS7_S2_PS3_PiS9_: ; @_ZN9rocsparseL44csr2gebsr_wavefront_per_row_multipass_kernelILi256ELi16ELi2ELi32EfEEv20rocsparse_direction_iiiiii21rocsparse_index_base_PKT3_PKiS7_S2_PS3_PiS9_
; %bb.0:
	s_clause 0x1
	s_load_b128 s[4:7], s[0:1], 0xc
	s_load_b64 s[12:13], s[0:1], 0x0
	s_bfe_u32 s2, ttmp6, 0x4000c
	s_and_b32 s3, ttmp6, 15
	s_add_co_i32 s2, s2, 1
	s_getreg_b32 s8, hwreg(HW_REG_IB_STS2, 6, 4)
	s_mul_i32 s2, ttmp9, s2
	v_dual_lshrrev_b32 v14, 5, v0 :: v_dual_mov_b32 v2, 0
	s_add_co_i32 s3, s3, s2
	s_cmp_eq_u32 s8, 0
	v_bfe_u32 v3, v0, 1, 4
	s_cselect_b32 s2, ttmp9, s3
	s_clause 0x1
	s_load_b32 s16, s[0:1], 0x1c
	s_load_b64 s[8:9], s[0:1], 0x28
	v_lshl_or_b32 v1, s2, 3, v14
	v_mov_b32_e32 v8, 0
	s_wait_kmcnt 0x0
	s_delay_alu instid0(VALU_DEP_2) | instskip(SKIP_1) | instid1(VALU_DEP_2)
	v_mad_u32 v4, v1, s6, v3
	v_cmp_gt_i32_e32 vcc_lo, s6, v3
	v_cmp_gt_i32_e64 s2, s13, v4
	s_and_b32 s2, vcc_lo, s2
	s_delay_alu instid0(SALU_CYCLE_1)
	s_and_saveexec_b32 s3, s2
	s_cbranch_execz .LBB46_2
; %bb.1:
	global_load_b32 v5, v4, s[8:9] scale_offset
	s_wait_loadcnt 0x0
	v_subrev_nc_u32_e32 v8, s16, v5
.LBB46_2:
	s_or_b32 exec_lo, exec_lo, s3
	v_mov_b32_e32 v15, 0
	s_and_saveexec_b32 s3, s2
	s_cbranch_execz .LBB46_4
; %bb.3:
	global_load_b32 v4, v4, s[8:9] offset:4 scale_offset
	s_wait_loadcnt 0x0
	v_subrev_nc_u32_e32 v15, s16, v4
.LBB46_4:
	s_or_b32 exec_lo, exec_lo, s3
	s_load_b32 s17, s[0:1], 0x38
	s_mov_b32 s3, exec_lo
	v_cmpx_gt_i32_e64 s4, v1
	s_cbranch_execz .LBB46_6
; %bb.5:
	s_load_b64 s[8:9], s[0:1], 0x48
	s_wait_kmcnt 0x0
	global_load_b32 v1, v1, s[8:9] scale_offset
	s_wait_loadcnt 0x0
	v_subrev_nc_u32_e32 v2, s17, v1
.LBB46_6:
	s_or_b32 exec_lo, exec_lo, s3
	s_cmp_lt_i32 s5, 1
	s_cbranch_scc1 .LBB46_24
; %bb.7:
	v_mbcnt_lo_u32_b32 v9, -1, 0
	s_clause 0x3
	s_load_b64 s[2:3], s[0:1], 0x50
	s_load_b64 s[14:15], s[0:1], 0x40
	;; [unrolled: 1-line block ×4, first 2 shown]
	v_and_b32_e32 v5, 0xe0, v0
	v_mul_lo_u32 v10, s7, v3
	v_dual_mov_b32 v24, 0x7c :: v_dual_mov_b32 v25, 1
	v_dual_lshlrev_b32 v6, 3, v3 :: v_dual_bitop2_b32 v1, 1, v9 bitop3:0x14
	v_lshl_or_b32 v18, v9, 2, 4
	s_mov_b32 s13, 0
	s_wait_xcnt 0x0
	s_delay_alu instid0(VALU_DEP_2) | instskip(SKIP_2) | instid1(VALU_DEP_3)
	v_cmp_gt_i32_e64 s0, 32, v1
	v_and_b32_e32 v4, 1, v0
	v_lshl_or_b32 v16, v5, 2, v6
	v_dual_ashrrev_i32 v11, 31, v10 :: v_dual_cndmask_b32 v1, v9, v1, s0
	s_delay_alu instid0(VALU_DEP_3)
	v_mul_lo_u32 v0, s6, v4
	v_lshlrev_b32_e32 v12, 2, v4
	v_cmp_gt_u32_e64 s0, s7, v4
	s_wait_kmcnt 0x0
	v_lshl_add_u64 v[10:11], v[10:11], 2, s[14:15]
	v_dual_lshlrev_b32 v17, 2, v1 :: v_dual_mov_b32 v1, 0
	v_or_b32_e32 v19, v16, v12
	s_and_b32 s4, vcc_lo, s0
	s_cmp_lg_u32 s12, 0
	s_mov_b32 s12, s6
	v_mov_b32_e32 v13, v1
	v_lshl_add_u64 v[6:7], v[0:1], 2, s[14:15]
	v_lshlrev_b32_e32 v0, 2, v3
	s_cselect_b32 s18, -1, 0
	s_abs_i32 s6, s7
	s_ashr_i32 s1, s7, 31
	s_cvt_f32_u32 s14, s6
	v_add_nc_u64_e32 v[6:7], v[6:7], v[0:1]
	v_xor_b32_e32 v0, 16, v9
	v_add_nc_u64_e32 v[10:11], v[10:11], v[12:13]
	v_rcp_iflag_f32_e32 v3, s14
	s_mov_b32 s0, s7
	v_xor_b32_e32 v12, 8, v9
	v_cmp_gt_i32_e32 vcc_lo, 32, v0
	s_delay_alu instid0(TRANS32_DEP_1) | instskip(SKIP_4) | instid1(VALU_DEP_3)
	v_readfirstlane_b32 s14, v3
	v_cndmask_b32_e32 v0, v9, v0, vcc_lo
	v_mov_b32_e32 v5, v1
	v_cmp_gt_i32_e32 vcc_lo, 32, v12
	s_mul_f32 s14, s14, 0x4f7ffffe
	v_dual_lshlrev_b32 v20, 2, v0 :: v_dual_bitop2_b32 v0, 4, v9 bitop3:0x14
	v_cndmask_b32_e32 v3, v9, v12, vcc_lo
	s_delay_alu instid0(SALU_CYCLE_1) | instskip(SKIP_1) | instid1(VALU_DEP_2)
	s_cvt_u32_f32 s19, s14
	s_sub_co_i32 s14, 0, s6
	v_cmp_gt_i32_e32 vcc_lo, 32, v0
	v_xor_b32_e32 v13, 2, v9
	s_mul_i32 s14, s14, s19
	v_dual_lshlrev_b32 v21, 2, v3 :: v_dual_mov_b32 v3, 0
	v_cndmask_b32_e32 v0, v9, v0, vcc_lo
	s_delay_alu instid0(VALU_DEP_3)
	v_cmp_gt_i32_e32 vcc_lo, 32, v13
	s_mul_hi_u32 s20, s19, s14
	s_mul_u64 s[14:15], s[0:1], s[12:13]
	s_add_co_i32 s12, s19, s20
	s_mov_b32 s19, s13
	v_dual_cndmask_b32 v9, v9, v13 :: v_dual_lshlrev_b32 v22, 2, v0
	s_delay_alu instid0(VALU_DEP_1)
	v_lshlrev_b32_e32 v23, 2, v9
	s_branch .LBB46_10
.LBB46_8:                               ;   in Loop: Header=BB46_10 Depth=1
	s_wait_xcnt 0x0
	s_or_b32 exec_lo, exec_lo, s20
	s_wait_dscnt 0x0
	v_mov_b32_e32 v0, 1
.LBB46_9:                               ;   in Loop: Header=BB46_10 Depth=1
	s_or_b32 exec_lo, exec_lo, s0
	ds_bpermute_b32 v3, v20, v26
	s_wait_storecnt_dscnt 0x0
	v_add_nc_u32_e32 v2, v0, v2
	v_min_i32_e32 v3, v3, v26
	ds_bpermute_b32 v9, v21, v3
	s_wait_dscnt 0x0
	v_min_i32_e32 v3, v9, v3
	ds_bpermute_b32 v9, v22, v3
	s_wait_dscnt 0x0
	;; [unrolled: 3-line block ×5, first 2 shown]
	v_cmp_le_i32_e32 vcc_lo, s5, v3
	s_or_b32 s19, vcc_lo, s19
	s_delay_alu instid0(SALU_CYCLE_1)
	s_and_not1_b32 exec_lo, exec_lo, s19
	s_cbranch_execz .LBB46_24
.LBB46_10:                              ; =>This Loop Header: Depth=1
                                        ;     Child Loop BB46_13 Depth 2
	v_dual_mov_b32 v26, s5 :: v_dual_add_nc_u32 v27, v8, v4
	v_mov_b32_e32 v29, v15
	s_mov_b32 s20, exec_lo
	ds_store_b8 v14, v1 offset:1024
	ds_store_b32 v19, v1
	s_wait_dscnt 0x0
	v_cmpx_lt_i32_e64 v27, v15
	s_cbranch_execz .LBB46_18
; %bb.11:                               ;   in Loop: Header=BB46_10 Depth=1
	v_dual_mov_b32 v26, s5 :: v_dual_ashrrev_i32 v9, 31, v8
	v_mul_lo_u32 v28, v3, s7
	v_mov_b32_e32 v29, v15
	s_mov_b32 s21, 0
	s_delay_alu instid0(VALU_DEP_3) | instskip(NEXT) | instid1(VALU_DEP_1)
	v_add_nc_u64_e32 v[8:9], v[4:5], v[8:9]
	v_lshlrev_b64_e32 v[12:13], 2, v[8:9]
	s_delay_alu instid0(VALU_DEP_1)
	v_add_nc_u64_e32 v[8:9], s[10:11], v[12:13]
	v_add_nc_u64_e32 v[12:13], s[8:9], v[12:13]
	s_branch .LBB46_13
.LBB46_12:                              ;   in Loop: Header=BB46_13 Depth=2
	s_wait_xcnt 0x0
	s_or_b32 exec_lo, exec_lo, s0
	v_add_nc_u32_e32 v27, 2, v27
	s_xor_b32 s22, vcc_lo, -1
	v_add_nc_u64_e32 v[8:9], 8, v[8:9]
	v_add_nc_u64_e32 v[12:13], 8, v[12:13]
	s_delay_alu instid0(VALU_DEP_3) | instskip(SKIP_1) | instid1(SALU_CYCLE_1)
	v_cmp_ge_i32_e64 s0, v27, v15
	s_or_b32 s0, s22, s0
	s_and_b32 s0, exec_lo, s0
	s_delay_alu instid0(SALU_CYCLE_1) | instskip(NEXT) | instid1(SALU_CYCLE_1)
	s_or_b32 s21, s0, s21
	s_and_not1_b32 exec_lo, exec_lo, s21
	s_cbranch_execz .LBB46_17
.LBB46_13:                              ;   Parent Loop BB46_10 Depth=1
                                        ; =>  This Inner Loop Header: Depth=2
	global_load_b32 v0, v[8:9], off
	s_wait_loadcnt 0x0
	v_subrev_nc_u32_e32 v30, s16, v0
	s_delay_alu instid0(VALU_DEP_1) | instskip(NEXT) | instid1(VALU_DEP_1)
	v_sub_nc_u32_e32 v0, 0, v30
	v_max_i32_e32 v0, v30, v0
	s_delay_alu instid0(VALU_DEP_1) | instskip(NEXT) | instid1(VALU_DEP_1)
	v_mul_u64_e32 v[32:33], s[12:13], v[0:1]
	v_mul_lo_u32 v31, v33, s6
	s_delay_alu instid0(VALU_DEP_1) | instskip(NEXT) | instid1(VALU_DEP_1)
	v_dual_sub_nc_u32 v0, v0, v31 :: v_dual_add_nc_u32 v31, 1, v33
	v_cmp_le_u32_e32 vcc_lo, s6, v0
	s_delay_alu instid0(VALU_DEP_2) | instskip(SKIP_1) | instid1(VALU_DEP_1)
	v_dual_cndmask_b32 v31, v33, v31, vcc_lo :: v_dual_ashrrev_i32 v33, 31, v30
	v_subrev_nc_u32_e32 v32, s6, v0
	v_dual_cndmask_b32 v0, v0, v32, vcc_lo :: v_dual_add_nc_u32 v32, 1, v31
	s_delay_alu instid0(VALU_DEP_1) | instskip(NEXT) | instid1(VALU_DEP_2)
	v_cmp_le_u32_e32 vcc_lo, s6, v0
	v_dual_cndmask_b32 v0, v31, v32, vcc_lo :: v_dual_bitop2_b32 v33, s1, v33 bitop3:0x14
	s_delay_alu instid0(VALU_DEP_1) | instskip(NEXT) | instid1(VALU_DEP_1)
	v_xor_b32_e32 v0, v0, v33
	v_dual_mov_b32 v0, v29 :: v_dual_sub_nc_u32 v31, v0, v33
	s_delay_alu instid0(VALU_DEP_1) | instskip(SKIP_3) | instid1(SALU_CYCLE_1)
	v_cmp_ne_u32_e64 s0, v31, v3
	v_cmp_eq_u32_e32 vcc_lo, v31, v3
	s_wait_xcnt 0x0
	s_and_saveexec_b32 s22, s0
	s_xor_b32 s0, exec_lo, s22
; %bb.14:                               ;   in Loop: Header=BB46_13 Depth=2
	v_min_i32_e32 v26, v31, v26
                                        ; implicit-def: $vgpr30
                                        ; implicit-def: $vgpr0
; %bb.15:                               ;   in Loop: Header=BB46_13 Depth=2
	s_or_saveexec_b32 s0, s0
	v_mov_b32_e32 v29, v27
	s_xor_b32 exec_lo, exec_lo, s0
	s_cbranch_execz .LBB46_12
; %bb.16:                               ;   in Loop: Header=BB46_13 Depth=2
	global_load_b32 v31, v[12:13], off
	v_sub_nc_u32_e32 v29, v30, v28
	s_delay_alu instid0(VALU_DEP_1)
	v_lshl_add_u32 v30, v29, 2, v16
	v_mov_b32_e32 v29, v0
	ds_store_b8 v14, v25 offset:1024
	s_wait_loadcnt 0x0
	ds_store_b32 v30, v31
	s_branch .LBB46_12
.LBB46_17:                              ;   in Loop: Header=BB46_10 Depth=1
	s_or_b32 exec_lo, exec_lo, s21
.LBB46_18:                              ;   in Loop: Header=BB46_10 Depth=1
	s_delay_alu instid0(SALU_CYCLE_1)
	s_or_b32 exec_lo, exec_lo, s20
	ds_bpermute_b32 v0, v17, v29
	s_wait_dscnt 0x0
	ds_load_u8 v9, v14 offset:1024
	v_min_i32_e32 v0, v0, v29
	ds_bpermute_b32 v8, v18, v0
	s_wait_dscnt 0x1
	v_and_b32_e32 v0, 1, v9
	s_delay_alu instid0(VALU_DEP_1)
	v_cmp_eq_u32_e32 vcc_lo, 1, v0
	v_mov_b32_e32 v0, 0
	s_and_saveexec_b32 s0, vcc_lo
	s_cbranch_execz .LBB46_9
; %bb.19:                               ;   in Loop: Header=BB46_10 Depth=1
	v_add_nc_u32_e32 v0, s17, v3
	global_store_b32 v2, v0, s[2:3] scale_offset
	s_wait_xcnt 0x0
	s_and_saveexec_b32 s20, s4
	s_cbranch_execz .LBB46_8
; %bb.20:                               ;   in Loop: Header=BB46_10 Depth=1
	v_ashrrev_i32_e32 v3, 31, v2
	ds_load_b32 v0, v19
	s_and_b32 vcc_lo, exec_lo, s18
	v_mul_u64_e32 v[12:13], s[14:15], v[2:3]
	s_cbranch_vccz .LBB46_22
; %bb.21:                               ;   in Loop: Header=BB46_10 Depth=1
	s_delay_alu instid0(VALU_DEP_1)
	v_lshl_add_u64 v[28:29], v[12:13], 2, v[6:7]
	s_wait_dscnt 0x0
	global_store_b32 v[28:29], v0, off
	s_cbranch_execnz .LBB46_8
	s_branch .LBB46_23
.LBB46_22:                              ;   in Loop: Header=BB46_10 Depth=1
.LBB46_23:                              ;   in Loop: Header=BB46_10 Depth=1
	s_delay_alu instid0(VALU_DEP_1)
	v_lshl_add_u64 v[12:13], v[12:13], 2, v[10:11]
	s_wait_dscnt 0x0
	global_store_b32 v[12:13], v0, off
	s_branch .LBB46_8
.LBB46_24:
	s_endpgm
	.section	.rodata,"a",@progbits
	.p2align	6, 0x0
	.amdhsa_kernel _ZN9rocsparseL44csr2gebsr_wavefront_per_row_multipass_kernelILi256ELi16ELi2ELi32EfEEv20rocsparse_direction_iiiiii21rocsparse_index_base_PKT3_PKiS7_S2_PS3_PiS9_
		.amdhsa_group_segment_fixed_size 1032
		.amdhsa_private_segment_fixed_size 0
		.amdhsa_kernarg_size 88
		.amdhsa_user_sgpr_count 2
		.amdhsa_user_sgpr_dispatch_ptr 0
		.amdhsa_user_sgpr_queue_ptr 0
		.amdhsa_user_sgpr_kernarg_segment_ptr 1
		.amdhsa_user_sgpr_dispatch_id 0
		.amdhsa_user_sgpr_kernarg_preload_length 0
		.amdhsa_user_sgpr_kernarg_preload_offset 0
		.amdhsa_user_sgpr_private_segment_size 0
		.amdhsa_wavefront_size32 1
		.amdhsa_uses_dynamic_stack 0
		.amdhsa_enable_private_segment 0
		.amdhsa_system_sgpr_workgroup_id_x 1
		.amdhsa_system_sgpr_workgroup_id_y 0
		.amdhsa_system_sgpr_workgroup_id_z 0
		.amdhsa_system_sgpr_workgroup_info 0
		.amdhsa_system_vgpr_workitem_id 0
		.amdhsa_next_free_vgpr 34
		.amdhsa_next_free_sgpr 23
		.amdhsa_named_barrier_count 0
		.amdhsa_reserve_vcc 1
		.amdhsa_float_round_mode_32 0
		.amdhsa_float_round_mode_16_64 0
		.amdhsa_float_denorm_mode_32 3
		.amdhsa_float_denorm_mode_16_64 3
		.amdhsa_fp16_overflow 0
		.amdhsa_memory_ordered 1
		.amdhsa_forward_progress 1
		.amdhsa_inst_pref_size 11
		.amdhsa_round_robin_scheduling 0
		.amdhsa_exception_fp_ieee_invalid_op 0
		.amdhsa_exception_fp_denorm_src 0
		.amdhsa_exception_fp_ieee_div_zero 0
		.amdhsa_exception_fp_ieee_overflow 0
		.amdhsa_exception_fp_ieee_underflow 0
		.amdhsa_exception_fp_ieee_inexact 0
		.amdhsa_exception_int_div_zero 0
	.end_amdhsa_kernel
	.section	.text._ZN9rocsparseL44csr2gebsr_wavefront_per_row_multipass_kernelILi256ELi16ELi2ELi32EfEEv20rocsparse_direction_iiiiii21rocsparse_index_base_PKT3_PKiS7_S2_PS3_PiS9_,"axG",@progbits,_ZN9rocsparseL44csr2gebsr_wavefront_per_row_multipass_kernelILi256ELi16ELi2ELi32EfEEv20rocsparse_direction_iiiiii21rocsparse_index_base_PKT3_PKiS7_S2_PS3_PiS9_,comdat
.Lfunc_end46:
	.size	_ZN9rocsparseL44csr2gebsr_wavefront_per_row_multipass_kernelILi256ELi16ELi2ELi32EfEEv20rocsparse_direction_iiiiii21rocsparse_index_base_PKT3_PKiS7_S2_PS3_PiS9_, .Lfunc_end46-_ZN9rocsparseL44csr2gebsr_wavefront_per_row_multipass_kernelILi256ELi16ELi2ELi32EfEEv20rocsparse_direction_iiiiii21rocsparse_index_base_PKT3_PKiS7_S2_PS3_PiS9_
                                        ; -- End function
	.set _ZN9rocsparseL44csr2gebsr_wavefront_per_row_multipass_kernelILi256ELi16ELi2ELi32EfEEv20rocsparse_direction_iiiiii21rocsparse_index_base_PKT3_PKiS7_S2_PS3_PiS9_.num_vgpr, 34
	.set _ZN9rocsparseL44csr2gebsr_wavefront_per_row_multipass_kernelILi256ELi16ELi2ELi32EfEEv20rocsparse_direction_iiiiii21rocsparse_index_base_PKT3_PKiS7_S2_PS3_PiS9_.num_agpr, 0
	.set _ZN9rocsparseL44csr2gebsr_wavefront_per_row_multipass_kernelILi256ELi16ELi2ELi32EfEEv20rocsparse_direction_iiiiii21rocsparse_index_base_PKT3_PKiS7_S2_PS3_PiS9_.numbered_sgpr, 23
	.set _ZN9rocsparseL44csr2gebsr_wavefront_per_row_multipass_kernelILi256ELi16ELi2ELi32EfEEv20rocsparse_direction_iiiiii21rocsparse_index_base_PKT3_PKiS7_S2_PS3_PiS9_.num_named_barrier, 0
	.set _ZN9rocsparseL44csr2gebsr_wavefront_per_row_multipass_kernelILi256ELi16ELi2ELi32EfEEv20rocsparse_direction_iiiiii21rocsparse_index_base_PKT3_PKiS7_S2_PS3_PiS9_.private_seg_size, 0
	.set _ZN9rocsparseL44csr2gebsr_wavefront_per_row_multipass_kernelILi256ELi16ELi2ELi32EfEEv20rocsparse_direction_iiiiii21rocsparse_index_base_PKT3_PKiS7_S2_PS3_PiS9_.uses_vcc, 1
	.set _ZN9rocsparseL44csr2gebsr_wavefront_per_row_multipass_kernelILi256ELi16ELi2ELi32EfEEv20rocsparse_direction_iiiiii21rocsparse_index_base_PKT3_PKiS7_S2_PS3_PiS9_.uses_flat_scratch, 0
	.set _ZN9rocsparseL44csr2gebsr_wavefront_per_row_multipass_kernelILi256ELi16ELi2ELi32EfEEv20rocsparse_direction_iiiiii21rocsparse_index_base_PKT3_PKiS7_S2_PS3_PiS9_.has_dyn_sized_stack, 0
	.set _ZN9rocsparseL44csr2gebsr_wavefront_per_row_multipass_kernelILi256ELi16ELi2ELi32EfEEv20rocsparse_direction_iiiiii21rocsparse_index_base_PKT3_PKiS7_S2_PS3_PiS9_.has_recursion, 0
	.set _ZN9rocsparseL44csr2gebsr_wavefront_per_row_multipass_kernelILi256ELi16ELi2ELi32EfEEv20rocsparse_direction_iiiiii21rocsparse_index_base_PKT3_PKiS7_S2_PS3_PiS9_.has_indirect_call, 0
	.section	.AMDGPU.csdata,"",@progbits
; Kernel info:
; codeLenInByte = 1400
; TotalNumSgprs: 25
; NumVgprs: 34
; ScratchSize: 0
; MemoryBound: 0
; FloatMode: 240
; IeeeMode: 1
; LDSByteSize: 1032 bytes/workgroup (compile time only)
; SGPRBlocks: 0
; VGPRBlocks: 2
; NumSGPRsForWavesPerEU: 25
; NumVGPRsForWavesPerEU: 34
; NamedBarCnt: 0
; Occupancy: 16
; WaveLimiterHint : 0
; COMPUTE_PGM_RSRC2:SCRATCH_EN: 0
; COMPUTE_PGM_RSRC2:USER_SGPR: 2
; COMPUTE_PGM_RSRC2:TRAP_HANDLER: 0
; COMPUTE_PGM_RSRC2:TGID_X_EN: 1
; COMPUTE_PGM_RSRC2:TGID_Y_EN: 0
; COMPUTE_PGM_RSRC2:TGID_Z_EN: 0
; COMPUTE_PGM_RSRC2:TIDIG_COMP_CNT: 0
	.section	.text._ZN9rocsparseL44csr2gebsr_wavefront_per_row_multipass_kernelILi256ELi16ELi4ELi64EfEEv20rocsparse_direction_iiiiii21rocsparse_index_base_PKT3_PKiS7_S2_PS3_PiS9_,"axG",@progbits,_ZN9rocsparseL44csr2gebsr_wavefront_per_row_multipass_kernelILi256ELi16ELi4ELi64EfEEv20rocsparse_direction_iiiiii21rocsparse_index_base_PKT3_PKiS7_S2_PS3_PiS9_,comdat
	.globl	_ZN9rocsparseL44csr2gebsr_wavefront_per_row_multipass_kernelILi256ELi16ELi4ELi64EfEEv20rocsparse_direction_iiiiii21rocsparse_index_base_PKT3_PKiS7_S2_PS3_PiS9_ ; -- Begin function _ZN9rocsparseL44csr2gebsr_wavefront_per_row_multipass_kernelILi256ELi16ELi4ELi64EfEEv20rocsparse_direction_iiiiii21rocsparse_index_base_PKT3_PKiS7_S2_PS3_PiS9_
	.p2align	8
	.type	_ZN9rocsparseL44csr2gebsr_wavefront_per_row_multipass_kernelILi256ELi16ELi4ELi64EfEEv20rocsparse_direction_iiiiii21rocsparse_index_base_PKT3_PKiS7_S2_PS3_PiS9_,@function
_ZN9rocsparseL44csr2gebsr_wavefront_per_row_multipass_kernelILi256ELi16ELi4ELi64EfEEv20rocsparse_direction_iiiiii21rocsparse_index_base_PKT3_PKiS7_S2_PS3_PiS9_: ; @_ZN9rocsparseL44csr2gebsr_wavefront_per_row_multipass_kernelILi256ELi16ELi4ELi64EfEEv20rocsparse_direction_iiiiii21rocsparse_index_base_PKT3_PKiS7_S2_PS3_PiS9_
; %bb.0:
	s_clause 0x1
	s_load_b128 s[4:7], s[0:1], 0xc
	s_load_b64 s[12:13], s[0:1], 0x0
	s_bfe_u32 s2, ttmp6, 0x4000c
	s_and_b32 s3, ttmp6, 15
	s_add_co_i32 s2, s2, 1
	s_getreg_b32 s8, hwreg(HW_REG_IB_STS2, 6, 4)
	s_mul_i32 s2, ttmp9, s2
	v_dual_lshrrev_b32 v14, 6, v0 :: v_dual_mov_b32 v2, 0
	s_add_co_i32 s3, s3, s2
	s_cmp_eq_u32 s8, 0
	v_bfe_u32 v1, v0, 2, 4
	s_cselect_b32 s2, ttmp9, s3
	s_clause 0x1
	s_load_b32 s16, s[0:1], 0x1c
	s_load_b64 s[8:9], s[0:1], 0x28
	v_lshl_or_b32 v3, s2, 2, v14
	v_mov_b32_e32 v8, 0
	s_wait_kmcnt 0x0
	s_delay_alu instid0(VALU_DEP_2) | instskip(SKIP_1) | instid1(VALU_DEP_2)
	v_mad_u32 v4, v3, s6, v1
	v_cmp_gt_i32_e32 vcc_lo, s6, v1
	v_cmp_gt_i32_e64 s2, s13, v4
	s_and_b32 s2, vcc_lo, s2
	s_delay_alu instid0(SALU_CYCLE_1)
	s_and_saveexec_b32 s3, s2
	s_cbranch_execz .LBB47_2
; %bb.1:
	global_load_b32 v5, v4, s[8:9] scale_offset
	s_wait_loadcnt 0x0
	v_subrev_nc_u32_e32 v8, s16, v5
.LBB47_2:
	s_or_b32 exec_lo, exec_lo, s3
	v_mov_b32_e32 v15, 0
	s_and_saveexec_b32 s3, s2
	s_cbranch_execz .LBB47_4
; %bb.3:
	global_load_b32 v4, v4, s[8:9] offset:4 scale_offset
	s_wait_loadcnt 0x0
	v_subrev_nc_u32_e32 v15, s16, v4
.LBB47_4:
	s_or_b32 exec_lo, exec_lo, s3
	s_load_b32 s17, s[0:1], 0x38
	s_mov_b32 s3, exec_lo
	v_cmpx_gt_i32_e64 s4, v3
	s_cbranch_execz .LBB47_6
; %bb.5:
	s_load_b64 s[8:9], s[0:1], 0x48
	s_wait_kmcnt 0x0
	global_load_b32 v2, v3, s[8:9] scale_offset
	s_wait_loadcnt 0x0
	v_subrev_nc_u32_e32 v2, s17, v2
.LBB47_6:
	s_or_b32 exec_lo, exec_lo, s3
	s_cmp_lt_i32 s5, 1
	s_cbranch_scc1 .LBB47_24
; %bb.7:
	v_mbcnt_lo_u32_b32 v3, -1, 0
	v_lshlrev_b32_e32 v5, 4, v1
	v_and_b32_e32 v4, 0xc0, v0
	s_clause 0x3
	s_load_b64 s[2:3], s[0:1], 0x50
	s_load_b64 s[14:15], s[0:1], 0x40
	;; [unrolled: 1-line block ×4, first 2 shown]
	v_mul_lo_u32 v10, s7, v1
	v_xor_b32_e32 v6, 2, v3
	v_lshl_or_b32 v19, v3, 2, 12
	v_lshl_or_b32 v16, v4, 2, v5
	v_bfrev_b32_e32 v25, 0.5
	s_mov_b32 s13, 0
	s_wait_xcnt 0x0
	v_cmp_gt_i32_e64 s0, 32, v6
	v_dual_mov_b32 v26, 1 :: v_dual_bitop2_b32 v7, 1, v3 bitop3:0x14
	s_delay_alu instid0(VALU_DEP_2) | instskip(NEXT) | instid1(VALU_DEP_2)
	v_cndmask_b32_e64 v5, v3, v6, s0
	v_cmp_gt_i32_e64 s0, 32, v7
	v_dual_ashrrev_i32 v11, 31, v10 :: v_dual_bitop2_b32 v0, 3, v0 bitop3:0x40
	s_delay_alu instid0(VALU_DEP_2) | instskip(NEXT) | instid1(VALU_DEP_2)
	v_cndmask_b32_e64 v6, v3, v7, s0
	v_mul_lo_u32 v4, s6, v0
	v_dual_lshlrev_b32 v17, 2, v5 :: v_dual_lshlrev_b32 v12, 2, v0
	v_mov_b32_e32 v5, 0
	v_cmp_gt_u32_e64 s0, s7, v0
	s_delay_alu instid0(VALU_DEP_3)
	v_dual_lshlrev_b32 v18, 2, v6 :: v_dual_bitop2_b32 v20, v16, v12 bitop3:0x54
	s_and_b32 s4, vcc_lo, s0
	s_cmp_lg_u32 s12, 0
	s_wait_kmcnt 0x0
	v_lshl_add_u64 v[6:7], v[4:5], 2, s[14:15]
	v_dual_lshlrev_b32 v4, 2, v1 :: v_dual_bitop2_b32 v1, 32, v3 bitop3:0x54
	v_lshl_add_u64 v[10:11], v[10:11], 2, s[14:15]
	s_cselect_b32 s18, -1, 0
	s_mov_b32 s12, s6
	s_abs_i32 s6, s7
	v_cmp_gt_i32_e32 vcc_lo, 32, v1
	v_mov_b32_e32 v13, v5
	s_cvt_f32_u32 s14, s6
	v_add_nc_u64_e32 v[6:7], v[6:7], v[4:5]
	s_ashr_i32 s1, s7, 31
	v_dual_cndmask_b32 v4, v3, v1 :: v_dual_mov_b32 v1, v5
	v_add_nc_u64_e32 v[10:11], v[10:11], v[12:13]
	v_xor_b32_e32 v12, 16, v3
	v_rcp_iflag_f32_e32 v9, s14
	s_delay_alu instid0(VALU_DEP_3) | instskip(SKIP_1) | instid1(VALU_DEP_2)
	v_dual_lshlrev_b32 v21, 2, v4 :: v_dual_bitop2_b32 v4, 8, v3 bitop3:0x14
	s_mov_b32 s0, s7
	v_cmp_gt_i32_e32 vcc_lo, 32, v12
	v_xor_b32_e32 v13, 4, v3
	s_delay_alu instid0(TRANS32_DEP_1)
	v_readfirstlane_b32 s14, v9
	v_cndmask_b32_e32 v9, v3, v12, vcc_lo
	v_cmp_gt_i32_e32 vcc_lo, 32, v4
	s_mul_f32 s14, s14, 0x4f7ffffe
	v_cndmask_b32_e32 v4, v3, v4, vcc_lo
	v_cmp_gt_i32_e32 vcc_lo, 32, v13
	s_delay_alu instid0(SALU_CYCLE_1) | instskip(SKIP_2) | instid1(SALU_CYCLE_1)
	s_cvt_u32_f32 s19, s14
	s_sub_co_i32 s14, 0, s6
	v_cndmask_b32_e32 v3, v3, v13, vcc_lo
	s_mul_i32 s14, s14, s19
	v_dual_lshlrev_b32 v22, 2, v9 :: v_dual_lshlrev_b32 v23, 2, v4
	s_mul_hi_u32 s20, s19, s14
	s_delay_alu instid0(VALU_DEP_2)
	v_dual_mov_b32 v3, 0 :: v_dual_lshlrev_b32 v24, 2, v3
	s_mul_u64 s[14:15], s[0:1], s[12:13]
	s_add_co_i32 s12, s19, s20
	s_mov_b32 s19, s13
	s_branch .LBB47_10
.LBB47_8:                               ;   in Loop: Header=BB47_10 Depth=1
	s_wait_xcnt 0x0
	s_or_b32 exec_lo, exec_lo, s20
	v_mov_b32_e32 v4, 1
.LBB47_9:                               ;   in Loop: Header=BB47_10 Depth=1
	s_or_b32 exec_lo, exec_lo, s0
	s_wait_dscnt 0x0
	ds_bpermute_b32 v3, v21, v27
	s_wait_storecnt_dscnt 0x0
	v_dual_add_nc_u32 v2, v4, v2 :: v_dual_min_i32 v3, v3, v27
	ds_bpermute_b32 v9, v22, v3
	s_wait_dscnt 0x0
	v_min_i32_e32 v3, v9, v3
	ds_bpermute_b32 v9, v23, v3
	s_wait_dscnt 0x0
	v_min_i32_e32 v3, v9, v3
	ds_bpermute_b32 v9, v24, v3
	s_wait_dscnt 0x0
	v_min_i32_e32 v3, v9, v3
	ds_bpermute_b32 v9, v17, v3
	s_wait_dscnt 0x0
	v_min_i32_e32 v3, v9, v3
	ds_bpermute_b32 v9, v18, v3
	s_wait_dscnt 0x0
	v_min_i32_e32 v3, v9, v3
	ds_bpermute_b32 v3, v25, v3
	s_wait_dscnt 0x0
	v_cmp_le_i32_e32 vcc_lo, s5, v3
	s_or_b32 s19, vcc_lo, s19
	s_delay_alu instid0(SALU_CYCLE_1)
	s_and_not1_b32 exec_lo, exec_lo, s19
	s_cbranch_execz .LBB47_24
.LBB47_10:                              ; =>This Loop Header: Depth=1
                                        ;     Child Loop BB47_13 Depth 2
	v_dual_mov_b32 v27, s5 :: v_dual_add_nc_u32 v28, v8, v0
	v_mov_b32_e32 v30, v15
	s_mov_b32 s20, exec_lo
	ds_store_b8 v14, v5 offset:1024
	ds_store_b32 v20, v5
	s_wait_dscnt 0x0
	v_cmpx_lt_i32_e64 v28, v15
	s_cbranch_execz .LBB47_18
; %bb.11:                               ;   in Loop: Header=BB47_10 Depth=1
	v_dual_ashrrev_i32 v9, 31, v8 :: v_dual_mov_b32 v27, s5
	v_mul_lo_u32 v29, v3, s7
	v_mov_b32_e32 v30, v15
	s_mov_b32 s21, 0
	s_delay_alu instid0(VALU_DEP_3) | instskip(NEXT) | instid1(VALU_DEP_1)
	v_add_nc_u64_e32 v[8:9], v[0:1], v[8:9]
	v_lshlrev_b64_e32 v[12:13], 2, v[8:9]
	s_delay_alu instid0(VALU_DEP_1)
	v_add_nc_u64_e32 v[8:9], s[10:11], v[12:13]
	v_add_nc_u64_e32 v[12:13], s[8:9], v[12:13]
	s_branch .LBB47_13
.LBB47_12:                              ;   in Loop: Header=BB47_13 Depth=2
	s_wait_xcnt 0x0
	s_or_b32 exec_lo, exec_lo, s0
	v_add_nc_u32_e32 v28, 4, v28
	s_xor_b32 s22, vcc_lo, -1
	v_add_nc_u64_e32 v[8:9], 16, v[8:9]
	v_add_nc_u64_e32 v[12:13], 16, v[12:13]
	s_delay_alu instid0(VALU_DEP_3) | instskip(SKIP_1) | instid1(SALU_CYCLE_1)
	v_cmp_ge_i32_e64 s0, v28, v15
	s_or_b32 s0, s22, s0
	s_and_b32 s0, exec_lo, s0
	s_delay_alu instid0(SALU_CYCLE_1) | instskip(NEXT) | instid1(SALU_CYCLE_1)
	s_or_b32 s21, s0, s21
	s_and_not1_b32 exec_lo, exec_lo, s21
	s_cbranch_execz .LBB47_17
.LBB47_13:                              ;   Parent Loop BB47_10 Depth=1
                                        ; =>  This Inner Loop Header: Depth=2
	global_load_b32 v4, v[8:9], off
	s_wait_loadcnt 0x0
	v_subrev_nc_u32_e32 v31, s16, v4
	s_delay_alu instid0(VALU_DEP_1) | instskip(NEXT) | instid1(VALU_DEP_1)
	v_sub_nc_u32_e32 v4, 0, v31
	v_max_i32_e32 v4, v31, v4
	s_delay_alu instid0(VALU_DEP_1) | instskip(NEXT) | instid1(VALU_DEP_1)
	v_mul_u64_e32 v[32:33], s[12:13], v[4:5]
	v_mul_lo_u32 v32, v33, s6
	s_delay_alu instid0(VALU_DEP_1) | instskip(NEXT) | instid1(VALU_DEP_1)
	v_dual_sub_nc_u32 v4, v4, v32 :: v_dual_add_nc_u32 v32, 1, v33
	v_cmp_le_u32_e32 vcc_lo, s6, v4
	s_delay_alu instid0(VALU_DEP_2) | instskip(SKIP_1) | instid1(VALU_DEP_1)
	v_cndmask_b32_e32 v32, v33, v32, vcc_lo
	v_subrev_nc_u32_e32 v34, s6, v4
	v_dual_cndmask_b32 v4, v4, v34 :: v_dual_ashrrev_i32 v33, 31, v31
	s_delay_alu instid0(VALU_DEP_3) | instskip(NEXT) | instid1(VALU_DEP_2)
	v_add_nc_u32_e32 v34, 1, v32
	v_cmp_le_u32_e32 vcc_lo, s6, v4
	s_delay_alu instid0(VALU_DEP_2) | instskip(NEXT) | instid1(VALU_DEP_1)
	v_dual_cndmask_b32 v4, v32, v34, vcc_lo :: v_dual_bitop2_b32 v33, s1, v33 bitop3:0x14
	v_xor_b32_e32 v4, v4, v33
	s_delay_alu instid0(VALU_DEP_1) | instskip(NEXT) | instid1(VALU_DEP_1)
	v_dual_sub_nc_u32 v32, v4, v33 :: v_dual_mov_b32 v4, v30
	v_cmp_ne_u32_e64 s0, v32, v3
	v_cmp_eq_u32_e32 vcc_lo, v32, v3
	s_wait_xcnt 0x0
	s_and_saveexec_b32 s22, s0
	s_delay_alu instid0(SALU_CYCLE_1)
	s_xor_b32 s0, exec_lo, s22
; %bb.14:                               ;   in Loop: Header=BB47_13 Depth=2
	v_min_i32_e32 v27, v32, v27
                                        ; implicit-def: $vgpr31
                                        ; implicit-def: $vgpr4
; %bb.15:                               ;   in Loop: Header=BB47_13 Depth=2
	s_or_saveexec_b32 s0, s0
	v_mov_b32_e32 v30, v28
	s_xor_b32 exec_lo, exec_lo, s0
	s_cbranch_execz .LBB47_12
; %bb.16:                               ;   in Loop: Header=BB47_13 Depth=2
	global_load_b32 v32, v[12:13], off
	v_sub_nc_u32_e32 v30, v31, v29
	s_delay_alu instid0(VALU_DEP_1)
	v_lshl_add_u32 v31, v30, 2, v16
	v_mov_b32_e32 v30, v4
	ds_store_b8 v14, v26 offset:1024
	s_wait_loadcnt 0x0
	ds_store_b32 v31, v32
	s_branch .LBB47_12
.LBB47_17:                              ;   in Loop: Header=BB47_10 Depth=1
	s_or_b32 exec_lo, exec_lo, s21
.LBB47_18:                              ;   in Loop: Header=BB47_10 Depth=1
	s_delay_alu instid0(SALU_CYCLE_1)
	s_or_b32 exec_lo, exec_lo, s20
	ds_bpermute_b32 v4, v17, v30
	s_wait_dscnt 0x0
	ds_load_u8 v9, v14 offset:1024
	v_min_i32_e32 v4, v4, v30
	ds_bpermute_b32 v8, v18, v4
	s_wait_dscnt 0x0
	v_min_i32_e32 v4, v8, v4
	ds_bpermute_b32 v8, v19, v4
	v_and_b32_e32 v4, 1, v9
	s_delay_alu instid0(VALU_DEP_1)
	v_cmp_eq_u32_e32 vcc_lo, 1, v4
	v_mov_b32_e32 v4, 0
	s_and_saveexec_b32 s0, vcc_lo
	s_cbranch_execz .LBB47_9
; %bb.19:                               ;   in Loop: Header=BB47_10 Depth=1
	v_add_nc_u32_e32 v3, s17, v3
	global_store_b32 v2, v3, s[2:3] scale_offset
	s_wait_xcnt 0x0
	s_and_saveexec_b32 s20, s4
	s_cbranch_execz .LBB47_8
; %bb.20:                               ;   in Loop: Header=BB47_10 Depth=1
	v_ashrrev_i32_e32 v3, 31, v2
	s_and_b32 vcc_lo, exec_lo, s18
	s_delay_alu instid0(VALU_DEP_1)
	v_mul_u64_e32 v[12:13], s[14:15], v[2:3]
	ds_load_b32 v3, v20
	s_cbranch_vccz .LBB47_22
; %bb.21:                               ;   in Loop: Header=BB47_10 Depth=1
	v_lshl_add_u64 v[28:29], v[12:13], 2, v[6:7]
	s_wait_dscnt 0x0
	global_store_b32 v[28:29], v3, off
	s_cbranch_execnz .LBB47_8
	s_branch .LBB47_23
.LBB47_22:                              ;   in Loop: Header=BB47_10 Depth=1
.LBB47_23:                              ;   in Loop: Header=BB47_10 Depth=1
	v_lshl_add_u64 v[12:13], v[12:13], 2, v[10:11]
	s_wait_dscnt 0x0
	global_store_b32 v[12:13], v3, off
	s_branch .LBB47_8
.LBB47_24:
	s_endpgm
	.section	.rodata,"a",@progbits
	.p2align	6, 0x0
	.amdhsa_kernel _ZN9rocsparseL44csr2gebsr_wavefront_per_row_multipass_kernelILi256ELi16ELi4ELi64EfEEv20rocsparse_direction_iiiiii21rocsparse_index_base_PKT3_PKiS7_S2_PS3_PiS9_
		.amdhsa_group_segment_fixed_size 1028
		.amdhsa_private_segment_fixed_size 0
		.amdhsa_kernarg_size 88
		.amdhsa_user_sgpr_count 2
		.amdhsa_user_sgpr_dispatch_ptr 0
		.amdhsa_user_sgpr_queue_ptr 0
		.amdhsa_user_sgpr_kernarg_segment_ptr 1
		.amdhsa_user_sgpr_dispatch_id 0
		.amdhsa_user_sgpr_kernarg_preload_length 0
		.amdhsa_user_sgpr_kernarg_preload_offset 0
		.amdhsa_user_sgpr_private_segment_size 0
		.amdhsa_wavefront_size32 1
		.amdhsa_uses_dynamic_stack 0
		.amdhsa_enable_private_segment 0
		.amdhsa_system_sgpr_workgroup_id_x 1
		.amdhsa_system_sgpr_workgroup_id_y 0
		.amdhsa_system_sgpr_workgroup_id_z 0
		.amdhsa_system_sgpr_workgroup_info 0
		.amdhsa_system_vgpr_workitem_id 0
		.amdhsa_next_free_vgpr 35
		.amdhsa_next_free_sgpr 23
		.amdhsa_named_barrier_count 0
		.amdhsa_reserve_vcc 1
		.amdhsa_float_round_mode_32 0
		.amdhsa_float_round_mode_16_64 0
		.amdhsa_float_denorm_mode_32 3
		.amdhsa_float_denorm_mode_16_64 3
		.amdhsa_fp16_overflow 0
		.amdhsa_memory_ordered 1
		.amdhsa_forward_progress 1
		.amdhsa_inst_pref_size 12
		.amdhsa_round_robin_scheduling 0
		.amdhsa_exception_fp_ieee_invalid_op 0
		.amdhsa_exception_fp_denorm_src 0
		.amdhsa_exception_fp_ieee_div_zero 0
		.amdhsa_exception_fp_ieee_overflow 0
		.amdhsa_exception_fp_ieee_underflow 0
		.amdhsa_exception_fp_ieee_inexact 0
		.amdhsa_exception_int_div_zero 0
	.end_amdhsa_kernel
	.section	.text._ZN9rocsparseL44csr2gebsr_wavefront_per_row_multipass_kernelILi256ELi16ELi4ELi64EfEEv20rocsparse_direction_iiiiii21rocsparse_index_base_PKT3_PKiS7_S2_PS3_PiS9_,"axG",@progbits,_ZN9rocsparseL44csr2gebsr_wavefront_per_row_multipass_kernelILi256ELi16ELi4ELi64EfEEv20rocsparse_direction_iiiiii21rocsparse_index_base_PKT3_PKiS7_S2_PS3_PiS9_,comdat
.Lfunc_end47:
	.size	_ZN9rocsparseL44csr2gebsr_wavefront_per_row_multipass_kernelILi256ELi16ELi4ELi64EfEEv20rocsparse_direction_iiiiii21rocsparse_index_base_PKT3_PKiS7_S2_PS3_PiS9_, .Lfunc_end47-_ZN9rocsparseL44csr2gebsr_wavefront_per_row_multipass_kernelILi256ELi16ELi4ELi64EfEEv20rocsparse_direction_iiiiii21rocsparse_index_base_PKT3_PKiS7_S2_PS3_PiS9_
                                        ; -- End function
	.set _ZN9rocsparseL44csr2gebsr_wavefront_per_row_multipass_kernelILi256ELi16ELi4ELi64EfEEv20rocsparse_direction_iiiiii21rocsparse_index_base_PKT3_PKiS7_S2_PS3_PiS9_.num_vgpr, 35
	.set _ZN9rocsparseL44csr2gebsr_wavefront_per_row_multipass_kernelILi256ELi16ELi4ELi64EfEEv20rocsparse_direction_iiiiii21rocsparse_index_base_PKT3_PKiS7_S2_PS3_PiS9_.num_agpr, 0
	.set _ZN9rocsparseL44csr2gebsr_wavefront_per_row_multipass_kernelILi256ELi16ELi4ELi64EfEEv20rocsparse_direction_iiiiii21rocsparse_index_base_PKT3_PKiS7_S2_PS3_PiS9_.numbered_sgpr, 23
	.set _ZN9rocsparseL44csr2gebsr_wavefront_per_row_multipass_kernelILi256ELi16ELi4ELi64EfEEv20rocsparse_direction_iiiiii21rocsparse_index_base_PKT3_PKiS7_S2_PS3_PiS9_.num_named_barrier, 0
	.set _ZN9rocsparseL44csr2gebsr_wavefront_per_row_multipass_kernelILi256ELi16ELi4ELi64EfEEv20rocsparse_direction_iiiiii21rocsparse_index_base_PKT3_PKiS7_S2_PS3_PiS9_.private_seg_size, 0
	.set _ZN9rocsparseL44csr2gebsr_wavefront_per_row_multipass_kernelILi256ELi16ELi4ELi64EfEEv20rocsparse_direction_iiiiii21rocsparse_index_base_PKT3_PKiS7_S2_PS3_PiS9_.uses_vcc, 1
	.set _ZN9rocsparseL44csr2gebsr_wavefront_per_row_multipass_kernelILi256ELi16ELi4ELi64EfEEv20rocsparse_direction_iiiiii21rocsparse_index_base_PKT3_PKiS7_S2_PS3_PiS9_.uses_flat_scratch, 0
	.set _ZN9rocsparseL44csr2gebsr_wavefront_per_row_multipass_kernelILi256ELi16ELi4ELi64EfEEv20rocsparse_direction_iiiiii21rocsparse_index_base_PKT3_PKiS7_S2_PS3_PiS9_.has_dyn_sized_stack, 0
	.set _ZN9rocsparseL44csr2gebsr_wavefront_per_row_multipass_kernelILi256ELi16ELi4ELi64EfEEv20rocsparse_direction_iiiiii21rocsparse_index_base_PKT3_PKiS7_S2_PS3_PiS9_.has_recursion, 0
	.set _ZN9rocsparseL44csr2gebsr_wavefront_per_row_multipass_kernelILi256ELi16ELi4ELi64EfEEv20rocsparse_direction_iiiiii21rocsparse_index_base_PKT3_PKiS7_S2_PS3_PiS9_.has_indirect_call, 0
	.section	.AMDGPU.csdata,"",@progbits
; Kernel info:
; codeLenInByte = 1468
; TotalNumSgprs: 25
; NumVgprs: 35
; ScratchSize: 0
; MemoryBound: 0
; FloatMode: 240
; IeeeMode: 1
; LDSByteSize: 1028 bytes/workgroup (compile time only)
; SGPRBlocks: 0
; VGPRBlocks: 2
; NumSGPRsForWavesPerEU: 25
; NumVGPRsForWavesPerEU: 35
; NamedBarCnt: 0
; Occupancy: 16
; WaveLimiterHint : 0
; COMPUTE_PGM_RSRC2:SCRATCH_EN: 0
; COMPUTE_PGM_RSRC2:USER_SGPR: 2
; COMPUTE_PGM_RSRC2:TRAP_HANDLER: 0
; COMPUTE_PGM_RSRC2:TGID_X_EN: 1
; COMPUTE_PGM_RSRC2:TGID_Y_EN: 0
; COMPUTE_PGM_RSRC2:TGID_Z_EN: 0
; COMPUTE_PGM_RSRC2:TIDIG_COMP_CNT: 0
	.section	.text._ZN9rocsparseL44csr2gebsr_wavefront_per_row_multipass_kernelILi256ELi16ELi4ELi32EfEEv20rocsparse_direction_iiiiii21rocsparse_index_base_PKT3_PKiS7_S2_PS3_PiS9_,"axG",@progbits,_ZN9rocsparseL44csr2gebsr_wavefront_per_row_multipass_kernelILi256ELi16ELi4ELi32EfEEv20rocsparse_direction_iiiiii21rocsparse_index_base_PKT3_PKiS7_S2_PS3_PiS9_,comdat
	.globl	_ZN9rocsparseL44csr2gebsr_wavefront_per_row_multipass_kernelILi256ELi16ELi4ELi32EfEEv20rocsparse_direction_iiiiii21rocsparse_index_base_PKT3_PKiS7_S2_PS3_PiS9_ ; -- Begin function _ZN9rocsparseL44csr2gebsr_wavefront_per_row_multipass_kernelILi256ELi16ELi4ELi32EfEEv20rocsparse_direction_iiiiii21rocsparse_index_base_PKT3_PKiS7_S2_PS3_PiS9_
	.p2align	8
	.type	_ZN9rocsparseL44csr2gebsr_wavefront_per_row_multipass_kernelILi256ELi16ELi4ELi32EfEEv20rocsparse_direction_iiiiii21rocsparse_index_base_PKT3_PKiS7_S2_PS3_PiS9_,@function
_ZN9rocsparseL44csr2gebsr_wavefront_per_row_multipass_kernelILi256ELi16ELi4ELi32EfEEv20rocsparse_direction_iiiiii21rocsparse_index_base_PKT3_PKiS7_S2_PS3_PiS9_: ; @_ZN9rocsparseL44csr2gebsr_wavefront_per_row_multipass_kernelILi256ELi16ELi4ELi32EfEEv20rocsparse_direction_iiiiii21rocsparse_index_base_PKT3_PKiS7_S2_PS3_PiS9_
; %bb.0:
	s_clause 0x1
	s_load_b128 s[4:7], s[0:1], 0xc
	s_load_b64 s[12:13], s[0:1], 0x0
	s_bfe_u32 s2, ttmp6, 0x4000c
	s_and_b32 s3, ttmp6, 15
	s_add_co_i32 s2, s2, 1
	s_getreg_b32 s8, hwreg(HW_REG_IB_STS2, 6, 4)
	s_mul_i32 s2, ttmp9, s2
	v_dual_lshrrev_b32 v20, 5, v0 :: v_dual_mov_b32 v2, 0
	s_add_co_i32 s3, s3, s2
	s_cmp_eq_u32 s8, 0
	v_bfe_u32 v1, v0, 1, 4
	s_cselect_b32 s2, ttmp9, s3
	s_clause 0x1
	s_load_b32 s18, s[0:1], 0x1c
	s_load_b64 s[8:9], s[0:1], 0x28
	v_lshl_or_b32 v3, s2, 3, v20
	v_mov_b32_e32 v10, 0
	s_wait_kmcnt 0x0
	s_delay_alu instid0(VALU_DEP_2) | instskip(SKIP_1) | instid1(VALU_DEP_2)
	v_mad_u32 v4, v3, s6, v1
	v_cmp_gt_i32_e32 vcc_lo, s6, v1
	v_cmp_gt_i32_e64 s2, s13, v4
	s_and_b32 s2, vcc_lo, s2
	s_delay_alu instid0(SALU_CYCLE_1)
	s_and_saveexec_b32 s3, s2
	s_cbranch_execz .LBB48_2
; %bb.1:
	global_load_b32 v5, v4, s[8:9] scale_offset
	s_wait_loadcnt 0x0
	v_subrev_nc_u32_e32 v10, s18, v5
.LBB48_2:
	s_or_b32 exec_lo, exec_lo, s3
	v_mov_b32_e32 v21, 0
	s_and_saveexec_b32 s3, s2
	s_cbranch_execz .LBB48_4
; %bb.3:
	global_load_b32 v4, v4, s[8:9] offset:4 scale_offset
	s_wait_loadcnt 0x0
	v_subrev_nc_u32_e32 v21, s18, v4
.LBB48_4:
	s_or_b32 exec_lo, exec_lo, s3
	s_load_b32 s19, s[0:1], 0x38
	s_mov_b32 s3, exec_lo
	v_cmpx_gt_i32_e64 s4, v3
	s_cbranch_execz .LBB48_6
; %bb.5:
	s_load_b64 s[8:9], s[0:1], 0x48
	s_wait_kmcnt 0x0
	global_load_b32 v2, v3, s[8:9] scale_offset
	s_wait_loadcnt 0x0
	v_subrev_nc_u32_e32 v2, s19, v2
.LBB48_6:
	s_or_b32 exec_lo, exec_lo, s3
	s_cmp_lt_i32 s5, 1
	s_cbranch_scc1 .LBB48_29
; %bb.7:
	v_mbcnt_lo_u32_b32 v3, -1, 0
	s_clause 0x3
	s_load_b64 s[2:3], s[0:1], 0x50
	s_load_b64 s[20:21], s[0:1], 0x40
	s_load_b64 s[8:9], s[0:1], 0x20
	s_load_b64 s[10:11], s[0:1], 0x30
	v_mul_lo_u32 v6, s7, v1
	v_and_b32_e32 v0, 1, v0
	s_cmp_lg_u32 s12, 0
	v_dual_lshlrev_b32 v5, 4, v1 :: v_dual_bitop2_b32 v4, 1, v3 bitop3:0x14
	s_mov_b32 s13, 0
	s_cselect_b32 s4, -1, 0
	s_mov_b32 s12, s6
	s_wait_xcnt 0x0
	v_cmp_gt_i32_e64 s0, 32, v4
	v_lshl_or_b32 v22, v20, 8, v5
	v_dual_ashrrev_i32 v7, 31, v6 :: v_dual_bitop2_b32 v11, 16, v3 bitop3:0x14
	v_lshlrev_b32_e32 v8, 2, v0
	s_delay_alu instid0(VALU_DEP_4) | instskip(NEXT) | instid1(VALU_DEP_3)
	v_dual_cndmask_b32 v4, v3, v4, s0 :: v_dual_mov_b32 v5, 0
	v_cmp_gt_i32_e64 s0, 32, v11
	s_ashr_i32 s15, s7, 31
	v_or_b32_e32 v25, v22, v8
	v_dual_lshlrev_b32 v23, 2, v4 :: v_dual_lshlrev_b32 v4, 2, v1
	s_wait_kmcnt 0x0
	v_lshl_add_u64 v[12:13], v[6:7], 2, s[20:21]
	v_dual_mov_b32 v9, v5 :: v_dual_cndmask_b32 v11, v3, v11, s0
	v_mov_b32_e32 v1, v5
	v_add_nc_u64_e32 v[6:7], s[20:21], v[4:5]
	s_mov_b32 s14, s7
	s_delay_alu instid0(VALU_DEP_3)
	v_add_nc_u64_e32 v[8:9], v[12:13], v[8:9]
	v_xor_b32_e32 v12, 2, v3
	v_xor_b32_e32 v4, 8, v3
	s_mul_u64 s[16:17], s[14:15], s[12:13]
	s_abs_i32 s14, s7
	v_lshl_or_b32 v24, v3, 2, 4
	s_cvt_f32_u32 s1, s14
	v_cmp_gt_i32_e64 s0, 32, v4
	v_lshlrev_b32_e32 v26, 2, v11
	v_dual_mov_b32 v30, 0x7c :: v_dual_mov_b32 v15, v5
	v_rcp_iflag_f32_e32 v13, s1
	s_delay_alu instid0(VALU_DEP_3) | instskip(SKIP_1) | instid1(VALU_DEP_2)
	v_dual_cndmask_b32 v4, v3, v4, s0 :: v_dual_bitop2_b32 v11, 4, v3 bitop3:0x14
	v_dual_mov_b32 v31, 1 :: v_dual_mov_b32 v33, 0
	v_lshlrev_b32_e32 v27, 2, v4
	s_delay_alu instid0(VALU_DEP_3) | instskip(NEXT) | instid1(VALU_DEP_1)
	v_cmp_gt_i32_e64 s0, 32, v11
	v_cndmask_b32_e64 v11, v3, v11, s0
	v_cmp_gt_i32_e64 s0, 32, v12
	s_delay_alu instid0(VALU_DEP_1) | instskip(SKIP_2) | instid1(VALU_DEP_3)
	v_cndmask_b32_e64 v3, v3, v12, s0
	v_mul_lo_u32 v12, v0, s6
	v_readfirstlane_b32 s0, v13
	v_dual_mov_b32 v13, v5 :: v_dual_lshlrev_b32 v29, 2, v3
	v_or_b32_e32 v3, 2, v0
	s_mul_f32 s12, s0, 0x4f7ffffe
	v_cmp_gt_u32_e64 s0, s7, v0
	v_lshlrev_b32_e32 v28, 2, v11
	s_delay_alu instid0(SALU_CYCLE_1)
	s_cvt_u32_f32 s12, s12
	v_lshl_add_u32 v14, s6, 1, v12
	s_sub_co_i32 s6, 0, s14
	v_cmp_gt_u32_e64 s1, s7, v3
	s_mul_i32 s20, s6, s12
	s_and_b32 s6, s0, vcc_lo
	s_mul_hi_u32 s0, s12, s20
	s_mov_b32 s20, s13
	s_and_b32 s1, vcc_lo, s1
	s_add_co_i32 s12, s12, s0
	s_branch .LBB48_10
.LBB48_8:                               ;   in Loop: Header=BB48_10 Depth=1
	s_wait_xcnt 0x0
	s_or_b32 exec_lo, exec_lo, s21
	s_wait_dscnt 0x0
	v_mov_b32_e32 v3, 1
.LBB48_9:                               ;   in Loop: Header=BB48_10 Depth=1
	s_or_b32 exec_lo, exec_lo, s0
	ds_bpermute_b32 v4, v26, v32
	s_wait_storecnt_dscnt 0x0
	v_dual_add_nc_u32 v2, v3, v2 :: v_dual_min_i32 v4, v4, v32
	ds_bpermute_b32 v11, v27, v4
	s_wait_dscnt 0x0
	v_min_i32_e32 v4, v11, v4
	ds_bpermute_b32 v11, v28, v4
	s_wait_dscnt 0x0
	v_min_i32_e32 v4, v11, v4
	ds_bpermute_b32 v11, v29, v4
	s_wait_dscnt 0x0
	v_min_i32_e32 v4, v11, v4
	ds_bpermute_b32 v11, v23, v4
	s_wait_dscnt 0x0
	v_min_i32_e32 v4, v11, v4
	ds_bpermute_b32 v33, v30, v4
	s_wait_dscnt 0x0
	v_cmp_le_i32_e32 vcc_lo, s5, v33
	s_or_b32 s20, vcc_lo, s20
	s_delay_alu instid0(SALU_CYCLE_1)
	s_and_not1_b32 exec_lo, exec_lo, s20
	s_cbranch_execz .LBB48_29
.LBB48_10:                              ; =>This Loop Header: Depth=1
                                        ;     Child Loop BB48_13 Depth 2
	v_dual_mov_b32 v32, s5 :: v_dual_add_nc_u32 v3, v10, v0
	v_mov_b32_e32 v19, v21
	s_mov_b32 s21, exec_lo
	ds_store_b8 v20, v5 offset:2048
	ds_store_2addr_b32 v25, v5, v5 offset1:2
	s_wait_dscnt 0x0
	v_cmpx_lt_i32_e64 v3, v21
	s_cbranch_execz .LBB48_18
; %bb.11:                               ;   in Loop: Header=BB48_10 Depth=1
	v_dual_mov_b32 v32, s5 :: v_dual_ashrrev_i32 v11, 31, v10
	v_mul_lo_u32 v18, v33, s7
	v_mov_b32_e32 v19, v21
	s_mov_b32 s22, 0
	s_delay_alu instid0(VALU_DEP_3) | instskip(NEXT) | instid1(VALU_DEP_1)
	v_add_nc_u64_e32 v[10:11], v[0:1], v[10:11]
	v_lshlrev_b64_e32 v[16:17], 2, v[10:11]
	s_delay_alu instid0(VALU_DEP_1)
	v_add_nc_u64_e32 v[10:11], s[10:11], v[16:17]
	v_add_nc_u64_e32 v[16:17], s[8:9], v[16:17]
	s_branch .LBB48_13
.LBB48_12:                              ;   in Loop: Header=BB48_13 Depth=2
	s_wait_xcnt 0x0
	s_or_b32 exec_lo, exec_lo, s0
	v_add_nc_u32_e32 v3, 2, v3
	s_xor_b32 s23, vcc_lo, -1
	v_add_nc_u64_e32 v[10:11], 8, v[10:11]
	v_add_nc_u64_e32 v[16:17], 8, v[16:17]
	s_delay_alu instid0(VALU_DEP_3) | instskip(SKIP_1) | instid1(SALU_CYCLE_1)
	v_cmp_ge_i32_e64 s0, v3, v21
	s_or_b32 s0, s23, s0
	s_and_b32 s0, exec_lo, s0
	s_delay_alu instid0(SALU_CYCLE_1) | instskip(NEXT) | instid1(SALU_CYCLE_1)
	s_or_b32 s22, s0, s22
	s_and_not1_b32 exec_lo, exec_lo, s22
	s_cbranch_execz .LBB48_17
.LBB48_13:                              ;   Parent Loop BB48_10 Depth=1
                                        ; =>  This Inner Loop Header: Depth=2
	global_load_b32 v4, v[10:11], off
	s_wait_loadcnt 0x0
	v_subrev_nc_u32_e32 v34, s18, v4
	s_delay_alu instid0(VALU_DEP_1) | instskip(NEXT) | instid1(VALU_DEP_1)
	v_sub_nc_u32_e32 v4, 0, v34
	v_max_i32_e32 v4, v34, v4
	s_delay_alu instid0(VALU_DEP_1) | instskip(NEXT) | instid1(VALU_DEP_1)
	v_mul_u64_e32 v[36:37], s[12:13], v[4:5]
	v_mul_lo_u32 v35, v37, s14
	s_delay_alu instid0(VALU_DEP_1) | instskip(NEXT) | instid1(VALU_DEP_1)
	v_dual_sub_nc_u32 v4, v4, v35 :: v_dual_add_nc_u32 v35, 1, v37
	v_cmp_le_u32_e32 vcc_lo, s14, v4
	s_delay_alu instid0(VALU_DEP_2) | instskip(SKIP_1) | instid1(VALU_DEP_1)
	v_dual_cndmask_b32 v35, v37, v35, vcc_lo :: v_dual_ashrrev_i32 v37, 31, v34
	v_subrev_nc_u32_e32 v36, s14, v4
	v_dual_cndmask_b32 v4, v4, v36, vcc_lo :: v_dual_add_nc_u32 v36, 1, v35
	s_delay_alu instid0(VALU_DEP_1) | instskip(NEXT) | instid1(VALU_DEP_2)
	v_cmp_le_u32_e32 vcc_lo, s14, v4
	v_dual_cndmask_b32 v4, v35, v36, vcc_lo :: v_dual_bitop2_b32 v37, s15, v37 bitop3:0x14
	s_delay_alu instid0(VALU_DEP_1) | instskip(NEXT) | instid1(VALU_DEP_1)
	v_xor_b32_e32 v4, v4, v37
	v_dual_mov_b32 v4, v19 :: v_dual_sub_nc_u32 v35, v4, v37
	s_delay_alu instid0(VALU_DEP_1) | instskip(SKIP_3) | instid1(SALU_CYCLE_1)
	v_cmp_ne_u32_e64 s0, v35, v33
	v_cmp_eq_u32_e32 vcc_lo, v35, v33
	s_wait_xcnt 0x0
	s_and_saveexec_b32 s23, s0
	s_xor_b32 s0, exec_lo, s23
; %bb.14:                               ;   in Loop: Header=BB48_13 Depth=2
	v_min_i32_e32 v32, v35, v32
                                        ; implicit-def: $vgpr34
                                        ; implicit-def: $vgpr4
; %bb.15:                               ;   in Loop: Header=BB48_13 Depth=2
	s_or_saveexec_b32 s0, s0
	v_mov_b32_e32 v19, v3
	s_xor_b32 exec_lo, exec_lo, s0
	s_cbranch_execz .LBB48_12
; %bb.16:                               ;   in Loop: Header=BB48_13 Depth=2
	global_load_b32 v35, v[16:17], off
	v_sub_nc_u32_e32 v19, v34, v18
	s_delay_alu instid0(VALU_DEP_1)
	v_lshl_add_u32 v34, v19, 2, v22
	v_mov_b32_e32 v19, v4
	ds_store_b8 v20, v31 offset:2048
	s_wait_loadcnt 0x0
	ds_store_b32 v34, v35
	s_branch .LBB48_12
.LBB48_17:                              ;   in Loop: Header=BB48_10 Depth=1
	s_or_b32 exec_lo, exec_lo, s22
.LBB48_18:                              ;   in Loop: Header=BB48_10 Depth=1
	s_delay_alu instid0(SALU_CYCLE_1)
	s_or_b32 exec_lo, exec_lo, s21
	ds_bpermute_b32 v3, v23, v19
	s_wait_dscnt 0x0
	ds_load_u8 v4, v20 offset:2048
	v_min_i32_e32 v3, v3, v19
	ds_bpermute_b32 v10, v24, v3
	s_wait_dscnt 0x1
	v_and_b32_e32 v3, 1, v4
	s_delay_alu instid0(VALU_DEP_1)
	v_cmp_eq_u32_e32 vcc_lo, 1, v3
	v_mov_b32_e32 v3, 0
	s_and_saveexec_b32 s0, vcc_lo
	s_cbranch_execz .LBB48_9
; %bb.19:                               ;   in Loop: Header=BB48_10 Depth=1
	v_ashrrev_i32_e32 v3, 31, v2
	s_delay_alu instid0(VALU_DEP_1) | instskip(SKIP_3) | instid1(VALU_DEP_1)
	v_mul_u64_e32 v[16:17], s[16:17], v[2:3]
	v_add_nc_u32_e32 v3, s19, v33
	global_store_b32 v2, v3, s[2:3] scale_offset
	v_lshlrev_b64_e32 v[16:17], 2, v[16:17]
	v_add_nc_u64_e32 v[18:19], v[6:7], v[16:17]
	v_add_nc_u64_e32 v[16:17], v[8:9], v[16:17]
	s_wait_xcnt 0x0
	s_and_saveexec_b32 s21, s6
	s_cbranch_execz .LBB48_23
; %bb.20:                               ;   in Loop: Header=BB48_10 Depth=1
	ds_load_b32 v3, v25
	s_and_b32 vcc_lo, exec_lo, s4
	s_cbranch_vccz .LBB48_26
; %bb.21:                               ;   in Loop: Header=BB48_10 Depth=1
	v_lshl_add_u64 v[34:35], v[12:13], 2, v[18:19]
	s_wait_dscnt 0x0
	global_store_b32 v[34:35], v3, off
	s_cbranch_execnz .LBB48_23
.LBB48_22:                              ;   in Loop: Header=BB48_10 Depth=1
	s_wait_dscnt 0x0
	global_store_b32 v[16:17], v3, off
.LBB48_23:                              ;   in Loop: Header=BB48_10 Depth=1
	s_wait_xcnt 0x0
	s_or_b32 exec_lo, exec_lo, s21
	s_and_saveexec_b32 s21, s1
	s_cbranch_execz .LBB48_8
; %bb.24:                               ;   in Loop: Header=BB48_10 Depth=1
	s_and_not1_b32 vcc_lo, exec_lo, s4
	s_cbranch_vccnz .LBB48_27
; %bb.25:                               ;   in Loop: Header=BB48_10 Depth=1
	s_wait_dscnt 0x0
	ds_load_b32 v3, v25 offset:8
	v_lshl_add_u64 v[18:19], v[14:15], 2, v[18:19]
	s_wait_dscnt 0x0
	global_store_b32 v[18:19], v3, off
	s_cbranch_execnz .LBB48_8
	s_branch .LBB48_28
.LBB48_26:                              ;   in Loop: Header=BB48_10 Depth=1
	s_branch .LBB48_22
.LBB48_27:                              ;   in Loop: Header=BB48_10 Depth=1
.LBB48_28:                              ;   in Loop: Header=BB48_10 Depth=1
	s_wait_dscnt 0x0
	s_wait_xcnt 0x0
	ds_load_b32 v3, v25 offset:8
	s_wait_dscnt 0x0
	global_store_b32 v[16:17], v3, off offset:8
	s_branch .LBB48_8
.LBB48_29:
	s_endpgm
	.section	.rodata,"a",@progbits
	.p2align	6, 0x0
	.amdhsa_kernel _ZN9rocsparseL44csr2gebsr_wavefront_per_row_multipass_kernelILi256ELi16ELi4ELi32EfEEv20rocsparse_direction_iiiiii21rocsparse_index_base_PKT3_PKiS7_S2_PS3_PiS9_
		.amdhsa_group_segment_fixed_size 2056
		.amdhsa_private_segment_fixed_size 0
		.amdhsa_kernarg_size 88
		.amdhsa_user_sgpr_count 2
		.amdhsa_user_sgpr_dispatch_ptr 0
		.amdhsa_user_sgpr_queue_ptr 0
		.amdhsa_user_sgpr_kernarg_segment_ptr 1
		.amdhsa_user_sgpr_dispatch_id 0
		.amdhsa_user_sgpr_kernarg_preload_length 0
		.amdhsa_user_sgpr_kernarg_preload_offset 0
		.amdhsa_user_sgpr_private_segment_size 0
		.amdhsa_wavefront_size32 1
		.amdhsa_uses_dynamic_stack 0
		.amdhsa_enable_private_segment 0
		.amdhsa_system_sgpr_workgroup_id_x 1
		.amdhsa_system_sgpr_workgroup_id_y 0
		.amdhsa_system_sgpr_workgroup_id_z 0
		.amdhsa_system_sgpr_workgroup_info 0
		.amdhsa_system_vgpr_workitem_id 0
		.amdhsa_next_free_vgpr 38
		.amdhsa_next_free_sgpr 24
		.amdhsa_named_barrier_count 0
		.amdhsa_reserve_vcc 1
		.amdhsa_float_round_mode_32 0
		.amdhsa_float_round_mode_16_64 0
		.amdhsa_float_denorm_mode_32 3
		.amdhsa_float_denorm_mode_16_64 3
		.amdhsa_fp16_overflow 0
		.amdhsa_memory_ordered 1
		.amdhsa_forward_progress 1
		.amdhsa_inst_pref_size 13
		.amdhsa_round_robin_scheduling 0
		.amdhsa_exception_fp_ieee_invalid_op 0
		.amdhsa_exception_fp_denorm_src 0
		.amdhsa_exception_fp_ieee_div_zero 0
		.amdhsa_exception_fp_ieee_overflow 0
		.amdhsa_exception_fp_ieee_underflow 0
		.amdhsa_exception_fp_ieee_inexact 0
		.amdhsa_exception_int_div_zero 0
	.end_amdhsa_kernel
	.section	.text._ZN9rocsparseL44csr2gebsr_wavefront_per_row_multipass_kernelILi256ELi16ELi4ELi32EfEEv20rocsparse_direction_iiiiii21rocsparse_index_base_PKT3_PKiS7_S2_PS3_PiS9_,"axG",@progbits,_ZN9rocsparseL44csr2gebsr_wavefront_per_row_multipass_kernelILi256ELi16ELi4ELi32EfEEv20rocsparse_direction_iiiiii21rocsparse_index_base_PKT3_PKiS7_S2_PS3_PiS9_,comdat
.Lfunc_end48:
	.size	_ZN9rocsparseL44csr2gebsr_wavefront_per_row_multipass_kernelILi256ELi16ELi4ELi32EfEEv20rocsparse_direction_iiiiii21rocsparse_index_base_PKT3_PKiS7_S2_PS3_PiS9_, .Lfunc_end48-_ZN9rocsparseL44csr2gebsr_wavefront_per_row_multipass_kernelILi256ELi16ELi4ELi32EfEEv20rocsparse_direction_iiiiii21rocsparse_index_base_PKT3_PKiS7_S2_PS3_PiS9_
                                        ; -- End function
	.set _ZN9rocsparseL44csr2gebsr_wavefront_per_row_multipass_kernelILi256ELi16ELi4ELi32EfEEv20rocsparse_direction_iiiiii21rocsparse_index_base_PKT3_PKiS7_S2_PS3_PiS9_.num_vgpr, 38
	.set _ZN9rocsparseL44csr2gebsr_wavefront_per_row_multipass_kernelILi256ELi16ELi4ELi32EfEEv20rocsparse_direction_iiiiii21rocsparse_index_base_PKT3_PKiS7_S2_PS3_PiS9_.num_agpr, 0
	.set _ZN9rocsparseL44csr2gebsr_wavefront_per_row_multipass_kernelILi256ELi16ELi4ELi32EfEEv20rocsparse_direction_iiiiii21rocsparse_index_base_PKT3_PKiS7_S2_PS3_PiS9_.numbered_sgpr, 24
	.set _ZN9rocsparseL44csr2gebsr_wavefront_per_row_multipass_kernelILi256ELi16ELi4ELi32EfEEv20rocsparse_direction_iiiiii21rocsparse_index_base_PKT3_PKiS7_S2_PS3_PiS9_.num_named_barrier, 0
	.set _ZN9rocsparseL44csr2gebsr_wavefront_per_row_multipass_kernelILi256ELi16ELi4ELi32EfEEv20rocsparse_direction_iiiiii21rocsparse_index_base_PKT3_PKiS7_S2_PS3_PiS9_.private_seg_size, 0
	.set _ZN9rocsparseL44csr2gebsr_wavefront_per_row_multipass_kernelILi256ELi16ELi4ELi32EfEEv20rocsparse_direction_iiiiii21rocsparse_index_base_PKT3_PKiS7_S2_PS3_PiS9_.uses_vcc, 1
	.set _ZN9rocsparseL44csr2gebsr_wavefront_per_row_multipass_kernelILi256ELi16ELi4ELi32EfEEv20rocsparse_direction_iiiiii21rocsparse_index_base_PKT3_PKiS7_S2_PS3_PiS9_.uses_flat_scratch, 0
	.set _ZN9rocsparseL44csr2gebsr_wavefront_per_row_multipass_kernelILi256ELi16ELi4ELi32EfEEv20rocsparse_direction_iiiiii21rocsparse_index_base_PKT3_PKiS7_S2_PS3_PiS9_.has_dyn_sized_stack, 0
	.set _ZN9rocsparseL44csr2gebsr_wavefront_per_row_multipass_kernelILi256ELi16ELi4ELi32EfEEv20rocsparse_direction_iiiiii21rocsparse_index_base_PKT3_PKiS7_S2_PS3_PiS9_.has_recursion, 0
	.set _ZN9rocsparseL44csr2gebsr_wavefront_per_row_multipass_kernelILi256ELi16ELi4ELi32EfEEv20rocsparse_direction_iiiiii21rocsparse_index_base_PKT3_PKiS7_S2_PS3_PiS9_.has_indirect_call, 0
	.section	.AMDGPU.csdata,"",@progbits
; Kernel info:
; codeLenInByte = 1556
; TotalNumSgprs: 26
; NumVgprs: 38
; ScratchSize: 0
; MemoryBound: 0
; FloatMode: 240
; IeeeMode: 1
; LDSByteSize: 2056 bytes/workgroup (compile time only)
; SGPRBlocks: 0
; VGPRBlocks: 2
; NumSGPRsForWavesPerEU: 26
; NumVGPRsForWavesPerEU: 38
; NamedBarCnt: 0
; Occupancy: 16
; WaveLimiterHint : 0
; COMPUTE_PGM_RSRC2:SCRATCH_EN: 0
; COMPUTE_PGM_RSRC2:USER_SGPR: 2
; COMPUTE_PGM_RSRC2:TRAP_HANDLER: 0
; COMPUTE_PGM_RSRC2:TGID_X_EN: 1
; COMPUTE_PGM_RSRC2:TGID_Y_EN: 0
; COMPUTE_PGM_RSRC2:TGID_Z_EN: 0
; COMPUTE_PGM_RSRC2:TIDIG_COMP_CNT: 0
	.section	.text._ZN9rocsparseL44csr2gebsr_wavefront_per_row_multipass_kernelILi256ELi16ELi8ELi64EfEEv20rocsparse_direction_iiiiii21rocsparse_index_base_PKT3_PKiS7_S2_PS3_PiS9_,"axG",@progbits,_ZN9rocsparseL44csr2gebsr_wavefront_per_row_multipass_kernelILi256ELi16ELi8ELi64EfEEv20rocsparse_direction_iiiiii21rocsparse_index_base_PKT3_PKiS7_S2_PS3_PiS9_,comdat
	.globl	_ZN9rocsparseL44csr2gebsr_wavefront_per_row_multipass_kernelILi256ELi16ELi8ELi64EfEEv20rocsparse_direction_iiiiii21rocsparse_index_base_PKT3_PKiS7_S2_PS3_PiS9_ ; -- Begin function _ZN9rocsparseL44csr2gebsr_wavefront_per_row_multipass_kernelILi256ELi16ELi8ELi64EfEEv20rocsparse_direction_iiiiii21rocsparse_index_base_PKT3_PKiS7_S2_PS3_PiS9_
	.p2align	8
	.type	_ZN9rocsparseL44csr2gebsr_wavefront_per_row_multipass_kernelILi256ELi16ELi8ELi64EfEEv20rocsparse_direction_iiiiii21rocsparse_index_base_PKT3_PKiS7_S2_PS3_PiS9_,@function
_ZN9rocsparseL44csr2gebsr_wavefront_per_row_multipass_kernelILi256ELi16ELi8ELi64EfEEv20rocsparse_direction_iiiiii21rocsparse_index_base_PKT3_PKiS7_S2_PS3_PiS9_: ; @_ZN9rocsparseL44csr2gebsr_wavefront_per_row_multipass_kernelILi256ELi16ELi8ELi64EfEEv20rocsparse_direction_iiiiii21rocsparse_index_base_PKT3_PKiS7_S2_PS3_PiS9_
; %bb.0:
	s_clause 0x1
	s_load_b128 s[4:7], s[0:1], 0xc
	s_load_b64 s[12:13], s[0:1], 0x0
	s_bfe_u32 s2, ttmp6, 0x4000c
	s_and_b32 s3, ttmp6, 15
	s_add_co_i32 s2, s2, 1
	s_getreg_b32 s8, hwreg(HW_REG_IB_STS2, 6, 4)
	s_mul_i32 s2, ttmp9, s2
	v_dual_lshrrev_b32 v20, 6, v0 :: v_dual_mov_b32 v2, 0
	s_add_co_i32 s3, s3, s2
	s_cmp_eq_u32 s8, 0
	v_bfe_u32 v1, v0, 2, 4
	s_cselect_b32 s2, ttmp9, s3
	s_clause 0x1
	s_load_b32 s18, s[0:1], 0x1c
	s_load_b64 s[8:9], s[0:1], 0x28
	v_lshl_or_b32 v3, s2, 2, v20
	v_mov_b32_e32 v10, 0
	s_wait_kmcnt 0x0
	s_delay_alu instid0(VALU_DEP_2) | instskip(SKIP_1) | instid1(VALU_DEP_2)
	v_mad_u32 v4, v3, s6, v1
	v_cmp_gt_i32_e32 vcc_lo, s6, v1
	v_cmp_gt_i32_e64 s2, s13, v4
	s_and_b32 s2, vcc_lo, s2
	s_delay_alu instid0(SALU_CYCLE_1)
	s_and_saveexec_b32 s3, s2
	s_cbranch_execz .LBB49_2
; %bb.1:
	global_load_b32 v5, v4, s[8:9] scale_offset
	s_wait_loadcnt 0x0
	v_subrev_nc_u32_e32 v10, s18, v5
.LBB49_2:
	s_or_b32 exec_lo, exec_lo, s3
	v_mov_b32_e32 v21, 0
	s_and_saveexec_b32 s3, s2
	s_cbranch_execz .LBB49_4
; %bb.3:
	global_load_b32 v4, v4, s[8:9] offset:4 scale_offset
	s_wait_loadcnt 0x0
	v_subrev_nc_u32_e32 v21, s18, v4
.LBB49_4:
	s_or_b32 exec_lo, exec_lo, s3
	s_load_b32 s19, s[0:1], 0x38
	s_mov_b32 s3, exec_lo
	v_cmpx_gt_i32_e64 s4, v3
	s_cbranch_execz .LBB49_6
; %bb.5:
	s_load_b64 s[8:9], s[0:1], 0x48
	s_wait_kmcnt 0x0
	global_load_b32 v2, v3, s[8:9] scale_offset
	s_wait_loadcnt 0x0
	v_subrev_nc_u32_e32 v2, s19, v2
.LBB49_6:
	s_or_b32 exec_lo, exec_lo, s3
	s_cmp_lt_i32 s5, 1
	s_cbranch_scc1 .LBB49_29
; %bb.7:
	v_mbcnt_lo_u32_b32 v3, -1, 0
	v_lshlrev_b32_e32 v4, 5, v1
	s_clause 0x3
	s_load_b64 s[2:3], s[0:1], 0x50
	s_load_b64 s[20:21], s[0:1], 0x40
	;; [unrolled: 1-line block ×4, first 2 shown]
	s_cmp_lg_u32 s12, 0
	s_mov_b32 s13, 0
	v_xor_b32_e32 v5, 2, v3
	v_lshl_or_b32 v22, v20, 9, v4
	v_or_b32_e32 v11, 32, v3
	s_cselect_b32 s4, -1, 0
	s_mov_b32 s12, s6
	s_wait_xcnt 0x0
	v_cmp_gt_i32_e64 s0, 32, v5
	v_xor_b32_e32 v6, 1, v3
	s_ashr_i32 s15, s7, 31
	s_mov_b32 s14, s7
	v_lshl_or_b32 v25, v3, 2, 12
	v_cndmask_b32_e64 v4, v3, v5, s0
	v_cmp_gt_i32_e64 s0, 32, v6
	v_and_b32_e32 v0, 3, v0
	s_mul_u64 s[16:17], s[14:15], s[12:13]
	s_abs_i32 s14, s7
	v_bfrev_b32_e32 v31, 0.5
	v_cndmask_b32_e64 v5, v3, v6, s0
	v_mul_lo_u32 v6, s7, v1
	v_lshlrev_b32_e32 v8, 2, v0
	v_dual_lshlrev_b32 v23, 2, v4 :: v_dual_lshlrev_b32 v4, 2, v1
	s_delay_alu instid0(VALU_DEP_4)
	v_lshlrev_b32_e32 v24, 2, v5
	v_cmp_gt_i32_e64 s0, 32, v11
	s_cvt_f32_u32 s1, s14
	v_dual_mov_b32 v32, 1 :: v_dual_mov_b32 v34, 0
	v_dual_mov_b32 v5, 0 :: v_dual_cndmask_b32 v11, v3, v11, s0
	v_dual_ashrrev_i32 v7, 31, v6 :: v_dual_bitop2_b32 v26, v22, v8 bitop3:0x54
	s_delay_alu instid0(VALU_DEP_2) | instskip(NEXT) | instid1(VALU_DEP_3)
	v_dual_mov_b32 v9, v5 :: v_dual_mov_b32 v1, v5
	v_lshlrev_b32_e32 v27, 2, v11
	s_wait_kmcnt 0x0
	s_delay_alu instid0(VALU_DEP_3) | instskip(SKIP_2) | instid1(VALU_DEP_3)
	v_lshl_add_u64 v[12:13], v[6:7], 2, s[20:21]
	v_add_nc_u64_e32 v[6:7], s[20:21], v[4:5]
	v_mov_b32_e32 v15, v5
	v_add_nc_u64_e32 v[8:9], v[12:13], v[8:9]
	v_xor_b32_e32 v12, 4, v3
	v_xor_b32_e32 v4, 16, v3
	v_rcp_iflag_f32_e32 v13, s1
	s_delay_alu instid0(VALU_DEP_1) | instskip(NEXT) | instid1(VALU_DEP_1)
	v_cmp_gt_i32_e64 s0, 32, v4
	v_dual_cndmask_b32 v4, v3, v4, s0 :: v_dual_bitop2_b32 v11, 8, v3 bitop3:0x14
	s_delay_alu instid0(VALU_DEP_1) | instskip(NEXT) | instid1(VALU_DEP_1)
	v_cmp_gt_i32_e64 s0, 32, v11
	v_dual_lshlrev_b32 v28, 2, v4 :: v_dual_cndmask_b32 v11, v3, v11, s0
	v_cmp_gt_i32_e64 s0, 32, v12
	s_delay_alu instid0(VALU_DEP_1) | instskip(SKIP_2) | instid1(VALU_DEP_3)
	v_cndmask_b32_e64 v3, v3, v12, s0
	v_mul_lo_u32 v12, v0, s6
	v_readfirstlane_b32 s0, v13
	v_dual_mov_b32 v13, v5 :: v_dual_lshlrev_b32 v30, 2, v3
	v_or_b32_e32 v3, 4, v0
	s_mul_f32 s12, s0, 0x4f7ffffe
	v_cmp_gt_u32_e64 s0, s7, v0
	v_lshlrev_b32_e32 v29, 2, v11
	s_delay_alu instid0(SALU_CYCLE_1)
	s_cvt_u32_f32 s12, s12
	v_lshl_add_u32 v14, s6, 2, v12
	s_sub_co_i32 s6, 0, s14
	v_cmp_gt_u32_e64 s1, s7, v3
	s_mul_i32 s20, s6, s12
	s_and_b32 s6, s0, vcc_lo
	s_mul_hi_u32 s0, s12, s20
	s_mov_b32 s20, s13
	s_and_b32 s1, vcc_lo, s1
	s_add_co_i32 s12, s12, s0
	s_branch .LBB49_10
.LBB49_8:                               ;   in Loop: Header=BB49_10 Depth=1
	s_wait_xcnt 0x0
	s_or_b32 exec_lo, exec_lo, s21
	s_wait_dscnt 0x0
	v_mov_b32_e32 v3, 1
.LBB49_9:                               ;   in Loop: Header=BB49_10 Depth=1
	s_or_b32 exec_lo, exec_lo, s0
	ds_bpermute_b32 v4, v27, v33
	s_wait_storecnt_dscnt 0x0
	v_dual_add_nc_u32 v2, v3, v2 :: v_dual_min_i32 v4, v4, v33
	ds_bpermute_b32 v11, v28, v4
	s_wait_dscnt 0x0
	v_min_i32_e32 v4, v11, v4
	ds_bpermute_b32 v11, v29, v4
	s_wait_dscnt 0x0
	v_min_i32_e32 v4, v11, v4
	;; [unrolled: 3-line block ×5, first 2 shown]
	ds_bpermute_b32 v34, v31, v4
	s_wait_dscnt 0x0
	v_cmp_le_i32_e32 vcc_lo, s5, v34
	s_or_b32 s20, vcc_lo, s20
	s_delay_alu instid0(SALU_CYCLE_1)
	s_and_not1_b32 exec_lo, exec_lo, s20
	s_cbranch_execz .LBB49_29
.LBB49_10:                              ; =>This Loop Header: Depth=1
                                        ;     Child Loop BB49_13 Depth 2
	v_dual_add_nc_u32 v3, v10, v0 :: v_dual_mov_b32 v33, s5
	v_mov_b32_e32 v19, v21
	s_mov_b32 s21, exec_lo
	ds_store_b8 v20, v5 offset:2048
	ds_store_2addr_b32 v26, v5, v5 offset1:4
	s_wait_dscnt 0x0
	v_cmpx_lt_i32_e64 v3, v21
	s_cbranch_execz .LBB49_18
; %bb.11:                               ;   in Loop: Header=BB49_10 Depth=1
	v_dual_ashrrev_i32 v11, 31, v10 :: v_dual_mov_b32 v33, s5
	v_mul_lo_u32 v18, v34, s7
	v_mov_b32_e32 v19, v21
	s_mov_b32 s22, 0
	s_delay_alu instid0(VALU_DEP_3) | instskip(NEXT) | instid1(VALU_DEP_1)
	v_add_nc_u64_e32 v[10:11], v[0:1], v[10:11]
	v_lshlrev_b64_e32 v[16:17], 2, v[10:11]
	s_delay_alu instid0(VALU_DEP_1)
	v_add_nc_u64_e32 v[10:11], s[10:11], v[16:17]
	v_add_nc_u64_e32 v[16:17], s[8:9], v[16:17]
	s_branch .LBB49_13
.LBB49_12:                              ;   in Loop: Header=BB49_13 Depth=2
	s_wait_xcnt 0x0
	s_or_b32 exec_lo, exec_lo, s0
	v_add_nc_u32_e32 v3, 4, v3
	s_xor_b32 s23, vcc_lo, -1
	v_add_nc_u64_e32 v[10:11], 16, v[10:11]
	v_add_nc_u64_e32 v[16:17], 16, v[16:17]
	s_delay_alu instid0(VALU_DEP_3) | instskip(SKIP_1) | instid1(SALU_CYCLE_1)
	v_cmp_ge_i32_e64 s0, v3, v21
	s_or_b32 s0, s23, s0
	s_and_b32 s0, exec_lo, s0
	s_delay_alu instid0(SALU_CYCLE_1) | instskip(NEXT) | instid1(SALU_CYCLE_1)
	s_or_b32 s22, s0, s22
	s_and_not1_b32 exec_lo, exec_lo, s22
	s_cbranch_execz .LBB49_17
.LBB49_13:                              ;   Parent Loop BB49_10 Depth=1
                                        ; =>  This Inner Loop Header: Depth=2
	global_load_b32 v4, v[10:11], off
	s_wait_loadcnt 0x0
	v_subrev_nc_u32_e32 v35, s18, v4
	s_delay_alu instid0(VALU_DEP_1) | instskip(NEXT) | instid1(VALU_DEP_1)
	v_sub_nc_u32_e32 v4, 0, v35
	v_max_i32_e32 v4, v35, v4
	s_delay_alu instid0(VALU_DEP_1) | instskip(NEXT) | instid1(VALU_DEP_1)
	v_mul_u64_e32 v[36:37], s[12:13], v[4:5]
	v_mul_lo_u32 v36, v37, s14
	s_delay_alu instid0(VALU_DEP_1) | instskip(NEXT) | instid1(VALU_DEP_1)
	v_dual_sub_nc_u32 v4, v4, v36 :: v_dual_add_nc_u32 v36, 1, v37
	v_cmp_le_u32_e32 vcc_lo, s14, v4
	s_delay_alu instid0(VALU_DEP_2) | instskip(SKIP_1) | instid1(VALU_DEP_1)
	v_cndmask_b32_e32 v36, v37, v36, vcc_lo
	v_subrev_nc_u32_e32 v38, s14, v4
	v_dual_cndmask_b32 v4, v4, v38 :: v_dual_ashrrev_i32 v37, 31, v35
	s_delay_alu instid0(VALU_DEP_3) | instskip(NEXT) | instid1(VALU_DEP_2)
	v_add_nc_u32_e32 v38, 1, v36
	v_cmp_le_u32_e32 vcc_lo, s14, v4
	s_delay_alu instid0(VALU_DEP_2) | instskip(NEXT) | instid1(VALU_DEP_1)
	v_dual_cndmask_b32 v4, v36, v38, vcc_lo :: v_dual_bitop2_b32 v37, s15, v37 bitop3:0x14
	v_xor_b32_e32 v4, v4, v37
	s_delay_alu instid0(VALU_DEP_1) | instskip(NEXT) | instid1(VALU_DEP_1)
	v_dual_sub_nc_u32 v36, v4, v37 :: v_dual_mov_b32 v4, v19
	v_cmp_ne_u32_e64 s0, v36, v34
	v_cmp_eq_u32_e32 vcc_lo, v36, v34
	s_wait_xcnt 0x0
	s_and_saveexec_b32 s23, s0
	s_delay_alu instid0(SALU_CYCLE_1)
	s_xor_b32 s0, exec_lo, s23
; %bb.14:                               ;   in Loop: Header=BB49_13 Depth=2
	v_min_i32_e32 v33, v36, v33
                                        ; implicit-def: $vgpr35
                                        ; implicit-def: $vgpr4
; %bb.15:                               ;   in Loop: Header=BB49_13 Depth=2
	s_or_saveexec_b32 s0, s0
	v_mov_b32_e32 v19, v3
	s_xor_b32 exec_lo, exec_lo, s0
	s_cbranch_execz .LBB49_12
; %bb.16:                               ;   in Loop: Header=BB49_13 Depth=2
	global_load_b32 v36, v[16:17], off
	v_sub_nc_u32_e32 v19, v35, v18
	s_delay_alu instid0(VALU_DEP_1)
	v_lshl_add_u32 v35, v19, 2, v22
	v_mov_b32_e32 v19, v4
	ds_store_b8 v20, v32 offset:2048
	s_wait_loadcnt 0x0
	ds_store_b32 v35, v36
	s_branch .LBB49_12
.LBB49_17:                              ;   in Loop: Header=BB49_10 Depth=1
	s_or_b32 exec_lo, exec_lo, s22
.LBB49_18:                              ;   in Loop: Header=BB49_10 Depth=1
	s_delay_alu instid0(SALU_CYCLE_1)
	s_or_b32 exec_lo, exec_lo, s21
	ds_bpermute_b32 v3, v23, v19
	s_wait_dscnt 0x0
	ds_load_u8 v11, v20 offset:2048
	v_min_i32_e32 v3, v3, v19
	ds_bpermute_b32 v4, v24, v3
	s_wait_dscnt 0x0
	v_min_i32_e32 v3, v4, v3
	ds_bpermute_b32 v10, v25, v3
	v_and_b32_e32 v3, 1, v11
	s_delay_alu instid0(VALU_DEP_1)
	v_cmp_eq_u32_e32 vcc_lo, 1, v3
	v_mov_b32_e32 v3, 0
	s_and_saveexec_b32 s0, vcc_lo
	s_cbranch_execz .LBB49_9
; %bb.19:                               ;   in Loop: Header=BB49_10 Depth=1
	v_ashrrev_i32_e32 v3, 31, v2
	s_delay_alu instid0(VALU_DEP_1) | instskip(SKIP_3) | instid1(VALU_DEP_1)
	v_mul_u64_e32 v[16:17], s[16:17], v[2:3]
	v_add_nc_u32_e32 v3, s19, v34
	global_store_b32 v2, v3, s[2:3] scale_offset
	v_lshlrev_b64_e32 v[16:17], 2, v[16:17]
	v_add_nc_u64_e32 v[18:19], v[6:7], v[16:17]
	v_add_nc_u64_e32 v[16:17], v[8:9], v[16:17]
	s_wait_xcnt 0x0
	s_and_saveexec_b32 s21, s6
	s_cbranch_execz .LBB49_23
; %bb.20:                               ;   in Loop: Header=BB49_10 Depth=1
	ds_load_b32 v3, v26
	s_and_b32 vcc_lo, exec_lo, s4
	s_cbranch_vccz .LBB49_26
; %bb.21:                               ;   in Loop: Header=BB49_10 Depth=1
	v_lshl_add_u64 v[34:35], v[12:13], 2, v[18:19]
	s_wait_dscnt 0x0
	global_store_b32 v[34:35], v3, off
	s_cbranch_execnz .LBB49_23
.LBB49_22:                              ;   in Loop: Header=BB49_10 Depth=1
	s_wait_dscnt 0x0
	global_store_b32 v[16:17], v3, off
.LBB49_23:                              ;   in Loop: Header=BB49_10 Depth=1
	s_wait_xcnt 0x0
	s_or_b32 exec_lo, exec_lo, s21
	s_and_saveexec_b32 s21, s1
	s_cbranch_execz .LBB49_8
; %bb.24:                               ;   in Loop: Header=BB49_10 Depth=1
	s_and_not1_b32 vcc_lo, exec_lo, s4
	s_cbranch_vccnz .LBB49_27
; %bb.25:                               ;   in Loop: Header=BB49_10 Depth=1
	s_wait_dscnt 0x0
	ds_load_b32 v3, v26 offset:16
	v_lshl_add_u64 v[18:19], v[14:15], 2, v[18:19]
	s_wait_dscnt 0x0
	global_store_b32 v[18:19], v3, off
	s_cbranch_execnz .LBB49_8
	s_branch .LBB49_28
.LBB49_26:                              ;   in Loop: Header=BB49_10 Depth=1
	s_branch .LBB49_22
.LBB49_27:                              ;   in Loop: Header=BB49_10 Depth=1
.LBB49_28:                              ;   in Loop: Header=BB49_10 Depth=1
	s_wait_dscnt 0x0
	s_wait_xcnt 0x0
	ds_load_b32 v3, v26 offset:16
	s_wait_dscnt 0x0
	global_store_b32 v[16:17], v3, off offset:16
	s_branch .LBB49_8
.LBB49_29:
	s_endpgm
	.section	.rodata,"a",@progbits
	.p2align	6, 0x0
	.amdhsa_kernel _ZN9rocsparseL44csr2gebsr_wavefront_per_row_multipass_kernelILi256ELi16ELi8ELi64EfEEv20rocsparse_direction_iiiiii21rocsparse_index_base_PKT3_PKiS7_S2_PS3_PiS9_
		.amdhsa_group_segment_fixed_size 2052
		.amdhsa_private_segment_fixed_size 0
		.amdhsa_kernarg_size 88
		.amdhsa_user_sgpr_count 2
		.amdhsa_user_sgpr_dispatch_ptr 0
		.amdhsa_user_sgpr_queue_ptr 0
		.amdhsa_user_sgpr_kernarg_segment_ptr 1
		.amdhsa_user_sgpr_dispatch_id 0
		.amdhsa_user_sgpr_kernarg_preload_length 0
		.amdhsa_user_sgpr_kernarg_preload_offset 0
		.amdhsa_user_sgpr_private_segment_size 0
		.amdhsa_wavefront_size32 1
		.amdhsa_uses_dynamic_stack 0
		.amdhsa_enable_private_segment 0
		.amdhsa_system_sgpr_workgroup_id_x 1
		.amdhsa_system_sgpr_workgroup_id_y 0
		.amdhsa_system_sgpr_workgroup_id_z 0
		.amdhsa_system_sgpr_workgroup_info 0
		.amdhsa_system_vgpr_workitem_id 0
		.amdhsa_next_free_vgpr 39
		.amdhsa_next_free_sgpr 24
		.amdhsa_named_barrier_count 0
		.amdhsa_reserve_vcc 1
		.amdhsa_float_round_mode_32 0
		.amdhsa_float_round_mode_16_64 0
		.amdhsa_float_denorm_mode_32 3
		.amdhsa_float_denorm_mode_16_64 3
		.amdhsa_fp16_overflow 0
		.amdhsa_memory_ordered 1
		.amdhsa_forward_progress 1
		.amdhsa_inst_pref_size 13
		.amdhsa_round_robin_scheduling 0
		.amdhsa_exception_fp_ieee_invalid_op 0
		.amdhsa_exception_fp_denorm_src 0
		.amdhsa_exception_fp_ieee_div_zero 0
		.amdhsa_exception_fp_ieee_overflow 0
		.amdhsa_exception_fp_ieee_underflow 0
		.amdhsa_exception_fp_ieee_inexact 0
		.amdhsa_exception_int_div_zero 0
	.end_amdhsa_kernel
	.section	.text._ZN9rocsparseL44csr2gebsr_wavefront_per_row_multipass_kernelILi256ELi16ELi8ELi64EfEEv20rocsparse_direction_iiiiii21rocsparse_index_base_PKT3_PKiS7_S2_PS3_PiS9_,"axG",@progbits,_ZN9rocsparseL44csr2gebsr_wavefront_per_row_multipass_kernelILi256ELi16ELi8ELi64EfEEv20rocsparse_direction_iiiiii21rocsparse_index_base_PKT3_PKiS7_S2_PS3_PiS9_,comdat
.Lfunc_end49:
	.size	_ZN9rocsparseL44csr2gebsr_wavefront_per_row_multipass_kernelILi256ELi16ELi8ELi64EfEEv20rocsparse_direction_iiiiii21rocsparse_index_base_PKT3_PKiS7_S2_PS3_PiS9_, .Lfunc_end49-_ZN9rocsparseL44csr2gebsr_wavefront_per_row_multipass_kernelILi256ELi16ELi8ELi64EfEEv20rocsparse_direction_iiiiii21rocsparse_index_base_PKT3_PKiS7_S2_PS3_PiS9_
                                        ; -- End function
	.set _ZN9rocsparseL44csr2gebsr_wavefront_per_row_multipass_kernelILi256ELi16ELi8ELi64EfEEv20rocsparse_direction_iiiiii21rocsparse_index_base_PKT3_PKiS7_S2_PS3_PiS9_.num_vgpr, 39
	.set _ZN9rocsparseL44csr2gebsr_wavefront_per_row_multipass_kernelILi256ELi16ELi8ELi64EfEEv20rocsparse_direction_iiiiii21rocsparse_index_base_PKT3_PKiS7_S2_PS3_PiS9_.num_agpr, 0
	.set _ZN9rocsparseL44csr2gebsr_wavefront_per_row_multipass_kernelILi256ELi16ELi8ELi64EfEEv20rocsparse_direction_iiiiii21rocsparse_index_base_PKT3_PKiS7_S2_PS3_PiS9_.numbered_sgpr, 24
	.set _ZN9rocsparseL44csr2gebsr_wavefront_per_row_multipass_kernelILi256ELi16ELi8ELi64EfEEv20rocsparse_direction_iiiiii21rocsparse_index_base_PKT3_PKiS7_S2_PS3_PiS9_.num_named_barrier, 0
	.set _ZN9rocsparseL44csr2gebsr_wavefront_per_row_multipass_kernelILi256ELi16ELi8ELi64EfEEv20rocsparse_direction_iiiiii21rocsparse_index_base_PKT3_PKiS7_S2_PS3_PiS9_.private_seg_size, 0
	.set _ZN9rocsparseL44csr2gebsr_wavefront_per_row_multipass_kernelILi256ELi16ELi8ELi64EfEEv20rocsparse_direction_iiiiii21rocsparse_index_base_PKT3_PKiS7_S2_PS3_PiS9_.uses_vcc, 1
	.set _ZN9rocsparseL44csr2gebsr_wavefront_per_row_multipass_kernelILi256ELi16ELi8ELi64EfEEv20rocsparse_direction_iiiiii21rocsparse_index_base_PKT3_PKiS7_S2_PS3_PiS9_.uses_flat_scratch, 0
	.set _ZN9rocsparseL44csr2gebsr_wavefront_per_row_multipass_kernelILi256ELi16ELi8ELi64EfEEv20rocsparse_direction_iiiiii21rocsparse_index_base_PKT3_PKiS7_S2_PS3_PiS9_.has_dyn_sized_stack, 0
	.set _ZN9rocsparseL44csr2gebsr_wavefront_per_row_multipass_kernelILi256ELi16ELi8ELi64EfEEv20rocsparse_direction_iiiiii21rocsparse_index_base_PKT3_PKiS7_S2_PS3_PiS9_.has_recursion, 0
	.set _ZN9rocsparseL44csr2gebsr_wavefront_per_row_multipass_kernelILi256ELi16ELi8ELi64EfEEv20rocsparse_direction_iiiiii21rocsparse_index_base_PKT3_PKiS7_S2_PS3_PiS9_.has_indirect_call, 0
	.section	.AMDGPU.csdata,"",@progbits
; Kernel info:
; codeLenInByte = 1612
; TotalNumSgprs: 26
; NumVgprs: 39
; ScratchSize: 0
; MemoryBound: 0
; FloatMode: 240
; IeeeMode: 1
; LDSByteSize: 2052 bytes/workgroup (compile time only)
; SGPRBlocks: 0
; VGPRBlocks: 2
; NumSGPRsForWavesPerEU: 26
; NumVGPRsForWavesPerEU: 39
; NamedBarCnt: 0
; Occupancy: 16
; WaveLimiterHint : 0
; COMPUTE_PGM_RSRC2:SCRATCH_EN: 0
; COMPUTE_PGM_RSRC2:USER_SGPR: 2
; COMPUTE_PGM_RSRC2:TRAP_HANDLER: 0
; COMPUTE_PGM_RSRC2:TGID_X_EN: 1
; COMPUTE_PGM_RSRC2:TGID_Y_EN: 0
; COMPUTE_PGM_RSRC2:TGID_Z_EN: 0
; COMPUTE_PGM_RSRC2:TIDIG_COMP_CNT: 0
	.section	.text._ZN9rocsparseL44csr2gebsr_wavefront_per_row_multipass_kernelILi256ELi16ELi8ELi32EfEEv20rocsparse_direction_iiiiii21rocsparse_index_base_PKT3_PKiS7_S2_PS3_PiS9_,"axG",@progbits,_ZN9rocsparseL44csr2gebsr_wavefront_per_row_multipass_kernelILi256ELi16ELi8ELi32EfEEv20rocsparse_direction_iiiiii21rocsparse_index_base_PKT3_PKiS7_S2_PS3_PiS9_,comdat
	.globl	_ZN9rocsparseL44csr2gebsr_wavefront_per_row_multipass_kernelILi256ELi16ELi8ELi32EfEEv20rocsparse_direction_iiiiii21rocsparse_index_base_PKT3_PKiS7_S2_PS3_PiS9_ ; -- Begin function _ZN9rocsparseL44csr2gebsr_wavefront_per_row_multipass_kernelILi256ELi16ELi8ELi32EfEEv20rocsparse_direction_iiiiii21rocsparse_index_base_PKT3_PKiS7_S2_PS3_PiS9_
	.p2align	8
	.type	_ZN9rocsparseL44csr2gebsr_wavefront_per_row_multipass_kernelILi256ELi16ELi8ELi32EfEEv20rocsparse_direction_iiiiii21rocsparse_index_base_PKT3_PKiS7_S2_PS3_PiS9_,@function
_ZN9rocsparseL44csr2gebsr_wavefront_per_row_multipass_kernelILi256ELi16ELi8ELi32EfEEv20rocsparse_direction_iiiiii21rocsparse_index_base_PKT3_PKiS7_S2_PS3_PiS9_: ; @_ZN9rocsparseL44csr2gebsr_wavefront_per_row_multipass_kernelILi256ELi16ELi8ELi32EfEEv20rocsparse_direction_iiiiii21rocsparse_index_base_PKT3_PKiS7_S2_PS3_PiS9_
; %bb.0:
	s_clause 0x1
	s_load_b128 s[4:7], s[0:1], 0xc
	s_load_b64 s[14:15], s[0:1], 0x0
	s_bfe_u32 s2, ttmp6, 0x4000c
	s_and_b32 s3, ttmp6, 15
	s_add_co_i32 s2, s2, 1
	s_getreg_b32 s8, hwreg(HW_REG_IB_STS2, 6, 4)
	s_mul_i32 s2, ttmp9, s2
	v_dual_lshrrev_b32 v24, 5, v0 :: v_dual_mov_b32 v2, 0
	s_add_co_i32 s3, s3, s2
	s_cmp_eq_u32 s8, 0
	v_bfe_u32 v1, v0, 1, 4
	s_cselect_b32 s2, ttmp9, s3
	s_clause 0x1
	s_load_b32 s20, s[0:1], 0x1c
	s_load_b64 s[8:9], s[0:1], 0x28
	v_lshl_or_b32 v3, s2, 3, v24
	v_mov_b32_e32 v10, 0
	s_wait_kmcnt 0x0
	s_delay_alu instid0(VALU_DEP_2) | instskip(SKIP_1) | instid1(VALU_DEP_2)
	v_mad_u32 v4, v3, s6, v1
	v_cmp_gt_i32_e32 vcc_lo, s6, v1
	v_cmp_gt_i32_e64 s2, s15, v4
	s_and_b32 s2, vcc_lo, s2
	s_delay_alu instid0(SALU_CYCLE_1)
	s_and_saveexec_b32 s3, s2
	s_cbranch_execz .LBB50_2
; %bb.1:
	global_load_b32 v5, v4, s[8:9] scale_offset
	s_wait_loadcnt 0x0
	v_subrev_nc_u32_e32 v10, s20, v5
.LBB50_2:
	s_or_b32 exec_lo, exec_lo, s3
	v_mov_b32_e32 v25, 0
	s_and_saveexec_b32 s3, s2
	s_cbranch_execz .LBB50_4
; %bb.3:
	global_load_b32 v4, v4, s[8:9] offset:4 scale_offset
	s_wait_loadcnt 0x0
	v_subrev_nc_u32_e32 v25, s20, v4
.LBB50_4:
	s_or_b32 exec_lo, exec_lo, s3
	s_load_b32 s21, s[0:1], 0x38
	s_mov_b32 s3, exec_lo
	v_cmpx_gt_i32_e64 s4, v3
	s_cbranch_execz .LBB50_6
; %bb.5:
	s_load_b64 s[8:9], s[0:1], 0x48
	s_wait_kmcnt 0x0
	global_load_b32 v2, v3, s[8:9] scale_offset
	s_wait_loadcnt 0x0
	v_subrev_nc_u32_e32 v2, s21, v2
.LBB50_6:
	s_or_b32 exec_lo, exec_lo, s3
	s_cmp_lt_i32 s5, 1
	s_cbranch_scc1 .LBB50_39
; %bb.7:
	v_mbcnt_lo_u32_b32 v3, -1, 0
	s_clause 0x3
	s_load_b64 s[8:9], s[0:1], 0x50
	s_load_b64 s[2:3], s[0:1], 0x40
	s_load_b64 s[10:11], s[0:1], 0x20
	s_load_b64 s[12:13], s[0:1], 0x30
	v_mul_lo_u32 v6, s7, v1
	v_and_b32_e32 v0, 1, v0
	s_cmp_lg_u32 s14, 0
	v_dual_lshlrev_b32 v5, 5, v1 :: v_dual_bitop2_b32 v4, 1, v3 bitop3:0x14
	s_mov_b32 s15, 0
	s_cselect_b32 s4, -1, 0
	s_mov_b32 s14, s6
	s_wait_xcnt 0x0
	v_cmp_gt_i32_e64 s0, 32, v4
	v_lshl_or_b32 v26, v24, 9, v5
	s_ashr_i32 s17, s7, 31
	v_dual_ashrrev_i32 v7, 31, v6 :: v_dual_lshlrev_b32 v8, 2, v0
	v_dual_cndmask_b32 v4, v3, v4, s0 :: v_dual_mov_b32 v5, 0
	s_mov_b32 s16, s7
	v_lshl_or_b32 v28, v3, 2, 4
	s_wait_kmcnt 0x0
	v_lshl_add_u64 v[12:13], v[6:7], 2, s[2:3]
	v_dual_lshlrev_b32 v27, 2, v4 :: v_dual_mov_b32 v9, v5
	v_dual_lshlrev_b32 v4, 2, v1 :: v_dual_bitop2_b32 v29, v26, v8 bitop3:0x54
	v_mov_b32_e32 v1, v5
	s_mul_u64 s[18:19], s[16:17], s[14:15]
	s_delay_alu instid0(VALU_DEP_3) | instskip(NEXT) | instid1(VALU_DEP_3)
	v_add_nc_u64_e32 v[8:9], v[12:13], v[8:9]
	v_add_nc_u64_e32 v[6:7], s[2:3], v[4:5]
	v_xor_b32_e32 v12, 4, v3
	v_xor_b32_e32 v4, 16, v3
	s_abs_i32 s16, s7
	v_dual_mov_b32 v19, v5 :: v_dual_mov_b32 v35, 1
	s_cvt_f32_u32 s1, s16
	s_delay_alu instid0(VALU_DEP_2) | instskip(SKIP_4) | instid1(VALU_DEP_3)
	v_cmp_gt_i32_e64 s0, 32, v4
	v_dual_mov_b32 v37, 0 :: v_dual_bitop2_b32 v11, 8, v3 bitop3:0x14
	s_mov_b32 s22, s15
	v_mov_b32_e32 v34, 0x7c
	v_cndmask_b32_e64 v4, v3, v4, s0
	v_cmp_gt_i32_e64 s0, 32, v11
	s_delay_alu instid0(VALU_DEP_2) | instskip(NEXT) | instid1(VALU_DEP_2)
	v_dual_mov_b32 v15, v5 :: v_dual_lshlrev_b32 v30, 2, v4
	v_cndmask_b32_e64 v11, v3, v11, s0
	v_cmp_gt_i32_e64 s0, 32, v12
	v_rcp_iflag_f32_e32 v4, s1
	s_delay_alu instid0(VALU_DEP_1) | instskip(NEXT) | instid1(TRANS32_DEP_1)
	v_dual_cndmask_b32 v12, v3, v12, s0 :: v_dual_bitop2_b32 v13, 2, v3 bitop3:0x14
	v_readfirstlane_b32 s3, v4
	s_delay_alu instid0(VALU_DEP_2) | instskip(SKIP_1) | instid1(VALU_DEP_4)
	v_lshlrev_b32_e32 v32, 2, v12
	v_mul_lo_u32 v12, v0, s6
	v_cmp_gt_i32_e64 s0, 32, v13
	s_lshl_b32 s6, s6, 1
	s_mul_f32 s14, s3, 0x4f7ffffe
	v_dual_cndmask_b32 v3, v3, v13, s0 :: v_dual_mov_b32 v13, v5
	v_cmp_gt_u32_e64 s0, s7, v0
	s_delay_alu instid0(SALU_CYCLE_1) | instskip(SKIP_2) | instid1(VALU_DEP_2)
	s_cvt_u32_f32 s14, s14
	v_dual_lshlrev_b32 v31, 2, v11 :: v_dual_add_nc_u32 v14, s6, v12
	v_dual_lshlrev_b32 v33, 2, v3 :: v_dual_bitop2_b32 v3, 2, v0 bitop3:0x54
	v_dual_add_nc_u32 v16, s6, v14 :: v_dual_bitop2_b32 v4, 6, v0 bitop3:0x54
	v_mov_b32_e32 v17, v5
	s_delay_alu instid0(VALU_DEP_3) | instskip(SKIP_1) | instid1(VALU_DEP_4)
	v_cmp_gt_u32_e64 s1, s7, v3
	v_or_b32_e32 v3, 4, v0
	v_cmp_gt_u32_e64 s3, s7, v4
	v_add_nc_u32_e32 v18, s6, v16
	s_and_b32 s6, s0, vcc_lo
	s_sub_co_i32 s0, 0, s16
	v_cmp_gt_u32_e64 s2, s7, v3
	s_mul_i32 s0, s0, s14
	s_and_b32 s1, vcc_lo, s1
	s_mul_hi_u32 s0, s14, s0
	s_and_b32 s3, vcc_lo, s3
	s_and_b32 s2, vcc_lo, s2
	s_add_co_i32 s14, s14, s0
	s_branch .LBB50_10
.LBB50_8:                               ;   in Loop: Header=BB50_10 Depth=1
	s_wait_xcnt 0x0
	s_or_b32 exec_lo, exec_lo, s23
	s_wait_dscnt 0x0
	v_mov_b32_e32 v3, 1
.LBB50_9:                               ;   in Loop: Header=BB50_10 Depth=1
	s_or_b32 exec_lo, exec_lo, s0
	ds_bpermute_b32 v4, v30, v36
	s_wait_storecnt_dscnt 0x0
	v_dual_add_nc_u32 v2, v3, v2 :: v_dual_min_i32 v4, v4, v36
	ds_bpermute_b32 v11, v31, v4
	s_wait_dscnt 0x0
	v_min_i32_e32 v4, v11, v4
	ds_bpermute_b32 v11, v32, v4
	s_wait_dscnt 0x0
	v_min_i32_e32 v4, v11, v4
	;; [unrolled: 3-line block ×4, first 2 shown]
	ds_bpermute_b32 v37, v34, v4
	s_wait_dscnt 0x0
	v_cmp_le_i32_e32 vcc_lo, s5, v37
	s_or_b32 s22, vcc_lo, s22
	s_delay_alu instid0(SALU_CYCLE_1)
	s_and_not1_b32 exec_lo, exec_lo, s22
	s_cbranch_execz .LBB50_39
.LBB50_10:                              ; =>This Loop Header: Depth=1
                                        ;     Child Loop BB50_13 Depth 2
	v_dual_mov_b32 v36, s5 :: v_dual_add_nc_u32 v3, v10, v0
	v_mov_b32_e32 v23, v25
	s_mov_b32 s23, exec_lo
	ds_store_b8 v24, v5 offset:4096
	ds_store_2addr_b32 v29, v5, v5 offset1:2
	ds_store_2addr_b32 v29, v5, v5 offset0:4 offset1:6
	s_wait_dscnt 0x0
	v_cmpx_lt_i32_e64 v3, v25
	s_cbranch_execz .LBB50_18
; %bb.11:                               ;   in Loop: Header=BB50_10 Depth=1
	v_dual_mov_b32 v36, s5 :: v_dual_ashrrev_i32 v11, 31, v10
	v_mul_lo_u32 v22, v37, s7
	v_mov_b32_e32 v23, v25
	s_mov_b32 s24, 0
	s_delay_alu instid0(VALU_DEP_3) | instskip(NEXT) | instid1(VALU_DEP_1)
	v_add_nc_u64_e32 v[10:11], v[0:1], v[10:11]
	v_lshlrev_b64_e32 v[20:21], 2, v[10:11]
	s_delay_alu instid0(VALU_DEP_1)
	v_add_nc_u64_e32 v[10:11], s[12:13], v[20:21]
	v_add_nc_u64_e32 v[20:21], s[10:11], v[20:21]
	s_branch .LBB50_13
.LBB50_12:                              ;   in Loop: Header=BB50_13 Depth=2
	s_wait_xcnt 0x0
	s_or_b32 exec_lo, exec_lo, s0
	v_add_nc_u32_e32 v3, 2, v3
	s_xor_b32 s25, vcc_lo, -1
	v_add_nc_u64_e32 v[10:11], 8, v[10:11]
	v_add_nc_u64_e32 v[20:21], 8, v[20:21]
	s_delay_alu instid0(VALU_DEP_3) | instskip(SKIP_1) | instid1(SALU_CYCLE_1)
	v_cmp_ge_i32_e64 s0, v3, v25
	s_or_b32 s0, s25, s0
	s_and_b32 s0, exec_lo, s0
	s_delay_alu instid0(SALU_CYCLE_1) | instskip(NEXT) | instid1(SALU_CYCLE_1)
	s_or_b32 s24, s0, s24
	s_and_not1_b32 exec_lo, exec_lo, s24
	s_cbranch_execz .LBB50_17
.LBB50_13:                              ;   Parent Loop BB50_10 Depth=1
                                        ; =>  This Inner Loop Header: Depth=2
	global_load_b32 v4, v[10:11], off
	s_wait_loadcnt 0x0
	v_subrev_nc_u32_e32 v38, s20, v4
	s_delay_alu instid0(VALU_DEP_1) | instskip(NEXT) | instid1(VALU_DEP_1)
	v_sub_nc_u32_e32 v4, 0, v38
	v_max_i32_e32 v4, v38, v4
	s_delay_alu instid0(VALU_DEP_1) | instskip(NEXT) | instid1(VALU_DEP_1)
	v_mul_u64_e32 v[40:41], s[14:15], v[4:5]
	v_mul_lo_u32 v39, v41, s16
	s_delay_alu instid0(VALU_DEP_1) | instskip(NEXT) | instid1(VALU_DEP_1)
	v_dual_sub_nc_u32 v4, v4, v39 :: v_dual_add_nc_u32 v39, 1, v41
	v_cmp_le_u32_e32 vcc_lo, s16, v4
	s_delay_alu instid0(VALU_DEP_2) | instskip(SKIP_1) | instid1(VALU_DEP_1)
	v_dual_cndmask_b32 v39, v41, v39, vcc_lo :: v_dual_ashrrev_i32 v41, 31, v38
	v_subrev_nc_u32_e32 v40, s16, v4
	v_dual_cndmask_b32 v4, v4, v40, vcc_lo :: v_dual_add_nc_u32 v40, 1, v39
	s_delay_alu instid0(VALU_DEP_1) | instskip(NEXT) | instid1(VALU_DEP_2)
	v_cmp_le_u32_e32 vcc_lo, s16, v4
	v_dual_cndmask_b32 v4, v39, v40, vcc_lo :: v_dual_bitop2_b32 v41, s17, v41 bitop3:0x14
	s_delay_alu instid0(VALU_DEP_1) | instskip(NEXT) | instid1(VALU_DEP_1)
	v_xor_b32_e32 v4, v4, v41
	v_dual_mov_b32 v4, v23 :: v_dual_sub_nc_u32 v39, v4, v41
	s_delay_alu instid0(VALU_DEP_1) | instskip(SKIP_3) | instid1(SALU_CYCLE_1)
	v_cmp_ne_u32_e64 s0, v39, v37
	v_cmp_eq_u32_e32 vcc_lo, v39, v37
	s_wait_xcnt 0x0
	s_and_saveexec_b32 s25, s0
	s_xor_b32 s0, exec_lo, s25
; %bb.14:                               ;   in Loop: Header=BB50_13 Depth=2
	v_min_i32_e32 v36, v39, v36
                                        ; implicit-def: $vgpr38
                                        ; implicit-def: $vgpr4
; %bb.15:                               ;   in Loop: Header=BB50_13 Depth=2
	s_or_saveexec_b32 s0, s0
	v_mov_b32_e32 v23, v3
	s_xor_b32 exec_lo, exec_lo, s0
	s_cbranch_execz .LBB50_12
; %bb.16:                               ;   in Loop: Header=BB50_13 Depth=2
	global_load_b32 v39, v[20:21], off
	v_sub_nc_u32_e32 v23, v38, v22
	s_delay_alu instid0(VALU_DEP_1)
	v_lshl_add_u32 v38, v23, 2, v26
	v_mov_b32_e32 v23, v4
	ds_store_b8 v24, v35 offset:4096
	s_wait_loadcnt 0x0
	ds_store_b32 v38, v39
	s_branch .LBB50_12
.LBB50_17:                              ;   in Loop: Header=BB50_10 Depth=1
	s_or_b32 exec_lo, exec_lo, s24
.LBB50_18:                              ;   in Loop: Header=BB50_10 Depth=1
	s_delay_alu instid0(SALU_CYCLE_1)
	s_or_b32 exec_lo, exec_lo, s23
	ds_bpermute_b32 v3, v27, v23
	s_wait_dscnt 0x0
	ds_load_u8 v4, v24 offset:4096
	v_min_i32_e32 v3, v3, v23
	ds_bpermute_b32 v10, v28, v3
	s_wait_dscnt 0x1
	v_and_b32_e32 v3, 1, v4
	s_delay_alu instid0(VALU_DEP_1)
	v_cmp_eq_u32_e32 vcc_lo, 1, v3
	v_mov_b32_e32 v3, 0
	s_and_saveexec_b32 s0, vcc_lo
	s_cbranch_execz .LBB50_9
; %bb.19:                               ;   in Loop: Header=BB50_10 Depth=1
	v_ashrrev_i32_e32 v3, 31, v2
	s_delay_alu instid0(VALU_DEP_1) | instskip(SKIP_3) | instid1(VALU_DEP_1)
	v_mul_u64_e32 v[20:21], s[18:19], v[2:3]
	v_add_nc_u32_e32 v3, s21, v37
	global_store_b32 v2, v3, s[8:9] scale_offset
	v_lshlrev_b64_e32 v[20:21], 2, v[20:21]
	v_add_nc_u64_e32 v[22:23], v[6:7], v[20:21]
	v_add_nc_u64_e32 v[20:21], v[8:9], v[20:21]
	s_wait_xcnt 0x0
	s_and_saveexec_b32 s23, s6
	s_cbranch_execz .LBB50_23
; %bb.20:                               ;   in Loop: Header=BB50_10 Depth=1
	ds_load_b32 v3, v29
	s_and_b32 vcc_lo, exec_lo, s4
	s_cbranch_vccz .LBB50_34
; %bb.21:                               ;   in Loop: Header=BB50_10 Depth=1
	v_lshl_add_u64 v[38:39], v[12:13], 2, v[22:23]
	s_wait_dscnt 0x0
	global_store_b32 v[38:39], v3, off
	s_cbranch_execnz .LBB50_23
.LBB50_22:                              ;   in Loop: Header=BB50_10 Depth=1
	s_wait_dscnt 0x0
	global_store_b32 v[20:21], v3, off
.LBB50_23:                              ;   in Loop: Header=BB50_10 Depth=1
	s_wait_xcnt 0x0
	s_or_b32 exec_lo, exec_lo, s23
	s_and_saveexec_b32 s23, s1
	s_cbranch_execz .LBB50_27
; %bb.24:                               ;   in Loop: Header=BB50_10 Depth=1
	s_and_not1_b32 vcc_lo, exec_lo, s4
	s_cbranch_vccnz .LBB50_35
; %bb.25:                               ;   in Loop: Header=BB50_10 Depth=1
	s_wait_dscnt 0x0
	ds_load_b32 v3, v29 offset:8
	v_lshl_add_u64 v[38:39], v[14:15], 2, v[22:23]
	s_wait_dscnt 0x0
	global_store_b32 v[38:39], v3, off
	s_cbranch_execnz .LBB50_27
.LBB50_26:                              ;   in Loop: Header=BB50_10 Depth=1
	s_wait_dscnt 0x0
	s_wait_xcnt 0x0
	ds_load_b32 v3, v29 offset:8
	s_wait_dscnt 0x0
	global_store_b32 v[20:21], v3, off offset:8
.LBB50_27:                              ;   in Loop: Header=BB50_10 Depth=1
	s_wait_xcnt 0x0
	s_or_b32 exec_lo, exec_lo, s23
	s_and_saveexec_b32 s23, s2
	s_cbranch_execz .LBB50_31
; %bb.28:                               ;   in Loop: Header=BB50_10 Depth=1
	s_and_not1_b32 vcc_lo, exec_lo, s4
	s_cbranch_vccnz .LBB50_36
; %bb.29:                               ;   in Loop: Header=BB50_10 Depth=1
	s_wait_dscnt 0x0
	ds_load_b32 v3, v29 offset:16
	v_lshl_add_u64 v[38:39], v[16:17], 2, v[22:23]
	s_wait_dscnt 0x0
	global_store_b32 v[38:39], v3, off
	s_cbranch_execnz .LBB50_31
.LBB50_30:                              ;   in Loop: Header=BB50_10 Depth=1
	s_wait_dscnt 0x0
	s_wait_xcnt 0x0
	ds_load_b32 v3, v29 offset:16
	s_wait_dscnt 0x0
	global_store_b32 v[20:21], v3, off offset:16
.LBB50_31:                              ;   in Loop: Header=BB50_10 Depth=1
	s_wait_xcnt 0x0
	s_or_b32 exec_lo, exec_lo, s23
	s_and_saveexec_b32 s23, s3
	s_cbranch_execz .LBB50_8
; %bb.32:                               ;   in Loop: Header=BB50_10 Depth=1
	s_and_not1_b32 vcc_lo, exec_lo, s4
	s_cbranch_vccnz .LBB50_37
; %bb.33:                               ;   in Loop: Header=BB50_10 Depth=1
	s_wait_dscnt 0x0
	ds_load_b32 v3, v29 offset:24
	v_lshl_add_u64 v[22:23], v[18:19], 2, v[22:23]
	s_wait_dscnt 0x0
	global_store_b32 v[22:23], v3, off
	s_cbranch_execnz .LBB50_8
	s_branch .LBB50_38
.LBB50_34:                              ;   in Loop: Header=BB50_10 Depth=1
	s_branch .LBB50_22
.LBB50_35:                              ;   in Loop: Header=BB50_10 Depth=1
	s_branch .LBB50_26
.LBB50_36:                              ;   in Loop: Header=BB50_10 Depth=1
	s_branch .LBB50_30
.LBB50_37:                              ;   in Loop: Header=BB50_10 Depth=1
.LBB50_38:                              ;   in Loop: Header=BB50_10 Depth=1
	s_wait_dscnt 0x0
	s_wait_xcnt 0x0
	ds_load_b32 v3, v29 offset:24
	s_wait_dscnt 0x0
	global_store_b32 v[20:21], v3, off offset:24
	s_branch .LBB50_8
.LBB50_39:
	s_endpgm
	.section	.rodata,"a",@progbits
	.p2align	6, 0x0
	.amdhsa_kernel _ZN9rocsparseL44csr2gebsr_wavefront_per_row_multipass_kernelILi256ELi16ELi8ELi32EfEEv20rocsparse_direction_iiiiii21rocsparse_index_base_PKT3_PKiS7_S2_PS3_PiS9_
		.amdhsa_group_segment_fixed_size 4104
		.amdhsa_private_segment_fixed_size 0
		.amdhsa_kernarg_size 88
		.amdhsa_user_sgpr_count 2
		.amdhsa_user_sgpr_dispatch_ptr 0
		.amdhsa_user_sgpr_queue_ptr 0
		.amdhsa_user_sgpr_kernarg_segment_ptr 1
		.amdhsa_user_sgpr_dispatch_id 0
		.amdhsa_user_sgpr_kernarg_preload_length 0
		.amdhsa_user_sgpr_kernarg_preload_offset 0
		.amdhsa_user_sgpr_private_segment_size 0
		.amdhsa_wavefront_size32 1
		.amdhsa_uses_dynamic_stack 0
		.amdhsa_enable_private_segment 0
		.amdhsa_system_sgpr_workgroup_id_x 1
		.amdhsa_system_sgpr_workgroup_id_y 0
		.amdhsa_system_sgpr_workgroup_id_z 0
		.amdhsa_system_sgpr_workgroup_info 0
		.amdhsa_system_vgpr_workitem_id 0
		.amdhsa_next_free_vgpr 42
		.amdhsa_next_free_sgpr 26
		.amdhsa_named_barrier_count 0
		.amdhsa_reserve_vcc 1
		.amdhsa_float_round_mode_32 0
		.amdhsa_float_round_mode_16_64 0
		.amdhsa_float_denorm_mode_32 3
		.amdhsa_float_denorm_mode_16_64 3
		.amdhsa_fp16_overflow 0
		.amdhsa_memory_ordered 1
		.amdhsa_forward_progress 1
		.amdhsa_inst_pref_size 15
		.amdhsa_round_robin_scheduling 0
		.amdhsa_exception_fp_ieee_invalid_op 0
		.amdhsa_exception_fp_denorm_src 0
		.amdhsa_exception_fp_ieee_div_zero 0
		.amdhsa_exception_fp_ieee_overflow 0
		.amdhsa_exception_fp_ieee_underflow 0
		.amdhsa_exception_fp_ieee_inexact 0
		.amdhsa_exception_int_div_zero 0
	.end_amdhsa_kernel
	.section	.text._ZN9rocsparseL44csr2gebsr_wavefront_per_row_multipass_kernelILi256ELi16ELi8ELi32EfEEv20rocsparse_direction_iiiiii21rocsparse_index_base_PKT3_PKiS7_S2_PS3_PiS9_,"axG",@progbits,_ZN9rocsparseL44csr2gebsr_wavefront_per_row_multipass_kernelILi256ELi16ELi8ELi32EfEEv20rocsparse_direction_iiiiii21rocsparse_index_base_PKT3_PKiS7_S2_PS3_PiS9_,comdat
.Lfunc_end50:
	.size	_ZN9rocsparseL44csr2gebsr_wavefront_per_row_multipass_kernelILi256ELi16ELi8ELi32EfEEv20rocsparse_direction_iiiiii21rocsparse_index_base_PKT3_PKiS7_S2_PS3_PiS9_, .Lfunc_end50-_ZN9rocsparseL44csr2gebsr_wavefront_per_row_multipass_kernelILi256ELi16ELi8ELi32EfEEv20rocsparse_direction_iiiiii21rocsparse_index_base_PKT3_PKiS7_S2_PS3_PiS9_
                                        ; -- End function
	.set _ZN9rocsparseL44csr2gebsr_wavefront_per_row_multipass_kernelILi256ELi16ELi8ELi32EfEEv20rocsparse_direction_iiiiii21rocsparse_index_base_PKT3_PKiS7_S2_PS3_PiS9_.num_vgpr, 42
	.set _ZN9rocsparseL44csr2gebsr_wavefront_per_row_multipass_kernelILi256ELi16ELi8ELi32EfEEv20rocsparse_direction_iiiiii21rocsparse_index_base_PKT3_PKiS7_S2_PS3_PiS9_.num_agpr, 0
	.set _ZN9rocsparseL44csr2gebsr_wavefront_per_row_multipass_kernelILi256ELi16ELi8ELi32EfEEv20rocsparse_direction_iiiiii21rocsparse_index_base_PKT3_PKiS7_S2_PS3_PiS9_.numbered_sgpr, 26
	.set _ZN9rocsparseL44csr2gebsr_wavefront_per_row_multipass_kernelILi256ELi16ELi8ELi32EfEEv20rocsparse_direction_iiiiii21rocsparse_index_base_PKT3_PKiS7_S2_PS3_PiS9_.num_named_barrier, 0
	.set _ZN9rocsparseL44csr2gebsr_wavefront_per_row_multipass_kernelILi256ELi16ELi8ELi32EfEEv20rocsparse_direction_iiiiii21rocsparse_index_base_PKT3_PKiS7_S2_PS3_PiS9_.private_seg_size, 0
	.set _ZN9rocsparseL44csr2gebsr_wavefront_per_row_multipass_kernelILi256ELi16ELi8ELi32EfEEv20rocsparse_direction_iiiiii21rocsparse_index_base_PKT3_PKiS7_S2_PS3_PiS9_.uses_vcc, 1
	.set _ZN9rocsparseL44csr2gebsr_wavefront_per_row_multipass_kernelILi256ELi16ELi8ELi32EfEEv20rocsparse_direction_iiiiii21rocsparse_index_base_PKT3_PKiS7_S2_PS3_PiS9_.uses_flat_scratch, 0
	.set _ZN9rocsparseL44csr2gebsr_wavefront_per_row_multipass_kernelILi256ELi16ELi8ELi32EfEEv20rocsparse_direction_iiiiii21rocsparse_index_base_PKT3_PKiS7_S2_PS3_PiS9_.has_dyn_sized_stack, 0
	.set _ZN9rocsparseL44csr2gebsr_wavefront_per_row_multipass_kernelILi256ELi16ELi8ELi32EfEEv20rocsparse_direction_iiiiii21rocsparse_index_base_PKT3_PKiS7_S2_PS3_PiS9_.has_recursion, 0
	.set _ZN9rocsparseL44csr2gebsr_wavefront_per_row_multipass_kernelILi256ELi16ELi8ELi32EfEEv20rocsparse_direction_iiiiii21rocsparse_index_base_PKT3_PKiS7_S2_PS3_PiS9_.has_indirect_call, 0
	.section	.AMDGPU.csdata,"",@progbits
; Kernel info:
; codeLenInByte = 1832
; TotalNumSgprs: 28
; NumVgprs: 42
; ScratchSize: 0
; MemoryBound: 0
; FloatMode: 240
; IeeeMode: 1
; LDSByteSize: 4104 bytes/workgroup (compile time only)
; SGPRBlocks: 0
; VGPRBlocks: 2
; NumSGPRsForWavesPerEU: 28
; NumVGPRsForWavesPerEU: 42
; NamedBarCnt: 0
; Occupancy: 16
; WaveLimiterHint : 0
; COMPUTE_PGM_RSRC2:SCRATCH_EN: 0
; COMPUTE_PGM_RSRC2:USER_SGPR: 2
; COMPUTE_PGM_RSRC2:TRAP_HANDLER: 0
; COMPUTE_PGM_RSRC2:TGID_X_EN: 1
; COMPUTE_PGM_RSRC2:TGID_Y_EN: 0
; COMPUTE_PGM_RSRC2:TGID_Z_EN: 0
; COMPUTE_PGM_RSRC2:TIDIG_COMP_CNT: 0
	.section	.text._ZN9rocsparseL44csr2gebsr_wavefront_per_row_multipass_kernelILi256ELi16ELi16ELi64EfEEv20rocsparse_direction_iiiiii21rocsparse_index_base_PKT3_PKiS7_S2_PS3_PiS9_,"axG",@progbits,_ZN9rocsparseL44csr2gebsr_wavefront_per_row_multipass_kernelILi256ELi16ELi16ELi64EfEEv20rocsparse_direction_iiiiii21rocsparse_index_base_PKT3_PKiS7_S2_PS3_PiS9_,comdat
	.globl	_ZN9rocsparseL44csr2gebsr_wavefront_per_row_multipass_kernelILi256ELi16ELi16ELi64EfEEv20rocsparse_direction_iiiiii21rocsparse_index_base_PKT3_PKiS7_S2_PS3_PiS9_ ; -- Begin function _ZN9rocsparseL44csr2gebsr_wavefront_per_row_multipass_kernelILi256ELi16ELi16ELi64EfEEv20rocsparse_direction_iiiiii21rocsparse_index_base_PKT3_PKiS7_S2_PS3_PiS9_
	.p2align	8
	.type	_ZN9rocsparseL44csr2gebsr_wavefront_per_row_multipass_kernelILi256ELi16ELi16ELi64EfEEv20rocsparse_direction_iiiiii21rocsparse_index_base_PKT3_PKiS7_S2_PS3_PiS9_,@function
_ZN9rocsparseL44csr2gebsr_wavefront_per_row_multipass_kernelILi256ELi16ELi16ELi64EfEEv20rocsparse_direction_iiiiii21rocsparse_index_base_PKT3_PKiS7_S2_PS3_PiS9_: ; @_ZN9rocsparseL44csr2gebsr_wavefront_per_row_multipass_kernelILi256ELi16ELi16ELi64EfEEv20rocsparse_direction_iiiiii21rocsparse_index_base_PKT3_PKiS7_S2_PS3_PiS9_
; %bb.0:
	s_clause 0x1
	s_load_b128 s[4:7], s[0:1], 0xc
	s_load_b64 s[14:15], s[0:1], 0x0
	s_bfe_u32 s2, ttmp6, 0x4000c
	s_and_b32 s3, ttmp6, 15
	s_add_co_i32 s2, s2, 1
	s_getreg_b32 s8, hwreg(HW_REG_IB_STS2, 6, 4)
	s_mul_i32 s2, ttmp9, s2
	v_dual_lshrrev_b32 v24, 6, v0 :: v_dual_mov_b32 v2, 0
	s_add_co_i32 s3, s3, s2
	s_cmp_eq_u32 s8, 0
	v_bfe_u32 v1, v0, 2, 4
	s_cselect_b32 s2, ttmp9, s3
	s_clause 0x1
	s_load_b32 s20, s[0:1], 0x1c
	s_load_b64 s[8:9], s[0:1], 0x28
	v_lshl_or_b32 v3, s2, 2, v24
	v_mov_b32_e32 v10, 0
	s_wait_kmcnt 0x0
	s_delay_alu instid0(VALU_DEP_2) | instskip(SKIP_1) | instid1(VALU_DEP_2)
	v_mad_u32 v4, v3, s6, v1
	v_cmp_gt_i32_e32 vcc_lo, s6, v1
	v_cmp_gt_i32_e64 s2, s15, v4
	s_and_b32 s2, vcc_lo, s2
	s_delay_alu instid0(SALU_CYCLE_1)
	s_and_saveexec_b32 s3, s2
	s_cbranch_execz .LBB51_2
; %bb.1:
	global_load_b32 v5, v4, s[8:9] scale_offset
	s_wait_loadcnt 0x0
	v_subrev_nc_u32_e32 v10, s20, v5
.LBB51_2:
	s_or_b32 exec_lo, exec_lo, s3
	v_mov_b32_e32 v25, 0
	s_and_saveexec_b32 s3, s2
	s_cbranch_execz .LBB51_4
; %bb.3:
	global_load_b32 v4, v4, s[8:9] offset:4 scale_offset
	s_wait_loadcnt 0x0
	v_subrev_nc_u32_e32 v25, s20, v4
.LBB51_4:
	s_or_b32 exec_lo, exec_lo, s3
	s_load_b32 s21, s[0:1], 0x38
	s_mov_b32 s3, exec_lo
	v_cmpx_gt_i32_e64 s4, v3
	s_cbranch_execz .LBB51_6
; %bb.5:
	s_load_b64 s[8:9], s[0:1], 0x48
	s_wait_kmcnt 0x0
	global_load_b32 v2, v3, s[8:9] scale_offset
	s_wait_loadcnt 0x0
	v_subrev_nc_u32_e32 v2, s21, v2
.LBB51_6:
	s_or_b32 exec_lo, exec_lo, s3
	s_cmp_lt_i32 s5, 1
	s_cbranch_scc1 .LBB51_39
; %bb.7:
	v_mbcnt_lo_u32_b32 v3, -1, 0
	s_clause 0x3
	s_load_b64 s[8:9], s[0:1], 0x50
	s_load_b64 s[2:3], s[0:1], 0x40
	;; [unrolled: 1-line block ×4, first 2 shown]
	v_mul_lo_u32 v6, s7, v1
	s_cmp_lg_u32 s14, 0
	s_mov_b32 s15, 0
	v_dual_lshlrev_b32 v7, 6, v1 :: v_dual_bitop2_b32 v4, 2, v3 bitop3:0x14
	s_cselect_b32 s4, -1, 0
	s_mov_b32 s14, s6
	s_ashr_i32 s17, s7, 31
	s_wait_xcnt 0x0
	v_cmp_gt_i32_e64 s0, 32, v4
	v_xor_b32_e32 v5, 1, v3
	v_lshl_or_b32 v26, v24, 10, v7
	s_mov_b32 s16, s7
	v_lshl_or_b32 v29, v3, 2, 12
	v_cndmask_b32_e64 v4, v3, v4, s0
	v_cmp_gt_i32_e64 s0, 32, v5
	v_and_b32_e32 v0, 3, v0
	s_mul_u64 s[18:19], s[16:17], s[14:15]
	s_abs_i32 s16, s7
	v_dual_ashrrev_i32 v7, 31, v6 :: v_dual_cndmask_b32 v5, v3, v5, s0
	s_delay_alu instid0(VALU_DEP_2)
	v_lshlrev_b32_e32 v8, 2, v0
	v_lshlrev_b32_e32 v27, 2, v4
	s_cvt_f32_u32 s1, s16
	s_wait_kmcnt 0x0
	v_lshl_add_u64 v[12:13], v[6:7], 2, s[2:3]
	v_dual_lshlrev_b32 v28, 2, v5 :: v_dual_bitop2_b32 v30, v26, v8 bitop3:0x54
	v_dual_mov_b32 v5, 0 :: v_dual_lshlrev_b32 v4, 2, v1
	v_bfrev_b32_e32 v35, 0.5
	v_dual_mov_b32 v36, 1 :: v_dual_mov_b32 v38, 0
	s_delay_alu instid0(VALU_DEP_3) | instskip(NEXT) | instid1(VALU_DEP_4)
	v_mov_b32_e32 v9, v5
	v_add_nc_u64_e32 v[6:7], s[2:3], v[4:5]
	v_dual_mov_b32 v1, v5 :: v_dual_bitop2_b32 v4, 32, v3 bitop3:0x54
	v_mov_b32_e32 v19, v5
	s_delay_alu instid0(VALU_DEP_4) | instskip(SKIP_1) | instid1(VALU_DEP_3)
	v_add_nc_u64_e32 v[8:9], v[12:13], v[8:9]
	s_mov_b32 s22, s15
	v_cmp_gt_i32_e64 s0, 32, v4
	v_dual_mov_b32 v15, v5 :: v_dual_bitop2_b32 v11, 16, v3 bitop3:0x14
	s_delay_alu instid0(VALU_DEP_2) | instskip(NEXT) | instid1(VALU_DEP_2)
	v_dual_cndmask_b32 v4, v3, v4, s0 :: v_dual_bitop2_b32 v12, 8, v3 bitop3:0x14
	v_cmp_gt_i32_e64 s0, 32, v11
	s_delay_alu instid0(VALU_DEP_2) | instskip(SKIP_1) | instid1(VALU_DEP_2)
	v_lshlrev_b32_e32 v31, 2, v4
	v_rcp_iflag_f32_e32 v4, s1
	v_cndmask_b32_e64 v11, v3, v11, s0
	v_cmp_gt_i32_e64 s0, 32, v12
	s_delay_alu instid0(VALU_DEP_1) | instskip(NEXT) | instid1(VALU_DEP_1)
	v_dual_cndmask_b32 v12, v3, v12, s0 :: v_dual_bitop2_b32 v13, 4, v3 bitop3:0x14
	v_cmp_gt_i32_e64 s0, 32, v13
	s_delay_alu instid0(TRANS32_DEP_1) | instskip(NEXT) | instid1(VALU_DEP_2)
	v_readfirstlane_b32 s3, v4
	v_dual_lshlrev_b32 v33, 2, v12 :: v_dual_cndmask_b32 v3, v3, v13, s0
	v_lshlrev_b32_e32 v32, 2, v11
	v_mul_lo_u32 v12, v0, s6
	s_lshl_b32 s6, s6, 2
	s_delay_alu instid0(VALU_DEP_3) | instskip(SKIP_3) | instid1(VALU_DEP_2)
	v_dual_mov_b32 v13, v5 :: v_dual_lshlrev_b32 v34, 2, v3
	v_or_b32_e32 v3, 4, v0
	s_mul_f32 s14, s3, 0x4f7ffffe
	v_cmp_gt_u32_e64 s0, s7, v0
	v_cmp_gt_u32_e64 s1, s7, v3
	v_or_b32_e32 v3, 8, v0
	v_add_nc_u32_e32 v14, s6, v12
	v_or_b32_e32 v4, 12, v0
	s_cvt_u32_f32 s14, s14
	s_and_b32 s1, vcc_lo, s1
	v_cmp_gt_u32_e64 s2, s7, v3
	v_dual_mov_b32 v17, v5 :: v_dual_add_nc_u32 v16, s6, v14
	v_cmp_gt_u32_e64 s3, s7, v4
	s_and_b32 s2, vcc_lo, s2
	v_add_nc_u32_e32 v18, s6, v16
	s_and_b32 s6, s0, vcc_lo
	s_sub_co_i32 s0, 0, s16
	s_and_b32 s3, vcc_lo, s3
	s_mul_i32 s0, s0, s14
	s_delay_alu instid0(SALU_CYCLE_1) | instskip(NEXT) | instid1(SALU_CYCLE_1)
	s_mul_hi_u32 s0, s14, s0
	s_add_co_i32 s14, s14, s0
	s_branch .LBB51_10
.LBB51_8:                               ;   in Loop: Header=BB51_10 Depth=1
	s_wait_xcnt 0x0
	s_or_b32 exec_lo, exec_lo, s23
	s_wait_dscnt 0x0
	v_mov_b32_e32 v3, 1
.LBB51_9:                               ;   in Loop: Header=BB51_10 Depth=1
	s_or_b32 exec_lo, exec_lo, s0
	ds_bpermute_b32 v4, v31, v37
	s_wait_storecnt_dscnt 0x0
	v_dual_add_nc_u32 v2, v3, v2 :: v_dual_min_i32 v4, v4, v37
	ds_bpermute_b32 v11, v32, v4
	s_wait_dscnt 0x0
	v_min_i32_e32 v4, v11, v4
	ds_bpermute_b32 v11, v33, v4
	s_wait_dscnt 0x0
	v_min_i32_e32 v4, v11, v4
	;; [unrolled: 3-line block ×5, first 2 shown]
	ds_bpermute_b32 v38, v35, v4
	s_wait_dscnt 0x0
	v_cmp_le_i32_e32 vcc_lo, s5, v38
	s_or_b32 s22, vcc_lo, s22
	s_delay_alu instid0(SALU_CYCLE_1)
	s_and_not1_b32 exec_lo, exec_lo, s22
	s_cbranch_execz .LBB51_39
.LBB51_10:                              ; =>This Loop Header: Depth=1
                                        ;     Child Loop BB51_13 Depth 2
	v_dual_add_nc_u32 v3, v10, v0 :: v_dual_mov_b32 v37, s5
	v_mov_b32_e32 v23, v25
	s_mov_b32 s23, exec_lo
	ds_store_b8 v24, v5 offset:4096
	ds_store_2addr_b32 v30, v5, v5 offset1:4
	ds_store_2addr_b32 v30, v5, v5 offset0:8 offset1:12
	s_wait_dscnt 0x0
	v_cmpx_lt_i32_e64 v3, v25
	s_cbranch_execz .LBB51_18
; %bb.11:                               ;   in Loop: Header=BB51_10 Depth=1
	v_dual_ashrrev_i32 v11, 31, v10 :: v_dual_mov_b32 v37, s5
	v_mul_lo_u32 v22, v38, s7
	v_mov_b32_e32 v23, v25
	s_mov_b32 s24, 0
	s_delay_alu instid0(VALU_DEP_3) | instskip(NEXT) | instid1(VALU_DEP_1)
	v_add_nc_u64_e32 v[10:11], v[0:1], v[10:11]
	v_lshlrev_b64_e32 v[20:21], 2, v[10:11]
	s_delay_alu instid0(VALU_DEP_1)
	v_add_nc_u64_e32 v[10:11], s[12:13], v[20:21]
	v_add_nc_u64_e32 v[20:21], s[10:11], v[20:21]
	s_branch .LBB51_13
.LBB51_12:                              ;   in Loop: Header=BB51_13 Depth=2
	s_wait_xcnt 0x0
	s_or_b32 exec_lo, exec_lo, s0
	v_add_nc_u32_e32 v3, 4, v3
	s_xor_b32 s25, vcc_lo, -1
	v_add_nc_u64_e32 v[10:11], 16, v[10:11]
	v_add_nc_u64_e32 v[20:21], 16, v[20:21]
	s_delay_alu instid0(VALU_DEP_3) | instskip(SKIP_1) | instid1(SALU_CYCLE_1)
	v_cmp_ge_i32_e64 s0, v3, v25
	s_or_b32 s0, s25, s0
	s_and_b32 s0, exec_lo, s0
	s_delay_alu instid0(SALU_CYCLE_1) | instskip(NEXT) | instid1(SALU_CYCLE_1)
	s_or_b32 s24, s0, s24
	s_and_not1_b32 exec_lo, exec_lo, s24
	s_cbranch_execz .LBB51_17
.LBB51_13:                              ;   Parent Loop BB51_10 Depth=1
                                        ; =>  This Inner Loop Header: Depth=2
	global_load_b32 v4, v[10:11], off
	s_wait_loadcnt 0x0
	v_subrev_nc_u32_e32 v39, s20, v4
	s_delay_alu instid0(VALU_DEP_1) | instskip(NEXT) | instid1(VALU_DEP_1)
	v_sub_nc_u32_e32 v4, 0, v39
	v_max_i32_e32 v4, v39, v4
	s_delay_alu instid0(VALU_DEP_1) | instskip(NEXT) | instid1(VALU_DEP_1)
	v_mul_u64_e32 v[40:41], s[14:15], v[4:5]
	v_mul_lo_u32 v40, v41, s16
	s_delay_alu instid0(VALU_DEP_1) | instskip(NEXT) | instid1(VALU_DEP_1)
	v_dual_sub_nc_u32 v4, v4, v40 :: v_dual_add_nc_u32 v40, 1, v41
	v_cmp_le_u32_e32 vcc_lo, s16, v4
	s_delay_alu instid0(VALU_DEP_2) | instskip(SKIP_1) | instid1(VALU_DEP_1)
	v_cndmask_b32_e32 v40, v41, v40, vcc_lo
	v_subrev_nc_u32_e32 v42, s16, v4
	v_dual_cndmask_b32 v4, v4, v42 :: v_dual_ashrrev_i32 v41, 31, v39
	s_delay_alu instid0(VALU_DEP_3) | instskip(NEXT) | instid1(VALU_DEP_2)
	v_add_nc_u32_e32 v42, 1, v40
	v_cmp_le_u32_e32 vcc_lo, s16, v4
	s_delay_alu instid0(VALU_DEP_2) | instskip(NEXT) | instid1(VALU_DEP_1)
	v_dual_cndmask_b32 v4, v40, v42, vcc_lo :: v_dual_bitop2_b32 v41, s17, v41 bitop3:0x14
	v_xor_b32_e32 v4, v4, v41
	s_delay_alu instid0(VALU_DEP_1) | instskip(NEXT) | instid1(VALU_DEP_1)
	v_dual_sub_nc_u32 v40, v4, v41 :: v_dual_mov_b32 v4, v23
	v_cmp_ne_u32_e64 s0, v40, v38
	v_cmp_eq_u32_e32 vcc_lo, v40, v38
	s_wait_xcnt 0x0
	s_and_saveexec_b32 s25, s0
	s_delay_alu instid0(SALU_CYCLE_1)
	s_xor_b32 s0, exec_lo, s25
; %bb.14:                               ;   in Loop: Header=BB51_13 Depth=2
	v_min_i32_e32 v37, v40, v37
                                        ; implicit-def: $vgpr39
                                        ; implicit-def: $vgpr4
; %bb.15:                               ;   in Loop: Header=BB51_13 Depth=2
	s_or_saveexec_b32 s0, s0
	v_mov_b32_e32 v23, v3
	s_xor_b32 exec_lo, exec_lo, s0
	s_cbranch_execz .LBB51_12
; %bb.16:                               ;   in Loop: Header=BB51_13 Depth=2
	global_load_b32 v40, v[20:21], off
	v_sub_nc_u32_e32 v23, v39, v22
	s_delay_alu instid0(VALU_DEP_1)
	v_lshl_add_u32 v39, v23, 2, v26
	v_mov_b32_e32 v23, v4
	ds_store_b8 v24, v36 offset:4096
	s_wait_loadcnt 0x0
	ds_store_b32 v39, v40
	s_branch .LBB51_12
.LBB51_17:                              ;   in Loop: Header=BB51_10 Depth=1
	s_or_b32 exec_lo, exec_lo, s24
.LBB51_18:                              ;   in Loop: Header=BB51_10 Depth=1
	s_delay_alu instid0(SALU_CYCLE_1)
	s_or_b32 exec_lo, exec_lo, s23
	ds_bpermute_b32 v3, v27, v23
	s_wait_dscnt 0x0
	ds_load_u8 v11, v24 offset:4096
	v_min_i32_e32 v3, v3, v23
	ds_bpermute_b32 v4, v28, v3
	s_wait_dscnt 0x0
	v_min_i32_e32 v3, v4, v3
	ds_bpermute_b32 v10, v29, v3
	v_and_b32_e32 v3, 1, v11
	s_delay_alu instid0(VALU_DEP_1)
	v_cmp_eq_u32_e32 vcc_lo, 1, v3
	v_mov_b32_e32 v3, 0
	s_and_saveexec_b32 s0, vcc_lo
	s_cbranch_execz .LBB51_9
; %bb.19:                               ;   in Loop: Header=BB51_10 Depth=1
	v_ashrrev_i32_e32 v3, 31, v2
	s_delay_alu instid0(VALU_DEP_1) | instskip(SKIP_3) | instid1(VALU_DEP_1)
	v_mul_u64_e32 v[20:21], s[18:19], v[2:3]
	v_add_nc_u32_e32 v3, s21, v38
	global_store_b32 v2, v3, s[8:9] scale_offset
	v_lshlrev_b64_e32 v[20:21], 2, v[20:21]
	v_add_nc_u64_e32 v[22:23], v[6:7], v[20:21]
	v_add_nc_u64_e32 v[20:21], v[8:9], v[20:21]
	s_wait_xcnt 0x0
	s_and_saveexec_b32 s23, s6
	s_cbranch_execz .LBB51_23
; %bb.20:                               ;   in Loop: Header=BB51_10 Depth=1
	ds_load_b32 v3, v30
	s_and_b32 vcc_lo, exec_lo, s4
	s_cbranch_vccz .LBB51_34
; %bb.21:                               ;   in Loop: Header=BB51_10 Depth=1
	v_lshl_add_u64 v[38:39], v[12:13], 2, v[22:23]
	s_wait_dscnt 0x0
	global_store_b32 v[38:39], v3, off
	s_cbranch_execnz .LBB51_23
.LBB51_22:                              ;   in Loop: Header=BB51_10 Depth=1
	s_wait_dscnt 0x0
	global_store_b32 v[20:21], v3, off
.LBB51_23:                              ;   in Loop: Header=BB51_10 Depth=1
	s_wait_xcnt 0x0
	s_or_b32 exec_lo, exec_lo, s23
	s_and_saveexec_b32 s23, s1
	s_cbranch_execz .LBB51_27
; %bb.24:                               ;   in Loop: Header=BB51_10 Depth=1
	s_and_not1_b32 vcc_lo, exec_lo, s4
	s_cbranch_vccnz .LBB51_35
; %bb.25:                               ;   in Loop: Header=BB51_10 Depth=1
	s_wait_dscnt 0x0
	ds_load_b32 v3, v30 offset:16
	v_lshl_add_u64 v[38:39], v[14:15], 2, v[22:23]
	s_wait_dscnt 0x0
	global_store_b32 v[38:39], v3, off
	s_cbranch_execnz .LBB51_27
.LBB51_26:                              ;   in Loop: Header=BB51_10 Depth=1
	s_wait_dscnt 0x0
	s_wait_xcnt 0x0
	ds_load_b32 v3, v30 offset:16
	s_wait_dscnt 0x0
	global_store_b32 v[20:21], v3, off offset:16
.LBB51_27:                              ;   in Loop: Header=BB51_10 Depth=1
	s_wait_xcnt 0x0
	s_or_b32 exec_lo, exec_lo, s23
	s_and_saveexec_b32 s23, s2
	s_cbranch_execz .LBB51_31
; %bb.28:                               ;   in Loop: Header=BB51_10 Depth=1
	s_and_not1_b32 vcc_lo, exec_lo, s4
	s_cbranch_vccnz .LBB51_36
; %bb.29:                               ;   in Loop: Header=BB51_10 Depth=1
	s_wait_dscnt 0x0
	ds_load_b32 v3, v30 offset:32
	v_lshl_add_u64 v[38:39], v[16:17], 2, v[22:23]
	s_wait_dscnt 0x0
	global_store_b32 v[38:39], v3, off
	s_cbranch_execnz .LBB51_31
.LBB51_30:                              ;   in Loop: Header=BB51_10 Depth=1
	s_wait_dscnt 0x0
	s_wait_xcnt 0x0
	ds_load_b32 v3, v30 offset:32
	s_wait_dscnt 0x0
	global_store_b32 v[20:21], v3, off offset:32
.LBB51_31:                              ;   in Loop: Header=BB51_10 Depth=1
	s_wait_xcnt 0x0
	s_or_b32 exec_lo, exec_lo, s23
	s_and_saveexec_b32 s23, s3
	s_cbranch_execz .LBB51_8
; %bb.32:                               ;   in Loop: Header=BB51_10 Depth=1
	s_and_not1_b32 vcc_lo, exec_lo, s4
	s_cbranch_vccnz .LBB51_37
; %bb.33:                               ;   in Loop: Header=BB51_10 Depth=1
	s_wait_dscnt 0x0
	ds_load_b32 v3, v30 offset:48
	v_lshl_add_u64 v[22:23], v[18:19], 2, v[22:23]
	s_wait_dscnt 0x0
	global_store_b32 v[22:23], v3, off
	s_cbranch_execnz .LBB51_8
	s_branch .LBB51_38
.LBB51_34:                              ;   in Loop: Header=BB51_10 Depth=1
	s_branch .LBB51_22
.LBB51_35:                              ;   in Loop: Header=BB51_10 Depth=1
	s_branch .LBB51_26
.LBB51_36:                              ;   in Loop: Header=BB51_10 Depth=1
	s_branch .LBB51_30
.LBB51_37:                              ;   in Loop: Header=BB51_10 Depth=1
.LBB51_38:                              ;   in Loop: Header=BB51_10 Depth=1
	s_wait_dscnt 0x0
	s_wait_xcnt 0x0
	ds_load_b32 v3, v30 offset:48
	s_wait_dscnt 0x0
	global_store_b32 v[20:21], v3, off offset:48
	s_branch .LBB51_8
.LBB51_39:
	s_endpgm
	.section	.rodata,"a",@progbits
	.p2align	6, 0x0
	.amdhsa_kernel _ZN9rocsparseL44csr2gebsr_wavefront_per_row_multipass_kernelILi256ELi16ELi16ELi64EfEEv20rocsparse_direction_iiiiii21rocsparse_index_base_PKT3_PKiS7_S2_PS3_PiS9_
		.amdhsa_group_segment_fixed_size 4100
		.amdhsa_private_segment_fixed_size 0
		.amdhsa_kernarg_size 88
		.amdhsa_user_sgpr_count 2
		.amdhsa_user_sgpr_dispatch_ptr 0
		.amdhsa_user_sgpr_queue_ptr 0
		.amdhsa_user_sgpr_kernarg_segment_ptr 1
		.amdhsa_user_sgpr_dispatch_id 0
		.amdhsa_user_sgpr_kernarg_preload_length 0
		.amdhsa_user_sgpr_kernarg_preload_offset 0
		.amdhsa_user_sgpr_private_segment_size 0
		.amdhsa_wavefront_size32 1
		.amdhsa_uses_dynamic_stack 0
		.amdhsa_enable_private_segment 0
		.amdhsa_system_sgpr_workgroup_id_x 1
		.amdhsa_system_sgpr_workgroup_id_y 0
		.amdhsa_system_sgpr_workgroup_id_z 0
		.amdhsa_system_sgpr_workgroup_info 0
		.amdhsa_system_vgpr_workitem_id 0
		.amdhsa_next_free_vgpr 43
		.amdhsa_next_free_sgpr 26
		.amdhsa_named_barrier_count 0
		.amdhsa_reserve_vcc 1
		.amdhsa_float_round_mode_32 0
		.amdhsa_float_round_mode_16_64 0
		.amdhsa_float_denorm_mode_32 3
		.amdhsa_float_denorm_mode_16_64 3
		.amdhsa_fp16_overflow 0
		.amdhsa_memory_ordered 1
		.amdhsa_forward_progress 1
		.amdhsa_inst_pref_size 15
		.amdhsa_round_robin_scheduling 0
		.amdhsa_exception_fp_ieee_invalid_op 0
		.amdhsa_exception_fp_denorm_src 0
		.amdhsa_exception_fp_ieee_div_zero 0
		.amdhsa_exception_fp_ieee_overflow 0
		.amdhsa_exception_fp_ieee_underflow 0
		.amdhsa_exception_fp_ieee_inexact 0
		.amdhsa_exception_int_div_zero 0
	.end_amdhsa_kernel
	.section	.text._ZN9rocsparseL44csr2gebsr_wavefront_per_row_multipass_kernelILi256ELi16ELi16ELi64EfEEv20rocsparse_direction_iiiiii21rocsparse_index_base_PKT3_PKiS7_S2_PS3_PiS9_,"axG",@progbits,_ZN9rocsparseL44csr2gebsr_wavefront_per_row_multipass_kernelILi256ELi16ELi16ELi64EfEEv20rocsparse_direction_iiiiii21rocsparse_index_base_PKT3_PKiS7_S2_PS3_PiS9_,comdat
.Lfunc_end51:
	.size	_ZN9rocsparseL44csr2gebsr_wavefront_per_row_multipass_kernelILi256ELi16ELi16ELi64EfEEv20rocsparse_direction_iiiiii21rocsparse_index_base_PKT3_PKiS7_S2_PS3_PiS9_, .Lfunc_end51-_ZN9rocsparseL44csr2gebsr_wavefront_per_row_multipass_kernelILi256ELi16ELi16ELi64EfEEv20rocsparse_direction_iiiiii21rocsparse_index_base_PKT3_PKiS7_S2_PS3_PiS9_
                                        ; -- End function
	.set _ZN9rocsparseL44csr2gebsr_wavefront_per_row_multipass_kernelILi256ELi16ELi16ELi64EfEEv20rocsparse_direction_iiiiii21rocsparse_index_base_PKT3_PKiS7_S2_PS3_PiS9_.num_vgpr, 43
	.set _ZN9rocsparseL44csr2gebsr_wavefront_per_row_multipass_kernelILi256ELi16ELi16ELi64EfEEv20rocsparse_direction_iiiiii21rocsparse_index_base_PKT3_PKiS7_S2_PS3_PiS9_.num_agpr, 0
	.set _ZN9rocsparseL44csr2gebsr_wavefront_per_row_multipass_kernelILi256ELi16ELi16ELi64EfEEv20rocsparse_direction_iiiiii21rocsparse_index_base_PKT3_PKiS7_S2_PS3_PiS9_.numbered_sgpr, 26
	.set _ZN9rocsparseL44csr2gebsr_wavefront_per_row_multipass_kernelILi256ELi16ELi16ELi64EfEEv20rocsparse_direction_iiiiii21rocsparse_index_base_PKT3_PKiS7_S2_PS3_PiS9_.num_named_barrier, 0
	.set _ZN9rocsparseL44csr2gebsr_wavefront_per_row_multipass_kernelILi256ELi16ELi16ELi64EfEEv20rocsparse_direction_iiiiii21rocsparse_index_base_PKT3_PKiS7_S2_PS3_PiS9_.private_seg_size, 0
	.set _ZN9rocsparseL44csr2gebsr_wavefront_per_row_multipass_kernelILi256ELi16ELi16ELi64EfEEv20rocsparse_direction_iiiiii21rocsparse_index_base_PKT3_PKiS7_S2_PS3_PiS9_.uses_vcc, 1
	.set _ZN9rocsparseL44csr2gebsr_wavefront_per_row_multipass_kernelILi256ELi16ELi16ELi64EfEEv20rocsparse_direction_iiiiii21rocsparse_index_base_PKT3_PKiS7_S2_PS3_PiS9_.uses_flat_scratch, 0
	.set _ZN9rocsparseL44csr2gebsr_wavefront_per_row_multipass_kernelILi256ELi16ELi16ELi64EfEEv20rocsparse_direction_iiiiii21rocsparse_index_base_PKT3_PKiS7_S2_PS3_PiS9_.has_dyn_sized_stack, 0
	.set _ZN9rocsparseL44csr2gebsr_wavefront_per_row_multipass_kernelILi256ELi16ELi16ELi64EfEEv20rocsparse_direction_iiiiii21rocsparse_index_base_PKT3_PKiS7_S2_PS3_PiS9_.has_recursion, 0
	.set _ZN9rocsparseL44csr2gebsr_wavefront_per_row_multipass_kernelILi256ELi16ELi16ELi64EfEEv20rocsparse_direction_iiiiii21rocsparse_index_base_PKT3_PKiS7_S2_PS3_PiS9_.has_indirect_call, 0
	.section	.AMDGPU.csdata,"",@progbits
; Kernel info:
; codeLenInByte = 1880
; TotalNumSgprs: 28
; NumVgprs: 43
; ScratchSize: 0
; MemoryBound: 0
; FloatMode: 240
; IeeeMode: 1
; LDSByteSize: 4100 bytes/workgroup (compile time only)
; SGPRBlocks: 0
; VGPRBlocks: 2
; NumSGPRsForWavesPerEU: 28
; NumVGPRsForWavesPerEU: 43
; NamedBarCnt: 0
; Occupancy: 16
; WaveLimiterHint : 0
; COMPUTE_PGM_RSRC2:SCRATCH_EN: 0
; COMPUTE_PGM_RSRC2:USER_SGPR: 2
; COMPUTE_PGM_RSRC2:TRAP_HANDLER: 0
; COMPUTE_PGM_RSRC2:TGID_X_EN: 1
; COMPUTE_PGM_RSRC2:TGID_Y_EN: 0
; COMPUTE_PGM_RSRC2:TGID_Z_EN: 0
; COMPUTE_PGM_RSRC2:TIDIG_COMP_CNT: 0
	.section	.text._ZN9rocsparseL44csr2gebsr_wavefront_per_row_multipass_kernelILi256ELi16ELi16ELi32EfEEv20rocsparse_direction_iiiiii21rocsparse_index_base_PKT3_PKiS7_S2_PS3_PiS9_,"axG",@progbits,_ZN9rocsparseL44csr2gebsr_wavefront_per_row_multipass_kernelILi256ELi16ELi16ELi32EfEEv20rocsparse_direction_iiiiii21rocsparse_index_base_PKT3_PKiS7_S2_PS3_PiS9_,comdat
	.globl	_ZN9rocsparseL44csr2gebsr_wavefront_per_row_multipass_kernelILi256ELi16ELi16ELi32EfEEv20rocsparse_direction_iiiiii21rocsparse_index_base_PKT3_PKiS7_S2_PS3_PiS9_ ; -- Begin function _ZN9rocsparseL44csr2gebsr_wavefront_per_row_multipass_kernelILi256ELi16ELi16ELi32EfEEv20rocsparse_direction_iiiiii21rocsparse_index_base_PKT3_PKiS7_S2_PS3_PiS9_
	.p2align	8
	.type	_ZN9rocsparseL44csr2gebsr_wavefront_per_row_multipass_kernelILi256ELi16ELi16ELi32EfEEv20rocsparse_direction_iiiiii21rocsparse_index_base_PKT3_PKiS7_S2_PS3_PiS9_,@function
_ZN9rocsparseL44csr2gebsr_wavefront_per_row_multipass_kernelILi256ELi16ELi16ELi32EfEEv20rocsparse_direction_iiiiii21rocsparse_index_base_PKT3_PKiS7_S2_PS3_PiS9_: ; @_ZN9rocsparseL44csr2gebsr_wavefront_per_row_multipass_kernelILi256ELi16ELi16ELi32EfEEv20rocsparse_direction_iiiiii21rocsparse_index_base_PKT3_PKiS7_S2_PS3_PiS9_
; %bb.0:
	s_clause 0x1
	s_load_b128 s[8:11], s[0:1], 0xc
	s_load_b64 s[4:5], s[0:1], 0x0
	s_bfe_u32 s2, ttmp6, 0x4000c
	s_and_b32 s3, ttmp6, 15
	s_add_co_i32 s2, s2, 1
	s_getreg_b32 s6, hwreg(HW_REG_IB_STS2, 6, 4)
	s_mul_i32 s2, ttmp9, s2
	v_dual_lshrrev_b32 v32, 5, v0 :: v_dual_mov_b32 v2, 0
	s_add_co_i32 s3, s3, s2
	s_cmp_eq_u32 s6, 0
	v_bfe_u32 v1, v0, 1, 4
	s_cselect_b32 s2, ttmp9, s3
	s_clause 0x1
	s_load_b32 s24, s[0:1], 0x1c
	s_load_b64 s[6:7], s[0:1], 0x28
	v_lshl_or_b32 v3, s2, 3, v32
	v_mov_b32_e32 v8, 0
	s_wait_kmcnt 0x0
	s_delay_alu instid0(VALU_DEP_2) | instskip(SKIP_1) | instid1(VALU_DEP_2)
	v_mad_u32 v4, v3, s10, v1
	v_cmp_gt_i32_e32 vcc_lo, s10, v1
	v_cmp_gt_i32_e64 s2, s5, v4
	s_and_b32 s2, vcc_lo, s2
	s_delay_alu instid0(SALU_CYCLE_1)
	s_and_saveexec_b32 s3, s2
	s_cbranch_execz .LBB52_2
; %bb.1:
	global_load_b32 v5, v4, s[6:7] scale_offset
	s_wait_loadcnt 0x0
	v_subrev_nc_u32_e32 v8, s24, v5
.LBB52_2:
	s_or_b32 exec_lo, exec_lo, s3
	v_mov_b32_e32 v33, 0
	s_and_saveexec_b32 s3, s2
	s_cbranch_execz .LBB52_4
; %bb.3:
	global_load_b32 v4, v4, s[6:7] offset:4 scale_offset
	s_wait_loadcnt 0x0
	v_subrev_nc_u32_e32 v33, s24, v4
.LBB52_4:
	s_or_b32 exec_lo, exec_lo, s3
	s_load_b32 s25, s[0:1], 0x38
	s_mov_b32 s3, exec_lo
	v_cmpx_gt_i32_e64 s8, v3
	s_cbranch_execz .LBB52_6
; %bb.5:
	s_load_b64 s[6:7], s[0:1], 0x48
	s_wait_kmcnt 0x0
	global_load_b32 v2, v3, s[6:7] scale_offset
	s_wait_loadcnt 0x0
	v_subrev_nc_u32_e32 v2, s25, v2
.LBB52_6:
	s_or_b32 exec_lo, exec_lo, s3
	s_cmp_lt_i32 s9, 1
	s_cbranch_scc1 .LBB52_59
; %bb.7:
	v_mbcnt_lo_u32_b32 v3, -1, 0
	s_clause 0x3
	s_load_b64 s[12:13], s[0:1], 0x50
	s_load_b64 s[2:3], s[0:1], 0x40
	;; [unrolled: 1-line block ×4, first 2 shown]
	v_mul_lo_u32 v10, s11, v1
	v_and_b32_e32 v0, 1, v0
	s_cmp_lg_u32 s4, 0
	v_dual_lshlrev_b32 v5, 6, v1 :: v_dual_bitop2_b32 v4, 1, v3 bitop3:0x14
	v_xor_b32_e32 v9, 8, v3
	v_lshl_or_b32 v36, v3, 2, 4
	s_mov_b32 s19, 0
	s_wait_xcnt 0x0
	v_cmp_gt_i32_e64 s0, 32, v4
	v_lshl_or_b32 v34, v32, 10, v5
	s_cselect_b32 s8, -1, 0
	s_mov_b32 s18, s10
	s_ashr_i32 s21, s11, 31
	v_dual_cndmask_b32 v4, v3, v4, s0 :: v_dual_mov_b32 v5, 0
	s_mov_b32 s20, s11
	v_mov_b32_e32 v42, 0x7c
	s_mul_u64 s[22:23], s[20:21], s[18:19]
	s_delay_alu instid0(VALU_DEP_2)
	v_dual_lshlrev_b32 v35, 2, v4 :: v_dual_lshlrev_b32 v4, 2, v1
	v_dual_lshlrev_b32 v12, 2, v0 :: v_dual_ashrrev_i32 v11, 31, v10
	s_lshl_b32 s18, s10, 1
	v_mov_b32_e32 v13, v5
	s_wait_kmcnt 0x0
	v_add_nc_u64_e32 v[6:7], s[2:3], v[4:5]
	v_xor_b32_e32 v4, 16, v3
	v_lshl_add_u64 v[14:15], v[10:11], 2, s[2:3]
	v_dual_mov_b32 v1, v5 :: v_dual_bitop2_b32 v37, v34, v12 bitop3:0x54
	v_dual_mov_b32 v27, v5 :: v_dual_mov_b32 v43, 1
	s_delay_alu instid0(VALU_DEP_4) | instskip(NEXT) | instid1(VALU_DEP_4)
	v_cmp_gt_i32_e64 s0, 32, v4
	v_add_nc_u64_e32 v[12:13], v[14:15], v[12:13]
	v_dual_mov_b32 v15, v5 :: v_dual_mov_b32 v45, 0
	s_delay_alu instid0(VALU_DEP_3) | instskip(SKIP_3) | instid1(VALU_DEP_2)
	v_dual_mov_b32 v17, v5 :: v_dual_cndmask_b32 v4, v3, v4, s0
	v_xor_b32_e32 v10, 4, v3
	v_cmp_gt_i32_e64 s0, 32, v9
	v_dual_mov_b32 v19, v5 :: v_dual_mov_b32 v23, v5
	v_dual_lshlrev_b32 v38, 2, v4 :: v_dual_cndmask_b32 v9, v3, v9, s0
	s_delay_alu instid0(VALU_DEP_4) | instskip(NEXT) | instid1(VALU_DEP_2)
	v_cmp_gt_i32_e64 s0, 32, v10
	v_dual_lshlrev_b32 v39, 2, v9 :: v_dual_bitop2_b32 v11, 2, v3 bitop3:0x14
	s_delay_alu instid0(VALU_DEP_2) | instskip(SKIP_1) | instid1(VALU_DEP_3)
	v_cndmask_b32_e64 v16, v3, v10, s0
	v_mul_lo_u32 v10, v0, s10
	v_cmp_gt_i32_e64 s0, 32, v11
	s_abs_i32 s10, s11
	s_delay_alu instid0(SALU_CYCLE_1) | instskip(SKIP_1) | instid1(SALU_CYCLE_2)
	s_cvt_f32_u32 s5, s10
	v_dual_cndmask_b32 v3, v3, v11, s0 :: v_dual_lshlrev_b32 v40, 2, v16
	v_rcp_iflag_f32_e32 v9, s5
	v_cmp_gt_u32_e64 s0, s11, v0
	s_delay_alu instid0(VALU_DEP_2) | instskip(SKIP_2) | instid1(TRANS32_DEP_1)
	v_dual_mov_b32 v11, v5 :: v_dual_lshlrev_b32 v41, 2, v3
	v_dual_add_nc_u32 v14, s18, v10 :: v_dual_bitop2_b32 v3, 2, v0 bitop3:0x54
	v_or_b32_e32 v4, 4, v0
	v_readfirstlane_b32 s26, v9
	s_and_b32 s20, s0, vcc_lo
	v_cmp_gt_u32_e64 s1, s11, v3
	v_dual_add_nc_u32 v16, s18, v14 :: v_dual_bitop2_b32 v3, 6, v0 bitop3:0x54
	v_cmp_gt_u32_e64 s2, s11, v4
	v_or_b32_e32 v4, 8, v0
	s_mul_f32 s0, s26, 0x4f7ffffe
	v_add_nc_u32_e32 v18, s18, v16
	v_cmp_gt_u32_e64 s3, s11, v3
	v_or_b32_e32 v3, 10, v0
	v_cmp_gt_u32_e64 s4, s11, v4
	s_delay_alu instid0(VALU_DEP_4) | instskip(SKIP_1) | instid1(VALU_DEP_4)
	v_dual_add_nc_u32 v20, s18, v18 :: v_dual_bitop2_b32 v4, 12, v0 bitop3:0x54
	v_mov_b32_e32 v21, v5
	v_cmp_gt_u32_e64 s5, s11, v3
	s_cvt_u32_f32 s0, s0
	v_cmp_gt_u32_e64 s6, s11, v4
	v_add_nc_u32_e32 v22, s18, v20
	v_or_b32_e32 v3, 14, v0
	s_and_b32 s1, vcc_lo, s1
	s_and_b32 s2, vcc_lo, s2
	s_and_b32 s3, vcc_lo, s3
	v_dual_mov_b32 v25, v5 :: v_dual_add_nc_u32 v24, s18, v22
	v_cmp_gt_u32_e64 s7, s11, v3
	s_and_b32 s4, vcc_lo, s4
	s_and_b32 s5, vcc_lo, s5
	v_add_nc_u32_e32 v26, s18, v24
	s_sub_co_i32 s18, 0, s10
	s_and_b32 s6, vcc_lo, s6
	s_mul_i32 s18, s18, s0
	s_and_b32 s7, vcc_lo, s7
	s_mul_hi_u32 s18, s0, s18
	s_mov_b32 s26, s19
	s_add_co_i32 s18, s0, s18
	s_branch .LBB52_10
.LBB52_8:                               ;   in Loop: Header=BB52_10 Depth=1
	s_wait_xcnt 0x0
	s_or_b32 exec_lo, exec_lo, s27
	s_wait_dscnt 0x0
	v_mov_b32_e32 v3, 1
.LBB52_9:                               ;   in Loop: Header=BB52_10 Depth=1
	s_or_b32 exec_lo, exec_lo, s0
	ds_bpermute_b32 v4, v38, v44
	s_wait_storecnt_dscnt 0x0
	v_dual_add_nc_u32 v2, v3, v2 :: v_dual_min_i32 v4, v4, v44
	ds_bpermute_b32 v9, v39, v4
	s_wait_dscnt 0x0
	v_min_i32_e32 v4, v9, v4
	ds_bpermute_b32 v9, v40, v4
	s_wait_dscnt 0x0
	v_min_i32_e32 v4, v9, v4
	;; [unrolled: 3-line block ×4, first 2 shown]
	ds_bpermute_b32 v45, v42, v4
	s_wait_dscnt 0x0
	v_cmp_le_i32_e32 vcc_lo, s9, v45
	s_or_b32 s26, vcc_lo, s26
	s_delay_alu instid0(SALU_CYCLE_1)
	s_and_not1_b32 exec_lo, exec_lo, s26
	s_cbranch_execz .LBB52_59
.LBB52_10:                              ; =>This Loop Header: Depth=1
                                        ;     Child Loop BB52_13 Depth 2
	v_dual_mov_b32 v44, s9 :: v_dual_add_nc_u32 v3, v8, v0
	v_mov_b32_e32 v31, v33
	s_mov_b32 s27, exec_lo
	ds_store_b8 v32, v5 offset:8192
	ds_store_2addr_b32 v37, v5, v5 offset1:2
	ds_store_2addr_b32 v37, v5, v5 offset0:4 offset1:6
	ds_store_2addr_b32 v37, v5, v5 offset0:8 offset1:10
	;; [unrolled: 1-line block ×3, first 2 shown]
	s_wait_dscnt 0x0
	v_cmpx_lt_i32_e64 v3, v33
	s_cbranch_execz .LBB52_18
; %bb.11:                               ;   in Loop: Header=BB52_10 Depth=1
	v_dual_mov_b32 v44, s9 :: v_dual_ashrrev_i32 v9, 31, v8
	v_mul_lo_u32 v30, v45, s11
	v_mov_b32_e32 v31, v33
	s_mov_b32 s28, 0
	s_delay_alu instid0(VALU_DEP_3) | instskip(NEXT) | instid1(VALU_DEP_1)
	v_add_nc_u64_e32 v[8:9], v[0:1], v[8:9]
	v_lshlrev_b64_e32 v[28:29], 2, v[8:9]
	s_delay_alu instid0(VALU_DEP_1)
	v_add_nc_u64_e32 v[8:9], s[16:17], v[28:29]
	v_add_nc_u64_e32 v[28:29], s[14:15], v[28:29]
	s_branch .LBB52_13
.LBB52_12:                              ;   in Loop: Header=BB52_13 Depth=2
	s_wait_xcnt 0x0
	s_or_b32 exec_lo, exec_lo, s0
	v_add_nc_u32_e32 v3, 2, v3
	s_xor_b32 s29, vcc_lo, -1
	v_add_nc_u64_e32 v[8:9], 8, v[8:9]
	v_add_nc_u64_e32 v[28:29], 8, v[28:29]
	s_delay_alu instid0(VALU_DEP_3) | instskip(SKIP_1) | instid1(SALU_CYCLE_1)
	v_cmp_ge_i32_e64 s0, v3, v33
	s_or_b32 s0, s29, s0
	s_and_b32 s0, exec_lo, s0
	s_delay_alu instid0(SALU_CYCLE_1) | instskip(NEXT) | instid1(SALU_CYCLE_1)
	s_or_b32 s28, s0, s28
	s_and_not1_b32 exec_lo, exec_lo, s28
	s_cbranch_execz .LBB52_17
.LBB52_13:                              ;   Parent Loop BB52_10 Depth=1
                                        ; =>  This Inner Loop Header: Depth=2
	global_load_b32 v4, v[8:9], off
	s_wait_loadcnt 0x0
	v_subrev_nc_u32_e32 v46, s24, v4
	s_delay_alu instid0(VALU_DEP_1) | instskip(NEXT) | instid1(VALU_DEP_1)
	v_sub_nc_u32_e32 v4, 0, v46
	v_max_i32_e32 v4, v46, v4
	s_delay_alu instid0(VALU_DEP_1) | instskip(NEXT) | instid1(VALU_DEP_1)
	v_mul_u64_e32 v[48:49], s[18:19], v[4:5]
	v_mul_lo_u32 v47, v49, s10
	s_delay_alu instid0(VALU_DEP_1) | instskip(NEXT) | instid1(VALU_DEP_1)
	v_dual_sub_nc_u32 v4, v4, v47 :: v_dual_add_nc_u32 v47, 1, v49
	v_cmp_le_u32_e32 vcc_lo, s10, v4
	s_delay_alu instid0(VALU_DEP_2) | instskip(SKIP_1) | instid1(VALU_DEP_1)
	v_dual_cndmask_b32 v47, v49, v47, vcc_lo :: v_dual_ashrrev_i32 v49, 31, v46
	v_subrev_nc_u32_e32 v48, s10, v4
	v_dual_cndmask_b32 v4, v4, v48, vcc_lo :: v_dual_add_nc_u32 v48, 1, v47
	s_delay_alu instid0(VALU_DEP_1) | instskip(NEXT) | instid1(VALU_DEP_2)
	v_cmp_le_u32_e32 vcc_lo, s10, v4
	v_dual_cndmask_b32 v4, v47, v48, vcc_lo :: v_dual_bitop2_b32 v49, s21, v49 bitop3:0x14
	s_delay_alu instid0(VALU_DEP_1) | instskip(NEXT) | instid1(VALU_DEP_1)
	v_xor_b32_e32 v4, v4, v49
	v_dual_mov_b32 v4, v31 :: v_dual_sub_nc_u32 v47, v4, v49
	s_delay_alu instid0(VALU_DEP_1) | instskip(SKIP_3) | instid1(SALU_CYCLE_1)
	v_cmp_ne_u32_e64 s0, v47, v45
	v_cmp_eq_u32_e32 vcc_lo, v47, v45
	s_wait_xcnt 0x0
	s_and_saveexec_b32 s29, s0
	s_xor_b32 s0, exec_lo, s29
; %bb.14:                               ;   in Loop: Header=BB52_13 Depth=2
	v_min_i32_e32 v44, v47, v44
                                        ; implicit-def: $vgpr46
                                        ; implicit-def: $vgpr4
; %bb.15:                               ;   in Loop: Header=BB52_13 Depth=2
	s_or_saveexec_b32 s0, s0
	v_mov_b32_e32 v31, v3
	s_xor_b32 exec_lo, exec_lo, s0
	s_cbranch_execz .LBB52_12
; %bb.16:                               ;   in Loop: Header=BB52_13 Depth=2
	global_load_b32 v47, v[28:29], off
	v_sub_nc_u32_e32 v31, v46, v30
	s_delay_alu instid0(VALU_DEP_1)
	v_lshl_add_u32 v46, v31, 2, v34
	v_mov_b32_e32 v31, v4
	ds_store_b8 v32, v43 offset:8192
	s_wait_loadcnt 0x0
	ds_store_b32 v46, v47
	s_branch .LBB52_12
.LBB52_17:                              ;   in Loop: Header=BB52_10 Depth=1
	s_or_b32 exec_lo, exec_lo, s28
.LBB52_18:                              ;   in Loop: Header=BB52_10 Depth=1
	s_delay_alu instid0(SALU_CYCLE_1)
	s_or_b32 exec_lo, exec_lo, s27
	ds_bpermute_b32 v3, v35, v31
	s_wait_dscnt 0x0
	ds_load_u8 v4, v32 offset:8192
	v_min_i32_e32 v3, v3, v31
	ds_bpermute_b32 v8, v36, v3
	s_wait_dscnt 0x1
	v_and_b32_e32 v3, 1, v4
	s_delay_alu instid0(VALU_DEP_1)
	v_cmp_eq_u32_e32 vcc_lo, 1, v3
	v_mov_b32_e32 v3, 0
	s_and_saveexec_b32 s0, vcc_lo
	s_cbranch_execz .LBB52_9
; %bb.19:                               ;   in Loop: Header=BB52_10 Depth=1
	v_ashrrev_i32_e32 v3, 31, v2
	s_delay_alu instid0(VALU_DEP_1) | instskip(SKIP_3) | instid1(VALU_DEP_1)
	v_mul_u64_e32 v[28:29], s[22:23], v[2:3]
	v_add_nc_u32_e32 v3, s25, v45
	global_store_b32 v2, v3, s[12:13] scale_offset
	v_lshlrev_b64_e32 v[28:29], 2, v[28:29]
	v_add_nc_u64_e32 v[30:31], v[6:7], v[28:29]
	v_add_nc_u64_e32 v[28:29], v[12:13], v[28:29]
	s_wait_xcnt 0x0
	s_and_saveexec_b32 s27, s20
	s_cbranch_execz .LBB52_23
; %bb.20:                               ;   in Loop: Header=BB52_10 Depth=1
	ds_load_b32 v3, v37
	s_and_b32 vcc_lo, exec_lo, s8
	s_cbranch_vccz .LBB52_50
; %bb.21:                               ;   in Loop: Header=BB52_10 Depth=1
	v_lshl_add_u64 v[46:47], v[10:11], 2, v[30:31]
	s_wait_dscnt 0x0
	global_store_b32 v[46:47], v3, off
	s_cbranch_execnz .LBB52_23
.LBB52_22:                              ;   in Loop: Header=BB52_10 Depth=1
	s_wait_dscnt 0x0
	global_store_b32 v[28:29], v3, off
.LBB52_23:                              ;   in Loop: Header=BB52_10 Depth=1
	s_wait_xcnt 0x0
	s_or_b32 exec_lo, exec_lo, s27
	s_and_saveexec_b32 s27, s1
	s_cbranch_execz .LBB52_27
; %bb.24:                               ;   in Loop: Header=BB52_10 Depth=1
	s_and_not1_b32 vcc_lo, exec_lo, s8
	s_cbranch_vccnz .LBB52_51
; %bb.25:                               ;   in Loop: Header=BB52_10 Depth=1
	s_wait_dscnt 0x0
	ds_load_b32 v3, v37 offset:8
	v_lshl_add_u64 v[46:47], v[14:15], 2, v[30:31]
	s_wait_dscnt 0x0
	global_store_b32 v[46:47], v3, off
	s_cbranch_execnz .LBB52_27
.LBB52_26:                              ;   in Loop: Header=BB52_10 Depth=1
	s_wait_dscnt 0x0
	s_wait_xcnt 0x0
	ds_load_b32 v3, v37 offset:8
	s_wait_dscnt 0x0
	global_store_b32 v[28:29], v3, off offset:8
.LBB52_27:                              ;   in Loop: Header=BB52_10 Depth=1
	s_wait_xcnt 0x0
	s_or_b32 exec_lo, exec_lo, s27
	s_and_saveexec_b32 s27, s2
	s_cbranch_execz .LBB52_31
; %bb.28:                               ;   in Loop: Header=BB52_10 Depth=1
	s_and_not1_b32 vcc_lo, exec_lo, s8
	s_cbranch_vccnz .LBB52_52
; %bb.29:                               ;   in Loop: Header=BB52_10 Depth=1
	s_wait_dscnt 0x0
	ds_load_b32 v3, v37 offset:16
	v_lshl_add_u64 v[46:47], v[16:17], 2, v[30:31]
	s_wait_dscnt 0x0
	global_store_b32 v[46:47], v3, off
	s_cbranch_execnz .LBB52_31
.LBB52_30:                              ;   in Loop: Header=BB52_10 Depth=1
	s_wait_dscnt 0x0
	s_wait_xcnt 0x0
	ds_load_b32 v3, v37 offset:16
	s_wait_dscnt 0x0
	global_store_b32 v[28:29], v3, off offset:16
.LBB52_31:                              ;   in Loop: Header=BB52_10 Depth=1
	s_wait_xcnt 0x0
	s_or_b32 exec_lo, exec_lo, s27
	s_and_saveexec_b32 s27, s3
	s_cbranch_execz .LBB52_35
; %bb.32:                               ;   in Loop: Header=BB52_10 Depth=1
	s_and_not1_b32 vcc_lo, exec_lo, s8
	s_cbranch_vccnz .LBB52_53
; %bb.33:                               ;   in Loop: Header=BB52_10 Depth=1
	s_wait_dscnt 0x0
	ds_load_b32 v3, v37 offset:24
	v_lshl_add_u64 v[46:47], v[18:19], 2, v[30:31]
	s_wait_dscnt 0x0
	global_store_b32 v[46:47], v3, off
	s_cbranch_execnz .LBB52_35
.LBB52_34:                              ;   in Loop: Header=BB52_10 Depth=1
	s_wait_dscnt 0x0
	s_wait_xcnt 0x0
	ds_load_b32 v3, v37 offset:24
	s_wait_dscnt 0x0
	global_store_b32 v[28:29], v3, off offset:24
.LBB52_35:                              ;   in Loop: Header=BB52_10 Depth=1
	s_wait_xcnt 0x0
	s_or_b32 exec_lo, exec_lo, s27
	s_and_saveexec_b32 s27, s4
	s_cbranch_execz .LBB52_39
; %bb.36:                               ;   in Loop: Header=BB52_10 Depth=1
	s_and_not1_b32 vcc_lo, exec_lo, s8
	s_cbranch_vccnz .LBB52_54
; %bb.37:                               ;   in Loop: Header=BB52_10 Depth=1
	s_wait_dscnt 0x0
	ds_load_b32 v3, v37 offset:32
	v_lshl_add_u64 v[46:47], v[20:21], 2, v[30:31]
	s_wait_dscnt 0x0
	global_store_b32 v[46:47], v3, off
	s_cbranch_execnz .LBB52_39
.LBB52_38:                              ;   in Loop: Header=BB52_10 Depth=1
	s_wait_dscnt 0x0
	s_wait_xcnt 0x0
	ds_load_b32 v3, v37 offset:32
	s_wait_dscnt 0x0
	global_store_b32 v[28:29], v3, off offset:32
.LBB52_39:                              ;   in Loop: Header=BB52_10 Depth=1
	s_wait_xcnt 0x0
	s_or_b32 exec_lo, exec_lo, s27
	s_and_saveexec_b32 s27, s5
	s_cbranch_execz .LBB52_43
; %bb.40:                               ;   in Loop: Header=BB52_10 Depth=1
	s_and_not1_b32 vcc_lo, exec_lo, s8
	s_cbranch_vccnz .LBB52_55
; %bb.41:                               ;   in Loop: Header=BB52_10 Depth=1
	s_wait_dscnt 0x0
	ds_load_b32 v3, v37 offset:40
	v_lshl_add_u64 v[46:47], v[22:23], 2, v[30:31]
	s_wait_dscnt 0x0
	global_store_b32 v[46:47], v3, off
	s_cbranch_execnz .LBB52_43
.LBB52_42:                              ;   in Loop: Header=BB52_10 Depth=1
	s_wait_dscnt 0x0
	s_wait_xcnt 0x0
	ds_load_b32 v3, v37 offset:40
	s_wait_dscnt 0x0
	global_store_b32 v[28:29], v3, off offset:40
.LBB52_43:                              ;   in Loop: Header=BB52_10 Depth=1
	s_wait_xcnt 0x0
	s_or_b32 exec_lo, exec_lo, s27
	s_and_saveexec_b32 s27, s6
	s_cbranch_execz .LBB52_47
; %bb.44:                               ;   in Loop: Header=BB52_10 Depth=1
	s_and_not1_b32 vcc_lo, exec_lo, s8
	s_cbranch_vccnz .LBB52_56
; %bb.45:                               ;   in Loop: Header=BB52_10 Depth=1
	s_wait_dscnt 0x0
	ds_load_b32 v3, v37 offset:48
	v_lshl_add_u64 v[46:47], v[24:25], 2, v[30:31]
	s_wait_dscnt 0x0
	global_store_b32 v[46:47], v3, off
	s_cbranch_execnz .LBB52_47
.LBB52_46:                              ;   in Loop: Header=BB52_10 Depth=1
	s_wait_dscnt 0x0
	s_wait_xcnt 0x0
	ds_load_b32 v3, v37 offset:48
	s_wait_dscnt 0x0
	global_store_b32 v[28:29], v3, off offset:48
.LBB52_47:                              ;   in Loop: Header=BB52_10 Depth=1
	s_wait_xcnt 0x0
	s_or_b32 exec_lo, exec_lo, s27
	s_and_saveexec_b32 s27, s7
	s_cbranch_execz .LBB52_8
; %bb.48:                               ;   in Loop: Header=BB52_10 Depth=1
	s_and_not1_b32 vcc_lo, exec_lo, s8
	s_cbranch_vccnz .LBB52_57
; %bb.49:                               ;   in Loop: Header=BB52_10 Depth=1
	s_wait_dscnt 0x0
	ds_load_b32 v3, v37 offset:56
	v_lshl_add_u64 v[30:31], v[26:27], 2, v[30:31]
	s_wait_dscnt 0x0
	global_store_b32 v[30:31], v3, off
	s_cbranch_execnz .LBB52_8
	s_branch .LBB52_58
.LBB52_50:                              ;   in Loop: Header=BB52_10 Depth=1
	s_branch .LBB52_22
.LBB52_51:                              ;   in Loop: Header=BB52_10 Depth=1
	s_branch .LBB52_26
.LBB52_52:                              ;   in Loop: Header=BB52_10 Depth=1
	s_branch .LBB52_30
.LBB52_53:                              ;   in Loop: Header=BB52_10 Depth=1
	s_branch .LBB52_34
.LBB52_54:                              ;   in Loop: Header=BB52_10 Depth=1
	s_branch .LBB52_38
.LBB52_55:                              ;   in Loop: Header=BB52_10 Depth=1
	s_branch .LBB52_42
.LBB52_56:                              ;   in Loop: Header=BB52_10 Depth=1
	s_branch .LBB52_46
.LBB52_57:                              ;   in Loop: Header=BB52_10 Depth=1
.LBB52_58:                              ;   in Loop: Header=BB52_10 Depth=1
	s_wait_dscnt 0x0
	s_wait_xcnt 0x0
	ds_load_b32 v3, v37 offset:56
	s_wait_dscnt 0x0
	global_store_b32 v[28:29], v3, off offset:56
	s_branch .LBB52_8
.LBB52_59:
	s_endpgm
	.section	.rodata,"a",@progbits
	.p2align	6, 0x0
	.amdhsa_kernel _ZN9rocsparseL44csr2gebsr_wavefront_per_row_multipass_kernelILi256ELi16ELi16ELi32EfEEv20rocsparse_direction_iiiiii21rocsparse_index_base_PKT3_PKiS7_S2_PS3_PiS9_
		.amdhsa_group_segment_fixed_size 8200
		.amdhsa_private_segment_fixed_size 0
		.amdhsa_kernarg_size 88
		.amdhsa_user_sgpr_count 2
		.amdhsa_user_sgpr_dispatch_ptr 0
		.amdhsa_user_sgpr_queue_ptr 0
		.amdhsa_user_sgpr_kernarg_segment_ptr 1
		.amdhsa_user_sgpr_dispatch_id 0
		.amdhsa_user_sgpr_kernarg_preload_length 0
		.amdhsa_user_sgpr_kernarg_preload_offset 0
		.amdhsa_user_sgpr_private_segment_size 0
		.amdhsa_wavefront_size32 1
		.amdhsa_uses_dynamic_stack 0
		.amdhsa_enable_private_segment 0
		.amdhsa_system_sgpr_workgroup_id_x 1
		.amdhsa_system_sgpr_workgroup_id_y 0
		.amdhsa_system_sgpr_workgroup_id_z 0
		.amdhsa_system_sgpr_workgroup_info 0
		.amdhsa_system_vgpr_workitem_id 0
		.amdhsa_next_free_vgpr 50
		.amdhsa_next_free_sgpr 30
		.amdhsa_named_barrier_count 0
		.amdhsa_reserve_vcc 1
		.amdhsa_float_round_mode_32 0
		.amdhsa_float_round_mode_16_64 0
		.amdhsa_float_denorm_mode_32 3
		.amdhsa_float_denorm_mode_16_64 3
		.amdhsa_fp16_overflow 0
		.amdhsa_memory_ordered 1
		.amdhsa_forward_progress 1
		.amdhsa_inst_pref_size 19
		.amdhsa_round_robin_scheduling 0
		.amdhsa_exception_fp_ieee_invalid_op 0
		.amdhsa_exception_fp_denorm_src 0
		.amdhsa_exception_fp_ieee_div_zero 0
		.amdhsa_exception_fp_ieee_overflow 0
		.amdhsa_exception_fp_ieee_underflow 0
		.amdhsa_exception_fp_ieee_inexact 0
		.amdhsa_exception_int_div_zero 0
	.end_amdhsa_kernel
	.section	.text._ZN9rocsparseL44csr2gebsr_wavefront_per_row_multipass_kernelILi256ELi16ELi16ELi32EfEEv20rocsparse_direction_iiiiii21rocsparse_index_base_PKT3_PKiS7_S2_PS3_PiS9_,"axG",@progbits,_ZN9rocsparseL44csr2gebsr_wavefront_per_row_multipass_kernelILi256ELi16ELi16ELi32EfEEv20rocsparse_direction_iiiiii21rocsparse_index_base_PKT3_PKiS7_S2_PS3_PiS9_,comdat
.Lfunc_end52:
	.size	_ZN9rocsparseL44csr2gebsr_wavefront_per_row_multipass_kernelILi256ELi16ELi16ELi32EfEEv20rocsparse_direction_iiiiii21rocsparse_index_base_PKT3_PKiS7_S2_PS3_PiS9_, .Lfunc_end52-_ZN9rocsparseL44csr2gebsr_wavefront_per_row_multipass_kernelILi256ELi16ELi16ELi32EfEEv20rocsparse_direction_iiiiii21rocsparse_index_base_PKT3_PKiS7_S2_PS3_PiS9_
                                        ; -- End function
	.set _ZN9rocsparseL44csr2gebsr_wavefront_per_row_multipass_kernelILi256ELi16ELi16ELi32EfEEv20rocsparse_direction_iiiiii21rocsparse_index_base_PKT3_PKiS7_S2_PS3_PiS9_.num_vgpr, 50
	.set _ZN9rocsparseL44csr2gebsr_wavefront_per_row_multipass_kernelILi256ELi16ELi16ELi32EfEEv20rocsparse_direction_iiiiii21rocsparse_index_base_PKT3_PKiS7_S2_PS3_PiS9_.num_agpr, 0
	.set _ZN9rocsparseL44csr2gebsr_wavefront_per_row_multipass_kernelILi256ELi16ELi16ELi32EfEEv20rocsparse_direction_iiiiii21rocsparse_index_base_PKT3_PKiS7_S2_PS3_PiS9_.numbered_sgpr, 30
	.set _ZN9rocsparseL44csr2gebsr_wavefront_per_row_multipass_kernelILi256ELi16ELi16ELi32EfEEv20rocsparse_direction_iiiiii21rocsparse_index_base_PKT3_PKiS7_S2_PS3_PiS9_.num_named_barrier, 0
	.set _ZN9rocsparseL44csr2gebsr_wavefront_per_row_multipass_kernelILi256ELi16ELi16ELi32EfEEv20rocsparse_direction_iiiiii21rocsparse_index_base_PKT3_PKiS7_S2_PS3_PiS9_.private_seg_size, 0
	.set _ZN9rocsparseL44csr2gebsr_wavefront_per_row_multipass_kernelILi256ELi16ELi16ELi32EfEEv20rocsparse_direction_iiiiii21rocsparse_index_base_PKT3_PKiS7_S2_PS3_PiS9_.uses_vcc, 1
	.set _ZN9rocsparseL44csr2gebsr_wavefront_per_row_multipass_kernelILi256ELi16ELi16ELi32EfEEv20rocsparse_direction_iiiiii21rocsparse_index_base_PKT3_PKiS7_S2_PS3_PiS9_.uses_flat_scratch, 0
	.set _ZN9rocsparseL44csr2gebsr_wavefront_per_row_multipass_kernelILi256ELi16ELi16ELi32EfEEv20rocsparse_direction_iiiiii21rocsparse_index_base_PKT3_PKiS7_S2_PS3_PiS9_.has_dyn_sized_stack, 0
	.set _ZN9rocsparseL44csr2gebsr_wavefront_per_row_multipass_kernelILi256ELi16ELi16ELi32EfEEv20rocsparse_direction_iiiiii21rocsparse_index_base_PKT3_PKiS7_S2_PS3_PiS9_.has_recursion, 0
	.set _ZN9rocsparseL44csr2gebsr_wavefront_per_row_multipass_kernelILi256ELi16ELi16ELi32EfEEv20rocsparse_direction_iiiiii21rocsparse_index_base_PKT3_PKiS7_S2_PS3_PiS9_.has_indirect_call, 0
	.section	.AMDGPU.csdata,"",@progbits
; Kernel info:
; codeLenInByte = 2360
; TotalNumSgprs: 32
; NumVgprs: 50
; ScratchSize: 0
; MemoryBound: 0
; FloatMode: 240
; IeeeMode: 1
; LDSByteSize: 8200 bytes/workgroup (compile time only)
; SGPRBlocks: 0
; VGPRBlocks: 3
; NumSGPRsForWavesPerEU: 32
; NumVGPRsForWavesPerEU: 50
; NamedBarCnt: 0
; Occupancy: 16
; WaveLimiterHint : 0
; COMPUTE_PGM_RSRC2:SCRATCH_EN: 0
; COMPUTE_PGM_RSRC2:USER_SGPR: 2
; COMPUTE_PGM_RSRC2:TRAP_HANDLER: 0
; COMPUTE_PGM_RSRC2:TGID_X_EN: 1
; COMPUTE_PGM_RSRC2:TGID_Y_EN: 0
; COMPUTE_PGM_RSRC2:TGID_Z_EN: 0
; COMPUTE_PGM_RSRC2:TIDIG_COMP_CNT: 0
	.section	.text._ZN9rocsparseL40csr2gebsr_block_per_row_multipass_kernelILj128ELj16ELj32EfEEv20rocsparse_direction_iiiiii21rocsparse_index_base_PKT2_PKiS7_S2_PS3_PiS9_,"axG",@progbits,_ZN9rocsparseL40csr2gebsr_block_per_row_multipass_kernelILj128ELj16ELj32EfEEv20rocsparse_direction_iiiiii21rocsparse_index_base_PKT2_PKiS7_S2_PS3_PiS9_,comdat
	.globl	_ZN9rocsparseL40csr2gebsr_block_per_row_multipass_kernelILj128ELj16ELj32EfEEv20rocsparse_direction_iiiiii21rocsparse_index_base_PKT2_PKiS7_S2_PS3_PiS9_ ; -- Begin function _ZN9rocsparseL40csr2gebsr_block_per_row_multipass_kernelILj128ELj16ELj32EfEEv20rocsparse_direction_iiiiii21rocsparse_index_base_PKT2_PKiS7_S2_PS3_PiS9_
	.p2align	8
	.type	_ZN9rocsparseL40csr2gebsr_block_per_row_multipass_kernelILj128ELj16ELj32EfEEv20rocsparse_direction_iiiiii21rocsparse_index_base_PKT2_PKiS7_S2_PS3_PiS9_,@function
_ZN9rocsparseL40csr2gebsr_block_per_row_multipass_kernelILj128ELj16ELj32EfEEv20rocsparse_direction_iiiiii21rocsparse_index_base_PKT2_PKiS7_S2_PS3_PiS9_: ; @_ZN9rocsparseL40csr2gebsr_block_per_row_multipass_kernelILj128ELj16ELj32EfEEv20rocsparse_direction_iiiiii21rocsparse_index_base_PKT2_PKiS7_S2_PS3_PiS9_
; %bb.0:
	s_clause 0x1
	s_load_b128 s[12:15], s[0:1], 0x10
	s_load_b64 s[6:7], s[0:1], 0x0
	s_bfe_u32 s2, ttmp6, 0x4000c
	s_and_b32 s3, ttmp6, 15
	s_add_co_i32 s2, s2, 1
	s_getreg_b32 s4, hwreg(HW_REG_IB_STS2, 6, 4)
	s_mul_i32 s2, ttmp9, s2
	v_dual_mov_b32 v18, 0 :: v_dual_lshrrev_b32 v1, 3, v0
	s_add_co_i32 s3, s3, s2
	s_cmp_eq_u32 s4, 0
	s_load_b64 s[8:9], s[0:1], 0x28
	s_cselect_b32 s4, ttmp9, s3
	v_mov_b32_e32 v26, 0
	s_wait_kmcnt 0x0
	v_mad_u32 v2, s13, s4, v1
	v_cmp_gt_i32_e32 vcc_lo, s13, v1
	s_delay_alu instid0(VALU_DEP_2) | instskip(SKIP_1) | instid1(SALU_CYCLE_1)
	v_cmp_gt_i32_e64 s2, s7, v2
	s_and_b32 s2, vcc_lo, s2
	s_and_saveexec_b32 s3, s2
	s_cbranch_execnz .LBB53_3
; %bb.1:
	s_or_b32 exec_lo, exec_lo, s3
	s_and_saveexec_b32 s3, s2
	s_cbranch_execnz .LBB53_4
.LBB53_2:
	s_or_b32 exec_lo, exec_lo, s3
	s_cmp_lt_i32 s12, 1
	s_cbranch_scc0 .LBB53_5
	s_branch .LBB53_51
.LBB53_3:
	global_load_b32 v3, v2, s[8:9] scale_offset
	s_wait_loadcnt 0x0
	v_subrev_nc_u32_e32 v26, s15, v3
	s_or_b32 exec_lo, exec_lo, s3
	s_and_saveexec_b32 s3, s2
	s_cbranch_execz .LBB53_2
.LBB53_4:
	global_load_b32 v2, v2, s[8:9] offset:4 scale_offset
	s_wait_loadcnt 0x0
	v_subrev_nc_u32_e32 v18, s15, v2
	s_or_b32 exec_lo, exec_lo, s3
	s_cmp_lt_i32 s12, 1
	s_cbranch_scc1 .LBB53_51
.LBB53_5:
	s_clause 0x3
	s_load_b128 s[8:11], s[0:1], 0x40
	s_load_b64 s[20:21], s[0:1], 0x50
	s_load_b96 s[16:18], s[0:1], 0x30
	s_load_b64 s[22:23], s[0:1], 0x20
	v_mbcnt_lo_u32_b32 v5, -1, 0
	s_ashr_i32 s5, s4, 31
	v_dual_lshlrev_b32 v20, 7, v1 :: v_dual_bitop2_b32 v19, 7, v0 bitop3:0x40
	s_lshl_b64 s[4:5], s[4:5], 2
	v_dual_mov_b32 v3, 0 :: v_dual_lshlrev_b32 v2, 2, v1
	v_mul_lo_u32 v4, s14, v1
	v_xor_b32_e32 v1, 4, v5
	v_xor_b32_e32 v7, 1, v5
	s_delay_alu instid0(VALU_DEP_4)
	v_dual_mov_b32 v15, v3 :: v_dual_bitop2_b32 v6, 2, v5 bitop3:0x14
	v_lshl_or_b32 v22, v5, 2, 28
	v_mul_lo_u32 v8, v19, s13
	s_mov_b32 s24, s13
	v_dual_lshlrev_b32 v21, 2, v0 :: v_dual_lshlrev_b32 v14, 2, v19
	s_wait_kmcnt 0x0
	s_add_nc_u64 s[4:5], s[10:11], s[4:5]
	v_cmp_gt_u32_e64 s0, 64, v0
	s_load_b32 s10, s[4:5], 0x0
	s_wait_xcnt 0x0
	v_cmp_gt_i32_e64 s5, 32, v1
	v_cmp_gt_u32_e64 s1, 32, v0
	v_cmp_gt_u32_e64 s2, 16, v0
	;; [unrolled: 1-line block ×4, first 2 shown]
	v_cndmask_b32_e64 v1, v5, v1, s5
	v_cmp_gt_i32_e64 s5, 32, v6
	v_cmp_gt_u32_e64 s7, s14, v19
	s_mov_b32 s25, 0
	s_mov_b32 s26, s14
	v_dual_mov_b32 v13, v3 :: v_dual_add_nc_u32 v27, v14, v20
	v_cndmask_b32_e64 v6, v5, v6, s5
	v_cmp_gt_i32_e64 s5, 32, v7
	v_dual_mov_b32 v28, 1 :: v_dual_mov_b32 v16, 0
	s_delay_alu instid0(VALU_DEP_3) | instskip(NEXT) | instid1(VALU_DEP_3)
	v_dual_mov_b32 v9, v3 :: v_dual_lshlrev_b32 v24, 2, v6
	v_dual_cndmask_b32 v7, v5, v7, s5 :: v_dual_ashrrev_i32 v5, 31, v4
	s_wait_kmcnt 0x0
	s_sub_co_i32 s10, s10, s18
	s_cmp_lg_u32 s6, 0
	s_delay_alu instid0(VALU_DEP_1)
	v_dual_lshlrev_b32 v23, 2, v1 :: v_dual_lshlrev_b32 v25, 2, v7
	v_lshl_add_u64 v[6:7], v[4:5], 2, s[8:9]
	v_add_nc_u64_e32 v[4:5], s[8:9], v[2:3]
	s_cselect_b32 s9, -1, 0
	s_abs_i32 s19, s14
	v_or_b32_e32 v1, 8, v19
	s_cvt_f32_u32 s11, s19
	v_cmp_gt_u32_e64 s5, 2, v0
	v_cmp_eq_u32_e64 s6, 0, v0
	v_or_b32_e32 v2, 16, v19
	v_cmp_gt_u32_e64 s8, s14, v1
	v_rcp_iflag_f32_e32 v1, s11
	s_lshl_b32 s11, s13, 3
	s_ashr_i32 s27, s14, 31
	v_add_nc_u32_e32 v0, s11, v8
	s_mul_u64 s[28:29], s[26:27], s[24:25]
	s_and_b32 s26, vcc_lo, s7
	v_add_nc_u64_e32 v[6:7], v[6:7], v[14:15]
	v_readfirstlane_b32 s13, v1
	v_mov_b32_e32 v1, v3
	v_cmp_gt_u32_e64 s7, s14, v2
	v_dual_add_nc_u32 v10, s11, v0 :: v_dual_bitop2_b32 v2, 24, v19 bitop3:0x54
	s_mul_f32 s24, s13, 0x4f7ffffe
	v_mov_b32_e32 v11, v3
	s_and_b32 s13, vcc_lo, s7
	s_delay_alu instid0(VALU_DEP_2)
	v_cmp_gt_u32_e64 s7, s14, v2
	s_cvt_u32_f32 s24, s24
	v_add_nc_u32_e32 v12, s11, v10
	s_sub_co_i32 s11, 0, s19
	s_and_b32 s8, vcc_lo, s8
	s_mul_i32 s11, s11, s24
	s_and_b32 s30, vcc_lo, s7
	s_mul_hi_u32 s11, s24, s11
	s_delay_alu instid0(SALU_CYCLE_1)
	s_add_co_i32 s24, s24, s11
	s_branch .LBB53_7
.LBB53_6:                               ;   in Loop: Header=BB53_7 Depth=1
	s_or_b32 exec_lo, exec_lo, s11
	s_wait_dscnt 0x0
	s_barrier_signal -1
	s_barrier_wait -1
	ds_load_b32 v16, v3
	s_add_co_i32 s10, s7, s10
	s_wait_dscnt 0x0
	s_barrier_signal -1
	s_barrier_wait -1
	v_cmp_gt_i32_e32 vcc_lo, s12, v16
	s_cbranch_vccz .LBB53_51
.LBB53_7:                               ; =>This Loop Header: Depth=1
                                        ;     Child Loop BB53_10 Depth 2
	v_dual_mov_b32 v29, s12 :: v_dual_add_nc_u32 v14, v26, v19
	v_mov_b32_e32 v15, v18
	s_mov_b32 s11, exec_lo
	ds_store_b8 v3, v3 offset:2048
	ds_store_2addr_b32 v27, v3, v3 offset1:8
	ds_store_2addr_b32 v27, v3, v3 offset0:16 offset1:24
	s_wait_dscnt 0x0
	s_barrier_signal -1
	s_barrier_wait -1
	v_cmpx_lt_i32_e64 v14, v18
	s_cbranch_execz .LBB53_15
; %bb.8:                                ;   in Loop: Header=BB53_7 Depth=1
	v_mul_lo_u32 v17, v16, s14
	v_dual_mov_b32 v29, s12 :: v_dual_mov_b32 v15, v18
	s_mov_b32 s31, 0
	s_branch .LBB53_10
.LBB53_9:                               ;   in Loop: Header=BB53_10 Depth=2
	s_wait_xcnt 0x0
	s_or_b32 exec_lo, exec_lo, s7
	v_add_nc_u32_e32 v14, 8, v14
	s_xor_b32 s33, vcc_lo, -1
	s_delay_alu instid0(VALU_DEP_1) | instskip(SKIP_1) | instid1(SALU_CYCLE_1)
	v_cmp_ge_i32_e64 s7, v14, v18
	s_or_b32 s7, s33, s7
	s_and_b32 s7, exec_lo, s7
	s_delay_alu instid0(SALU_CYCLE_1) | instskip(NEXT) | instid1(SALU_CYCLE_1)
	s_or_b32 s31, s7, s31
	s_and_not1_b32 exec_lo, exec_lo, s31
	s_cbranch_execz .LBB53_14
.LBB53_10:                              ;   Parent Loop BB53_7 Depth=1
                                        ; =>  This Inner Loop Header: Depth=2
	global_load_b32 v2, v14, s[16:17] scale_offset
	s_wait_loadcnt 0x0
	v_subrev_nc_u32_e32 v26, s15, v2
	s_delay_alu instid0(VALU_DEP_1) | instskip(NEXT) | instid1(VALU_DEP_1)
	v_sub_nc_u32_e32 v2, 0, v26
	v_max_i32_e32 v2, v26, v2
	s_delay_alu instid0(VALU_DEP_1) | instskip(NEXT) | instid1(VALU_DEP_1)
	v_mul_u64_e32 v[30:31], s[24:25], v[2:3]
	v_mul_lo_u32 v30, v31, s19
	s_delay_alu instid0(VALU_DEP_1) | instskip(NEXT) | instid1(VALU_DEP_1)
	v_dual_sub_nc_u32 v2, v2, v30 :: v_dual_add_nc_u32 v30, 1, v31
	v_cmp_le_u32_e32 vcc_lo, s19, v2
	s_delay_alu instid0(VALU_DEP_2) | instskip(SKIP_1) | instid1(VALU_DEP_1)
	v_cndmask_b32_e32 v30, v31, v30, vcc_lo
	v_subrev_nc_u32_e32 v32, s19, v2
	v_dual_cndmask_b32 v2, v2, v32 :: v_dual_ashrrev_i32 v31, 31, v26
	s_delay_alu instid0(VALU_DEP_1) | instskip(NEXT) | instid1(VALU_DEP_2)
	v_dual_add_nc_u32 v32, 1, v30 :: v_dual_bitop2_b32 v31, s27, v31 bitop3:0x14
	v_cmp_le_u32_e32 vcc_lo, s19, v2
	s_delay_alu instid0(VALU_DEP_2) | instskip(NEXT) | instid1(VALU_DEP_1)
	v_cndmask_b32_e32 v2, v30, v32, vcc_lo
	v_xor_b32_e32 v2, v2, v31
	s_delay_alu instid0(VALU_DEP_1) | instskip(NEXT) | instid1(VALU_DEP_1)
	v_dual_sub_nc_u32 v30, v2, v31 :: v_dual_mov_b32 v2, v15
	v_cmp_ne_u32_e64 s7, v30, v16
	v_cmp_eq_u32_e32 vcc_lo, v30, v16
	s_wait_xcnt 0x0
	s_and_saveexec_b32 s33, s7
	s_delay_alu instid0(SALU_CYCLE_1)
	s_xor_b32 s7, exec_lo, s33
; %bb.11:                               ;   in Loop: Header=BB53_10 Depth=2
	v_min_i32_e32 v29, v30, v29
                                        ; implicit-def: $vgpr26
                                        ; implicit-def: $vgpr2
; %bb.12:                               ;   in Loop: Header=BB53_10 Depth=2
	s_or_saveexec_b32 s7, s7
	v_mov_b32_e32 v15, v14
	s_xor_b32 exec_lo, exec_lo, s7
	s_cbranch_execz .LBB53_9
; %bb.13:                               ;   in Loop: Header=BB53_10 Depth=2
	v_ashrrev_i32_e32 v15, 31, v14
	s_delay_alu instid0(VALU_DEP_1)
	v_lshl_add_u64 v[30:31], v[14:15], 2, s[22:23]
	v_sub_nc_u32_e32 v15, v26, v17
	global_load_b32 v30, v[30:31], off
	v_lshl_add_u32 v26, v15, 2, v20
	v_mov_b32_e32 v15, v2
	ds_store_b8 v3, v28 offset:2048
	s_wait_loadcnt 0x0
	ds_store_b32 v26, v30
	s_branch .LBB53_9
.LBB53_14:                              ;   in Loop: Header=BB53_7 Depth=1
	s_or_b32 exec_lo, exec_lo, s31
.LBB53_15:                              ;   in Loop: Header=BB53_7 Depth=1
	s_delay_alu instid0(SALU_CYCLE_1)
	s_or_b32 exec_lo, exec_lo, s11
	ds_bpermute_b32 v2, v23, v15
	s_wait_dscnt 0x0
	s_barrier_signal -1
	s_barrier_wait -1
	s_mov_b32 s7, 0
	v_min_i32_e32 v2, v2, v15
	ds_load_u8 v15, v3 offset:2048
	ds_bpermute_b32 v14, v24, v2
	s_wait_dscnt 0x0
	v_min_i32_e32 v2, v14, v2
	ds_bpermute_b32 v14, v25, v2
	s_wait_dscnt 0x0
	v_min_i32_e32 v2, v14, v2
	ds_bpermute_b32 v26, v22, v2
	v_and_b32_e32 v2, 1, v15
	s_delay_alu instid0(VALU_DEP_1)
	v_cmp_eq_u32_e32 vcc_lo, 0, v2
	s_cbranch_vccnz .LBB53_33
; %bb.16:                               ;   in Loop: Header=BB53_7 Depth=1
	s_ashr_i32 s11, s10, 31
	v_dual_add_nc_u32 v2, s18, v16 :: v_dual_mov_b32 v30, s10
	s_mul_u64 s[34:35], s[28:29], s[10:11]
	s_delay_alu instid0(SALU_CYCLE_1) | instskip(NEXT) | instid1(SALU_CYCLE_1)
	s_lshl_b64 s[34:35], s[34:35], 2
	v_add_nc_u64_e32 v[16:17], s[34:35], v[4:5]
	v_add_nc_u64_e32 v[14:15], s[34:35], v[6:7]
	global_store_b32 v30, v2, s[20:21] scale_offset
	s_wait_xcnt 0x0
	s_and_saveexec_b32 s7, s26
	s_cbranch_execz .LBB53_20
; %bb.17:                               ;   in Loop: Header=BB53_7 Depth=1
	ds_load_b32 v2, v27
	s_and_b32 vcc_lo, exec_lo, s9
	s_cbranch_vccz .LBB53_47
; %bb.18:                               ;   in Loop: Header=BB53_7 Depth=1
	v_lshl_add_u64 v[30:31], v[8:9], 2, v[16:17]
	s_wait_dscnt 0x0
	global_store_b32 v[30:31], v2, off
	s_cbranch_execnz .LBB53_20
.LBB53_19:                              ;   in Loop: Header=BB53_7 Depth=1
	s_wait_dscnt 0x0
	global_store_b32 v[14:15], v2, off
.LBB53_20:                              ;   in Loop: Header=BB53_7 Depth=1
	s_wait_xcnt 0x0
	s_or_b32 exec_lo, exec_lo, s7
	s_and_saveexec_b32 s7, s8
	s_cbranch_execz .LBB53_24
; %bb.21:                               ;   in Loop: Header=BB53_7 Depth=1
	s_wait_dscnt 0x0
	ds_load_b32 v2, v27 offset:32
	s_and_not1_b32 vcc_lo, exec_lo, s9
	s_cbranch_vccnz .LBB53_48
; %bb.22:                               ;   in Loop: Header=BB53_7 Depth=1
	v_lshl_add_u64 v[30:31], v[0:1], 2, v[16:17]
	s_wait_dscnt 0x0
	global_store_b32 v[30:31], v2, off
	s_cbranch_execnz .LBB53_24
.LBB53_23:                              ;   in Loop: Header=BB53_7 Depth=1
	s_wait_dscnt 0x0
	global_store_b32 v[14:15], v2, off offset:32
.LBB53_24:                              ;   in Loop: Header=BB53_7 Depth=1
	s_wait_xcnt 0x0
	s_or_b32 exec_lo, exec_lo, s7
	s_and_saveexec_b32 s7, s13
	s_cbranch_execz .LBB53_28
; %bb.25:                               ;   in Loop: Header=BB53_7 Depth=1
	s_wait_dscnt 0x0
	ds_load_b32 v2, v27 offset:64
	s_and_not1_b32 vcc_lo, exec_lo, s9
	s_cbranch_vccnz .LBB53_49
; %bb.26:                               ;   in Loop: Header=BB53_7 Depth=1
	v_lshl_add_u64 v[30:31], v[10:11], 2, v[16:17]
	s_wait_dscnt 0x0
	global_store_b32 v[30:31], v2, off
	s_cbranch_execnz .LBB53_28
.LBB53_27:                              ;   in Loop: Header=BB53_7 Depth=1
	s_wait_dscnt 0x0
	global_store_b32 v[14:15], v2, off offset:64
.LBB53_28:                              ;   in Loop: Header=BB53_7 Depth=1
	s_wait_xcnt 0x0
	s_or_b32 exec_lo, exec_lo, s7
	s_and_saveexec_b32 s7, s30
	s_cbranch_execz .LBB53_32
; %bb.29:                               ;   in Loop: Header=BB53_7 Depth=1
	s_wait_dscnt 0x0
	ds_load_b32 v2, v27 offset:96
	s_and_not1_b32 vcc_lo, exec_lo, s9
	s_cbranch_vccnz .LBB53_50
; %bb.30:                               ;   in Loop: Header=BB53_7 Depth=1
	v_lshl_add_u64 v[16:17], v[12:13], 2, v[16:17]
	s_wait_dscnt 0x0
	global_store_b32 v[16:17], v2, off
	s_cbranch_execnz .LBB53_32
.LBB53_31:                              ;   in Loop: Header=BB53_7 Depth=1
	s_wait_dscnt 0x0
	global_store_b32 v[14:15], v2, off offset:96
.LBB53_32:                              ;   in Loop: Header=BB53_7 Depth=1
	s_wait_xcnt 0x0
	s_or_b32 exec_lo, exec_lo, s7
	s_mov_b32 s7, 1
.LBB53_33:                              ;   in Loop: Header=BB53_7 Depth=1
	s_wait_storecnt_dscnt 0x0
	s_barrier_signal -1
	s_barrier_wait -1
	ds_store_b32 v21, v29
	s_wait_dscnt 0x0
	s_barrier_signal -1
	s_barrier_wait -1
	s_and_saveexec_b32 s11, s0
	s_cbranch_execz .LBB53_35
; %bb.34:                               ;   in Loop: Header=BB53_7 Depth=1
	ds_load_2addr_stride64_b32 v[14:15], v21 offset1:1
	s_wait_dscnt 0x0
	v_min_i32_e32 v2, v15, v14
	ds_store_b32 v21, v2
.LBB53_35:                              ;   in Loop: Header=BB53_7 Depth=1
	s_or_b32 exec_lo, exec_lo, s11
	s_wait_dscnt 0x0
	s_barrier_signal -1
	s_barrier_wait -1
	s_and_saveexec_b32 s11, s1
	s_cbranch_execz .LBB53_37
; %bb.36:                               ;   in Loop: Header=BB53_7 Depth=1
	ds_load_2addr_b32 v[14:15], v21 offset1:32
	s_wait_dscnt 0x0
	v_min_i32_e32 v2, v15, v14
	ds_store_b32 v21, v2
.LBB53_37:                              ;   in Loop: Header=BB53_7 Depth=1
	s_or_b32 exec_lo, exec_lo, s11
	s_wait_dscnt 0x0
	s_barrier_signal -1
	s_barrier_wait -1
	s_and_saveexec_b32 s11, s2
	s_cbranch_execz .LBB53_39
; %bb.38:                               ;   in Loop: Header=BB53_7 Depth=1
	ds_load_2addr_b32 v[14:15], v21 offset1:16
	s_wait_dscnt 0x0
	v_min_i32_e32 v2, v15, v14
	ds_store_b32 v21, v2
.LBB53_39:                              ;   in Loop: Header=BB53_7 Depth=1
	;; [unrolled: 12-line block ×5, first 2 shown]
	s_or_b32 exec_lo, exec_lo, s11
	s_wait_dscnt 0x0
	s_barrier_signal -1
	s_barrier_wait -1
	s_and_saveexec_b32 s11, s6
	s_cbranch_execz .LBB53_6
; %bb.46:                               ;   in Loop: Header=BB53_7 Depth=1
	ds_load_b64 v[14:15], v3
	s_wait_dscnt 0x0
	v_min_i32_e32 v2, v15, v14
	ds_store_b32 v3, v2
	s_branch .LBB53_6
.LBB53_47:                              ;   in Loop: Header=BB53_7 Depth=1
	s_branch .LBB53_19
.LBB53_48:                              ;   in Loop: Header=BB53_7 Depth=1
	s_branch .LBB53_23
.LBB53_49:                              ;   in Loop: Header=BB53_7 Depth=1
	s_branch .LBB53_27
.LBB53_50:                              ;   in Loop: Header=BB53_7 Depth=1
	s_branch .LBB53_31
.LBB53_51:
	s_endpgm
	.section	.rodata,"a",@progbits
	.p2align	6, 0x0
	.amdhsa_kernel _ZN9rocsparseL40csr2gebsr_block_per_row_multipass_kernelILj128ELj16ELj32EfEEv20rocsparse_direction_iiiiii21rocsparse_index_base_PKT2_PKiS7_S2_PS3_PiS9_
		.amdhsa_group_segment_fixed_size 2052
		.amdhsa_private_segment_fixed_size 0
		.amdhsa_kernarg_size 88
		.amdhsa_user_sgpr_count 2
		.amdhsa_user_sgpr_dispatch_ptr 0
		.amdhsa_user_sgpr_queue_ptr 0
		.amdhsa_user_sgpr_kernarg_segment_ptr 1
		.amdhsa_user_sgpr_dispatch_id 0
		.amdhsa_user_sgpr_kernarg_preload_length 0
		.amdhsa_user_sgpr_kernarg_preload_offset 0
		.amdhsa_user_sgpr_private_segment_size 0
		.amdhsa_wavefront_size32 1
		.amdhsa_uses_dynamic_stack 0
		.amdhsa_enable_private_segment 0
		.amdhsa_system_sgpr_workgroup_id_x 1
		.amdhsa_system_sgpr_workgroup_id_y 0
		.amdhsa_system_sgpr_workgroup_id_z 0
		.amdhsa_system_sgpr_workgroup_info 0
		.amdhsa_system_vgpr_workitem_id 0
		.amdhsa_next_free_vgpr 33
		.amdhsa_next_free_sgpr 36
		.amdhsa_named_barrier_count 0
		.amdhsa_reserve_vcc 1
		.amdhsa_float_round_mode_32 0
		.amdhsa_float_round_mode_16_64 0
		.amdhsa_float_denorm_mode_32 3
		.amdhsa_float_denorm_mode_16_64 3
		.amdhsa_fp16_overflow 0
		.amdhsa_memory_ordered 1
		.amdhsa_forward_progress 1
		.amdhsa_inst_pref_size 16
		.amdhsa_round_robin_scheduling 0
		.amdhsa_exception_fp_ieee_invalid_op 0
		.amdhsa_exception_fp_denorm_src 0
		.amdhsa_exception_fp_ieee_div_zero 0
		.amdhsa_exception_fp_ieee_overflow 0
		.amdhsa_exception_fp_ieee_underflow 0
		.amdhsa_exception_fp_ieee_inexact 0
		.amdhsa_exception_int_div_zero 0
	.end_amdhsa_kernel
	.section	.text._ZN9rocsparseL40csr2gebsr_block_per_row_multipass_kernelILj128ELj16ELj32EfEEv20rocsparse_direction_iiiiii21rocsparse_index_base_PKT2_PKiS7_S2_PS3_PiS9_,"axG",@progbits,_ZN9rocsparseL40csr2gebsr_block_per_row_multipass_kernelILj128ELj16ELj32EfEEv20rocsparse_direction_iiiiii21rocsparse_index_base_PKT2_PKiS7_S2_PS3_PiS9_,comdat
.Lfunc_end53:
	.size	_ZN9rocsparseL40csr2gebsr_block_per_row_multipass_kernelILj128ELj16ELj32EfEEv20rocsparse_direction_iiiiii21rocsparse_index_base_PKT2_PKiS7_S2_PS3_PiS9_, .Lfunc_end53-_ZN9rocsparseL40csr2gebsr_block_per_row_multipass_kernelILj128ELj16ELj32EfEEv20rocsparse_direction_iiiiii21rocsparse_index_base_PKT2_PKiS7_S2_PS3_PiS9_
                                        ; -- End function
	.set _ZN9rocsparseL40csr2gebsr_block_per_row_multipass_kernelILj128ELj16ELj32EfEEv20rocsparse_direction_iiiiii21rocsparse_index_base_PKT2_PKiS7_S2_PS3_PiS9_.num_vgpr, 33
	.set _ZN9rocsparseL40csr2gebsr_block_per_row_multipass_kernelILj128ELj16ELj32EfEEv20rocsparse_direction_iiiiii21rocsparse_index_base_PKT2_PKiS7_S2_PS3_PiS9_.num_agpr, 0
	.set _ZN9rocsparseL40csr2gebsr_block_per_row_multipass_kernelILj128ELj16ELj32EfEEv20rocsparse_direction_iiiiii21rocsparse_index_base_PKT2_PKiS7_S2_PS3_PiS9_.numbered_sgpr, 36
	.set _ZN9rocsparseL40csr2gebsr_block_per_row_multipass_kernelILj128ELj16ELj32EfEEv20rocsparse_direction_iiiiii21rocsparse_index_base_PKT2_PKiS7_S2_PS3_PiS9_.num_named_barrier, 0
	.set _ZN9rocsparseL40csr2gebsr_block_per_row_multipass_kernelILj128ELj16ELj32EfEEv20rocsparse_direction_iiiiii21rocsparse_index_base_PKT2_PKiS7_S2_PS3_PiS9_.private_seg_size, 0
	.set _ZN9rocsparseL40csr2gebsr_block_per_row_multipass_kernelILj128ELj16ELj32EfEEv20rocsparse_direction_iiiiii21rocsparse_index_base_PKT2_PKiS7_S2_PS3_PiS9_.uses_vcc, 1
	.set _ZN9rocsparseL40csr2gebsr_block_per_row_multipass_kernelILj128ELj16ELj32EfEEv20rocsparse_direction_iiiiii21rocsparse_index_base_PKT2_PKiS7_S2_PS3_PiS9_.uses_flat_scratch, 0
	.set _ZN9rocsparseL40csr2gebsr_block_per_row_multipass_kernelILj128ELj16ELj32EfEEv20rocsparse_direction_iiiiii21rocsparse_index_base_PKT2_PKiS7_S2_PS3_PiS9_.has_dyn_sized_stack, 0
	.set _ZN9rocsparseL40csr2gebsr_block_per_row_multipass_kernelILj128ELj16ELj32EfEEv20rocsparse_direction_iiiiii21rocsparse_index_base_PKT2_PKiS7_S2_PS3_PiS9_.has_recursion, 0
	.set _ZN9rocsparseL40csr2gebsr_block_per_row_multipass_kernelILj128ELj16ELj32EfEEv20rocsparse_direction_iiiiii21rocsparse_index_base_PKT2_PKiS7_S2_PS3_PiS9_.has_indirect_call, 0
	.section	.AMDGPU.csdata,"",@progbits
; Kernel info:
; codeLenInByte = 2012
; TotalNumSgprs: 38
; NumVgprs: 33
; ScratchSize: 0
; MemoryBound: 0
; FloatMode: 240
; IeeeMode: 1
; LDSByteSize: 2052 bytes/workgroup (compile time only)
; SGPRBlocks: 0
; VGPRBlocks: 2
; NumSGPRsForWavesPerEU: 38
; NumVGPRsForWavesPerEU: 33
; NamedBarCnt: 0
; Occupancy: 16
; WaveLimiterHint : 0
; COMPUTE_PGM_RSRC2:SCRATCH_EN: 0
; COMPUTE_PGM_RSRC2:USER_SGPR: 2
; COMPUTE_PGM_RSRC2:TRAP_HANDLER: 0
; COMPUTE_PGM_RSRC2:TGID_X_EN: 1
; COMPUTE_PGM_RSRC2:TGID_Y_EN: 0
; COMPUTE_PGM_RSRC2:TGID_Z_EN: 0
; COMPUTE_PGM_RSRC2:TIDIG_COMP_CNT: 0
	.section	.text._ZN9rocsparseL40csr2gebsr_block_per_row_multipass_kernelILj128ELj16ELj64EfEEv20rocsparse_direction_iiiiii21rocsparse_index_base_PKT2_PKiS7_S2_PS3_PiS9_,"axG",@progbits,_ZN9rocsparseL40csr2gebsr_block_per_row_multipass_kernelILj128ELj16ELj64EfEEv20rocsparse_direction_iiiiii21rocsparse_index_base_PKT2_PKiS7_S2_PS3_PiS9_,comdat
	.globl	_ZN9rocsparseL40csr2gebsr_block_per_row_multipass_kernelILj128ELj16ELj64EfEEv20rocsparse_direction_iiiiii21rocsparse_index_base_PKT2_PKiS7_S2_PS3_PiS9_ ; -- Begin function _ZN9rocsparseL40csr2gebsr_block_per_row_multipass_kernelILj128ELj16ELj64EfEEv20rocsparse_direction_iiiiii21rocsparse_index_base_PKT2_PKiS7_S2_PS3_PiS9_
	.p2align	8
	.type	_ZN9rocsparseL40csr2gebsr_block_per_row_multipass_kernelILj128ELj16ELj64EfEEv20rocsparse_direction_iiiiii21rocsparse_index_base_PKT2_PKiS7_S2_PS3_PiS9_,@function
_ZN9rocsparseL40csr2gebsr_block_per_row_multipass_kernelILj128ELj16ELj64EfEEv20rocsparse_direction_iiiiii21rocsparse_index_base_PKT2_PKiS7_S2_PS3_PiS9_: ; @_ZN9rocsparseL40csr2gebsr_block_per_row_multipass_kernelILj128ELj16ELj64EfEEv20rocsparse_direction_iiiiii21rocsparse_index_base_PKT2_PKiS7_S2_PS3_PiS9_
; %bb.0:
	s_clause 0x1
	s_load_b128 s[12:15], s[0:1], 0x10
	s_load_b64 s[6:7], s[0:1], 0x0
	s_bfe_u32 s2, ttmp6, 0x4000c
	s_and_b32 s3, ttmp6, 15
	s_add_co_i32 s2, s2, 1
	s_getreg_b32 s4, hwreg(HW_REG_IB_STS2, 6, 4)
	s_mul_i32 s2, ttmp9, s2
	v_dual_mov_b32 v26, 0 :: v_dual_lshrrev_b32 v1, 3, v0
	s_add_co_i32 s3, s3, s2
	s_cmp_eq_u32 s4, 0
	s_load_b64 s[8:9], s[0:1], 0x28
	s_cselect_b32 s4, ttmp9, s3
	v_mov_b32_e32 v34, 0
	s_wait_kmcnt 0x0
	v_mad_u32 v2, s13, s4, v1
	v_cmp_gt_i32_e32 vcc_lo, s13, v1
	s_delay_alu instid0(VALU_DEP_2) | instskip(SKIP_1) | instid1(SALU_CYCLE_1)
	v_cmp_gt_i32_e64 s2, s7, v2
	s_and_b32 s2, vcc_lo, s2
	s_and_saveexec_b32 s3, s2
	s_cbranch_execnz .LBB54_3
; %bb.1:
	s_or_b32 exec_lo, exec_lo, s3
	s_and_saveexec_b32 s3, s2
	s_cbranch_execnz .LBB54_4
.LBB54_2:
	s_or_b32 exec_lo, exec_lo, s3
	s_cmp_lt_i32 s12, 1
	s_cbranch_scc0 .LBB54_5
	s_branch .LBB54_71
.LBB54_3:
	global_load_b32 v3, v2, s[8:9] scale_offset
	s_wait_loadcnt 0x0
	v_subrev_nc_u32_e32 v34, s15, v3
	s_or_b32 exec_lo, exec_lo, s3
	s_and_saveexec_b32 s3, s2
	s_cbranch_execz .LBB54_2
.LBB54_4:
	global_load_b32 v2, v2, s[8:9] offset:4 scale_offset
	s_wait_loadcnt 0x0
	v_subrev_nc_u32_e32 v26, s15, v2
	s_or_b32 exec_lo, exec_lo, s3
	s_cmp_lt_i32 s12, 1
	s_cbranch_scc1 .LBB54_71
.LBB54_5:
	s_clause 0x3
	s_load_b128 s[8:11], s[0:1], 0x40
	s_load_b64 s[20:21], s[0:1], 0x50
	s_load_b96 s[16:18], s[0:1], 0x30
	s_load_b64 s[22:23], s[0:1], 0x20
	v_mbcnt_lo_u32_b32 v5, -1, 0
	s_ashr_i32 s5, s4, 31
	v_dual_lshlrev_b32 v28, 8, v1 :: v_dual_bitop2_b32 v27, 7, v0 bitop3:0x40
	s_lshl_b64 s[4:5], s[4:5], 2
	v_dual_mov_b32 v3, 0 :: v_dual_lshlrev_b32 v2, 2, v1
	v_mul_lo_u32 v4, s14, v1
	v_xor_b32_e32 v1, 4, v5
	v_xor_b32_e32 v7, 1, v5
	s_delay_alu instid0(VALU_DEP_4)
	v_dual_mov_b32 v23, v3 :: v_dual_bitop2_b32 v6, 2, v5 bitop3:0x14
	v_mul_lo_u32 v8, v27, s13
	v_lshl_or_b32 v30, v5, 2, 28
	v_dual_lshlrev_b32 v29, 2, v0 :: v_dual_lshlrev_b32 v22, 2, v27
	s_wait_kmcnt 0x0
	s_add_nc_u64 s[4:5], s[10:11], s[4:5]
	v_cmp_gt_u32_e64 s0, 64, v0
	s_load_b32 s10, s[4:5], 0x0
	s_wait_xcnt 0x0
	v_cmp_gt_i32_e64 s5, 32, v1
	v_cmp_gt_u32_e64 s1, 32, v0
	v_cmp_gt_u32_e64 s2, 16, v0
	;; [unrolled: 1-line block ×4, first 2 shown]
	v_cndmask_b32_e64 v1, v5, v1, s5
	v_cmp_gt_i32_e64 s5, 32, v6
	v_cmp_gt_u32_e64 s7, s14, v27
	s_mov_b32 s25, 0
	s_mov_b32 s24, s13
	;; [unrolled: 1-line block ×3, first 2 shown]
	v_cndmask_b32_e64 v6, v5, v6, s5
	v_cmp_gt_i32_e64 s5, 32, v7
	v_dual_mov_b32 v11, v3 :: v_dual_bitop2_b32 v17, 48, v27 bitop3:0x54
	s_delay_alu instid0(VALU_DEP_3) | instskip(NEXT) | instid1(VALU_DEP_3)
	v_dual_mov_b32 v15, v3 :: v_dual_lshlrev_b32 v32, 2, v6
	v_dual_cndmask_b32 v7, v5, v7, s5 :: v_dual_ashrrev_i32 v5, 31, v4
	s_wait_kmcnt 0x0
	s_sub_co_i32 s10, s10, s18
	s_cmp_lg_u32 s6, 0
	v_cmp_gt_u32_e64 s5, 2, v0
	v_cmp_eq_u32_e64 s6, 0, v0
	v_dual_lshlrev_b32 v31, 2, v1 :: v_dual_bitop2_b32 v0, 16, v27 bitop3:0x54
	v_dual_lshlrev_b32 v33, 2, v7 :: v_dual_mov_b32 v9, v3
	v_lshl_add_u64 v[6:7], v[4:5], 2, s[8:9]
	v_add_nc_u64_e32 v[4:5], s[8:9], v[2:3]
	s_cselect_b32 s9, -1, 0
	s_lshl_b32 s11, s13, 3
	v_or_b32_e32 v1, 8, v27
	v_cmp_gt_u32_e64 s8, s14, v0
	v_add_nc_u32_e32 v0, s11, v8
	s_and_b32 s19, vcc_lo, s7
	s_ashr_i32 s27, s14, 31
	v_cmp_gt_u32_e64 s7, s14, v1
	s_delay_alu instid0(VALU_DEP_2) | instskip(SKIP_3) | instid1(VALU_DEP_2)
	v_dual_add_nc_u32 v10, s11, v0 :: v_dual_bitop2_b32 v1, 24, v27 bitop3:0x54
	s_abs_i32 s31, s14
	v_or_b32_e32 v2, 32, v27
	s_and_b32 s13, vcc_lo, s7
	v_cmp_gt_u32_e64 s7, s14, v1
	s_mul_u64 s[28:29], s[26:27], s[24:25]
	s_cvt_f32_u32 s24, s31
	v_dual_add_nc_u32 v12, s11, v10 :: v_dual_bitop2_b32 v14, 40, v27 bitop3:0x54
	s_and_b32 s30, vcc_lo, s7
	v_cmp_gt_u32_e64 s7, s14, v2
	v_rcp_iflag_f32_e32 v2, s24
	s_and_b32 s26, vcc_lo, s8
	v_mov_b32_e32 v13, v3
	v_cmp_gt_u32_e64 s8, s14, v14
	v_add_nc_u32_e32 v14, s11, v12
	s_and_b32 s33, vcc_lo, s7
	v_cmp_gt_u32_e64 s7, s14, v17
	v_readfirstlane_b32 s24, v2
	s_delay_alu instid0(VALU_DEP_3)
	v_dual_mov_b32 v17, v3 :: v_dual_add_nc_u32 v16, s11, v14
	v_or_b32_e32 v2, 56, v27
	v_add_nc_u64_e32 v[6:7], v[6:7], v[22:23]
	s_mul_f32 s24, s24, 0x4f7ffffe
	s_and_b32 s34, vcc_lo, s7
	v_dual_mov_b32 v19, v3 :: v_dual_add_nc_u32 v18, s11, v16
	s_delay_alu instid0(SALU_CYCLE_1) | instskip(SKIP_1) | instid1(VALU_DEP_2)
	s_cvt_u32_f32 s24, s24
	v_cmp_gt_u32_e64 s7, s14, v2
	v_dual_mov_b32 v1, v3 :: v_dual_add_nc_u32 v20, s11, v18
	s_sub_co_i32 s11, 0, s31
	v_dual_mov_b32 v21, v3 :: v_dual_add_nc_u32 v35, v22, v28
	s_mul_i32 s11, s11, s24
	v_dual_mov_b32 v36, 1 :: v_dual_mov_b32 v24, 0
	s_mul_hi_u32 s11, s24, s11
	s_and_b32 s8, vcc_lo, s8
	s_and_b32 s35, vcc_lo, s7
	s_add_co_i32 s24, s24, s11
	s_branch .LBB54_7
.LBB54_6:                               ;   in Loop: Header=BB54_7 Depth=1
	s_or_b32 exec_lo, exec_lo, s11
	s_wait_dscnt 0x0
	s_barrier_signal -1
	s_barrier_wait -1
	ds_load_b32 v24, v3
	s_add_co_i32 s10, s7, s10
	s_wait_dscnt 0x0
	s_barrier_signal -1
	s_barrier_wait -1
	v_cmp_gt_i32_e32 vcc_lo, s12, v24
	s_cbranch_vccz .LBB54_71
.LBB54_7:                               ; =>This Loop Header: Depth=1
                                        ;     Child Loop BB54_10 Depth 2
	v_dual_mov_b32 v37, s12 :: v_dual_add_nc_u32 v22, v34, v27
	v_mov_b32_e32 v23, v26
	s_mov_b32 s11, exec_lo
	ds_store_b8 v3, v3 offset:4096
	ds_store_2addr_b32 v35, v3, v3 offset1:8
	ds_store_2addr_b32 v35, v3, v3 offset0:16 offset1:24
	ds_store_2addr_b32 v35, v3, v3 offset0:32 offset1:40
	;; [unrolled: 1-line block ×3, first 2 shown]
	s_wait_dscnt 0x0
	s_barrier_signal -1
	s_barrier_wait -1
	v_cmpx_lt_i32_e64 v22, v26
	s_cbranch_execz .LBB54_15
; %bb.8:                                ;   in Loop: Header=BB54_7 Depth=1
	v_mul_lo_u32 v25, v24, s14
	v_dual_mov_b32 v37, s12 :: v_dual_mov_b32 v23, v26
	s_mov_b32 s36, 0
	s_branch .LBB54_10
.LBB54_9:                               ;   in Loop: Header=BB54_10 Depth=2
	s_wait_xcnt 0x0
	s_or_b32 exec_lo, exec_lo, s7
	v_add_nc_u32_e32 v22, 8, v22
	s_xor_b32 s37, vcc_lo, -1
	s_delay_alu instid0(VALU_DEP_1) | instskip(SKIP_1) | instid1(SALU_CYCLE_1)
	v_cmp_ge_i32_e64 s7, v22, v26
	s_or_b32 s7, s37, s7
	s_and_b32 s7, exec_lo, s7
	s_delay_alu instid0(SALU_CYCLE_1) | instskip(NEXT) | instid1(SALU_CYCLE_1)
	s_or_b32 s36, s7, s36
	s_and_not1_b32 exec_lo, exec_lo, s36
	s_cbranch_execz .LBB54_14
.LBB54_10:                              ;   Parent Loop BB54_7 Depth=1
                                        ; =>  This Inner Loop Header: Depth=2
	global_load_b32 v2, v22, s[16:17] scale_offset
	s_wait_loadcnt 0x0
	v_subrev_nc_u32_e32 v34, s15, v2
	s_delay_alu instid0(VALU_DEP_1) | instskip(NEXT) | instid1(VALU_DEP_1)
	v_sub_nc_u32_e32 v2, 0, v34
	v_max_i32_e32 v2, v34, v2
	s_delay_alu instid0(VALU_DEP_1) | instskip(NEXT) | instid1(VALU_DEP_1)
	v_mul_u64_e32 v[38:39], s[24:25], v[2:3]
	v_mul_lo_u32 v38, v39, s31
	s_delay_alu instid0(VALU_DEP_1) | instskip(NEXT) | instid1(VALU_DEP_1)
	v_dual_sub_nc_u32 v2, v2, v38 :: v_dual_add_nc_u32 v38, 1, v39
	v_cmp_le_u32_e32 vcc_lo, s31, v2
	s_delay_alu instid0(VALU_DEP_2) | instskip(SKIP_1) | instid1(VALU_DEP_1)
	v_cndmask_b32_e32 v38, v39, v38, vcc_lo
	v_subrev_nc_u32_e32 v40, s31, v2
	v_dual_cndmask_b32 v2, v2, v40 :: v_dual_ashrrev_i32 v39, 31, v34
	s_delay_alu instid0(VALU_DEP_1) | instskip(NEXT) | instid1(VALU_DEP_2)
	v_dual_add_nc_u32 v40, 1, v38 :: v_dual_bitop2_b32 v39, s27, v39 bitop3:0x14
	v_cmp_le_u32_e32 vcc_lo, s31, v2
	s_delay_alu instid0(VALU_DEP_2) | instskip(NEXT) | instid1(VALU_DEP_1)
	v_cndmask_b32_e32 v2, v38, v40, vcc_lo
	v_xor_b32_e32 v2, v2, v39
	s_delay_alu instid0(VALU_DEP_1) | instskip(NEXT) | instid1(VALU_DEP_1)
	v_dual_sub_nc_u32 v38, v2, v39 :: v_dual_mov_b32 v2, v23
	v_cmp_ne_u32_e64 s7, v38, v24
	v_cmp_eq_u32_e32 vcc_lo, v38, v24
	s_wait_xcnt 0x0
	s_and_saveexec_b32 s37, s7
	s_delay_alu instid0(SALU_CYCLE_1)
	s_xor_b32 s7, exec_lo, s37
; %bb.11:                               ;   in Loop: Header=BB54_10 Depth=2
	v_min_i32_e32 v37, v38, v37
                                        ; implicit-def: $vgpr34
                                        ; implicit-def: $vgpr2
; %bb.12:                               ;   in Loop: Header=BB54_10 Depth=2
	s_or_saveexec_b32 s7, s7
	v_mov_b32_e32 v23, v22
	s_xor_b32 exec_lo, exec_lo, s7
	s_cbranch_execz .LBB54_9
; %bb.13:                               ;   in Loop: Header=BB54_10 Depth=2
	v_ashrrev_i32_e32 v23, 31, v22
	s_delay_alu instid0(VALU_DEP_1)
	v_lshl_add_u64 v[38:39], v[22:23], 2, s[22:23]
	v_sub_nc_u32_e32 v23, v34, v25
	global_load_b32 v38, v[38:39], off
	v_lshl_add_u32 v34, v23, 2, v28
	v_mov_b32_e32 v23, v2
	ds_store_b8 v3, v36 offset:4096
	s_wait_loadcnt 0x0
	ds_store_b32 v34, v38
	s_branch .LBB54_9
.LBB54_14:                              ;   in Loop: Header=BB54_7 Depth=1
	s_or_b32 exec_lo, exec_lo, s36
.LBB54_15:                              ;   in Loop: Header=BB54_7 Depth=1
	s_delay_alu instid0(SALU_CYCLE_1)
	s_or_b32 exec_lo, exec_lo, s11
	ds_bpermute_b32 v2, v31, v23
	s_wait_dscnt 0x0
	s_barrier_signal -1
	s_barrier_wait -1
	s_mov_b32 s7, 0
	v_min_i32_e32 v2, v2, v23
	ds_load_u8 v23, v3 offset:4096
	ds_bpermute_b32 v22, v32, v2
	s_wait_dscnt 0x0
	v_min_i32_e32 v2, v22, v2
	ds_bpermute_b32 v22, v33, v2
	s_wait_dscnt 0x0
	v_min_i32_e32 v2, v22, v2
	ds_bpermute_b32 v34, v30, v2
	v_and_b32_e32 v2, 1, v23
	s_delay_alu instid0(VALU_DEP_1)
	v_cmp_eq_u32_e32 vcc_lo, 0, v2
	s_cbranch_vccnz .LBB54_49
; %bb.16:                               ;   in Loop: Header=BB54_7 Depth=1
	s_ashr_i32 s11, s10, 31
	v_dual_add_nc_u32 v2, s18, v24 :: v_dual_mov_b32 v38, s10
	s_mul_u64 s[36:37], s[28:29], s[10:11]
	s_delay_alu instid0(SALU_CYCLE_1) | instskip(NEXT) | instid1(SALU_CYCLE_1)
	s_lshl_b64 s[36:37], s[36:37], 2
	v_add_nc_u64_e32 v[24:25], s[36:37], v[4:5]
	v_add_nc_u64_e32 v[22:23], s[36:37], v[6:7]
	global_store_b32 v38, v2, s[20:21] scale_offset
	s_wait_xcnt 0x0
	s_and_saveexec_b32 s7, s19
	s_cbranch_execz .LBB54_20
; %bb.17:                               ;   in Loop: Header=BB54_7 Depth=1
	ds_load_b32 v2, v35
	s_and_b32 vcc_lo, exec_lo, s9
	s_cbranch_vccz .LBB54_63
; %bb.18:                               ;   in Loop: Header=BB54_7 Depth=1
	v_lshl_add_u64 v[38:39], v[8:9], 2, v[24:25]
	s_wait_dscnt 0x0
	global_store_b32 v[38:39], v2, off
	s_cbranch_execnz .LBB54_20
.LBB54_19:                              ;   in Loop: Header=BB54_7 Depth=1
	s_wait_dscnt 0x0
	global_store_b32 v[22:23], v2, off
.LBB54_20:                              ;   in Loop: Header=BB54_7 Depth=1
	s_wait_xcnt 0x0
	s_or_b32 exec_lo, exec_lo, s7
	s_and_saveexec_b32 s7, s13
	s_cbranch_execz .LBB54_24
; %bb.21:                               ;   in Loop: Header=BB54_7 Depth=1
	s_wait_dscnt 0x0
	ds_load_b32 v2, v35 offset:32
	s_and_not1_b32 vcc_lo, exec_lo, s9
	s_cbranch_vccnz .LBB54_64
; %bb.22:                               ;   in Loop: Header=BB54_7 Depth=1
	v_lshl_add_u64 v[38:39], v[0:1], 2, v[24:25]
	s_wait_dscnt 0x0
	global_store_b32 v[38:39], v2, off
	s_cbranch_execnz .LBB54_24
.LBB54_23:                              ;   in Loop: Header=BB54_7 Depth=1
	s_wait_dscnt 0x0
	global_store_b32 v[22:23], v2, off offset:32
.LBB54_24:                              ;   in Loop: Header=BB54_7 Depth=1
	s_wait_xcnt 0x0
	s_or_b32 exec_lo, exec_lo, s7
	s_and_saveexec_b32 s7, s26
	s_cbranch_execz .LBB54_28
; %bb.25:                               ;   in Loop: Header=BB54_7 Depth=1
	s_wait_dscnt 0x0
	ds_load_b32 v2, v35 offset:64
	s_and_not1_b32 vcc_lo, exec_lo, s9
	s_cbranch_vccnz .LBB54_65
; %bb.26:                               ;   in Loop: Header=BB54_7 Depth=1
	v_lshl_add_u64 v[38:39], v[10:11], 2, v[24:25]
	s_wait_dscnt 0x0
	global_store_b32 v[38:39], v2, off
	s_cbranch_execnz .LBB54_28
.LBB54_27:                              ;   in Loop: Header=BB54_7 Depth=1
	s_wait_dscnt 0x0
	global_store_b32 v[22:23], v2, off offset:64
.LBB54_28:                              ;   in Loop: Header=BB54_7 Depth=1
	s_wait_xcnt 0x0
	s_or_b32 exec_lo, exec_lo, s7
	s_and_saveexec_b32 s7, s30
	s_cbranch_execz .LBB54_32
; %bb.29:                               ;   in Loop: Header=BB54_7 Depth=1
	s_wait_dscnt 0x0
	ds_load_b32 v2, v35 offset:96
	s_and_not1_b32 vcc_lo, exec_lo, s9
	s_cbranch_vccnz .LBB54_66
; %bb.30:                               ;   in Loop: Header=BB54_7 Depth=1
	v_lshl_add_u64 v[38:39], v[12:13], 2, v[24:25]
	s_wait_dscnt 0x0
	global_store_b32 v[38:39], v2, off
	s_cbranch_execnz .LBB54_32
.LBB54_31:                              ;   in Loop: Header=BB54_7 Depth=1
	s_wait_dscnt 0x0
	global_store_b32 v[22:23], v2, off offset:96
.LBB54_32:                              ;   in Loop: Header=BB54_7 Depth=1
	s_wait_xcnt 0x0
	s_or_b32 exec_lo, exec_lo, s7
	s_and_saveexec_b32 s7, s33
	s_cbranch_execz .LBB54_36
; %bb.33:                               ;   in Loop: Header=BB54_7 Depth=1
	s_wait_dscnt 0x0
	ds_load_b32 v2, v35 offset:128
	s_and_not1_b32 vcc_lo, exec_lo, s9
	s_cbranch_vccnz .LBB54_67
; %bb.34:                               ;   in Loop: Header=BB54_7 Depth=1
	v_lshl_add_u64 v[38:39], v[14:15], 2, v[24:25]
	s_wait_dscnt 0x0
	global_store_b32 v[38:39], v2, off
	s_cbranch_execnz .LBB54_36
.LBB54_35:                              ;   in Loop: Header=BB54_7 Depth=1
	s_wait_dscnt 0x0
	global_store_b32 v[22:23], v2, off offset:128
.LBB54_36:                              ;   in Loop: Header=BB54_7 Depth=1
	s_wait_xcnt 0x0
	s_or_b32 exec_lo, exec_lo, s7
	s_and_saveexec_b32 s7, s8
	s_cbranch_execz .LBB54_40
; %bb.37:                               ;   in Loop: Header=BB54_7 Depth=1
	s_wait_dscnt 0x0
	ds_load_b32 v2, v35 offset:160
	s_and_not1_b32 vcc_lo, exec_lo, s9
	s_cbranch_vccnz .LBB54_68
; %bb.38:                               ;   in Loop: Header=BB54_7 Depth=1
	v_lshl_add_u64 v[38:39], v[16:17], 2, v[24:25]
	s_wait_dscnt 0x0
	global_store_b32 v[38:39], v2, off
	s_cbranch_execnz .LBB54_40
.LBB54_39:                              ;   in Loop: Header=BB54_7 Depth=1
	s_wait_dscnt 0x0
	global_store_b32 v[22:23], v2, off offset:160
.LBB54_40:                              ;   in Loop: Header=BB54_7 Depth=1
	s_wait_xcnt 0x0
	s_or_b32 exec_lo, exec_lo, s7
	s_and_saveexec_b32 s7, s34
	s_cbranch_execz .LBB54_44
; %bb.41:                               ;   in Loop: Header=BB54_7 Depth=1
	s_wait_dscnt 0x0
	ds_load_b32 v2, v35 offset:192
	s_and_not1_b32 vcc_lo, exec_lo, s9
	s_cbranch_vccnz .LBB54_69
; %bb.42:                               ;   in Loop: Header=BB54_7 Depth=1
	v_lshl_add_u64 v[38:39], v[18:19], 2, v[24:25]
	s_wait_dscnt 0x0
	global_store_b32 v[38:39], v2, off
	s_cbranch_execnz .LBB54_44
.LBB54_43:                              ;   in Loop: Header=BB54_7 Depth=1
	s_wait_dscnt 0x0
	global_store_b32 v[22:23], v2, off offset:192
.LBB54_44:                              ;   in Loop: Header=BB54_7 Depth=1
	s_wait_xcnt 0x0
	s_or_b32 exec_lo, exec_lo, s7
	s_and_saveexec_b32 s7, s35
	s_cbranch_execz .LBB54_48
; %bb.45:                               ;   in Loop: Header=BB54_7 Depth=1
	s_wait_dscnt 0x0
	ds_load_b32 v2, v35 offset:224
	s_and_not1_b32 vcc_lo, exec_lo, s9
	s_cbranch_vccnz .LBB54_70
; %bb.46:                               ;   in Loop: Header=BB54_7 Depth=1
	v_lshl_add_u64 v[24:25], v[20:21], 2, v[24:25]
	s_wait_dscnt 0x0
	global_store_b32 v[24:25], v2, off
	s_cbranch_execnz .LBB54_48
.LBB54_47:                              ;   in Loop: Header=BB54_7 Depth=1
	s_wait_dscnt 0x0
	global_store_b32 v[22:23], v2, off offset:224
.LBB54_48:                              ;   in Loop: Header=BB54_7 Depth=1
	s_wait_xcnt 0x0
	s_or_b32 exec_lo, exec_lo, s7
	s_mov_b32 s7, 1
.LBB54_49:                              ;   in Loop: Header=BB54_7 Depth=1
	s_wait_storecnt_dscnt 0x0
	s_barrier_signal -1
	s_barrier_wait -1
	ds_store_b32 v29, v37
	s_wait_dscnt 0x0
	s_barrier_signal -1
	s_barrier_wait -1
	s_and_saveexec_b32 s11, s0
	s_cbranch_execz .LBB54_51
; %bb.50:                               ;   in Loop: Header=BB54_7 Depth=1
	ds_load_2addr_stride64_b32 v[22:23], v29 offset1:1
	s_wait_dscnt 0x0
	v_min_i32_e32 v2, v23, v22
	ds_store_b32 v29, v2
.LBB54_51:                              ;   in Loop: Header=BB54_7 Depth=1
	s_or_b32 exec_lo, exec_lo, s11
	s_wait_dscnt 0x0
	s_barrier_signal -1
	s_barrier_wait -1
	s_and_saveexec_b32 s11, s1
	s_cbranch_execz .LBB54_53
; %bb.52:                               ;   in Loop: Header=BB54_7 Depth=1
	ds_load_2addr_b32 v[22:23], v29 offset1:32
	s_wait_dscnt 0x0
	v_min_i32_e32 v2, v23, v22
	ds_store_b32 v29, v2
.LBB54_53:                              ;   in Loop: Header=BB54_7 Depth=1
	s_or_b32 exec_lo, exec_lo, s11
	s_wait_dscnt 0x0
	s_barrier_signal -1
	s_barrier_wait -1
	s_and_saveexec_b32 s11, s2
	s_cbranch_execz .LBB54_55
; %bb.54:                               ;   in Loop: Header=BB54_7 Depth=1
	ds_load_2addr_b32 v[22:23], v29 offset1:16
	s_wait_dscnt 0x0
	v_min_i32_e32 v2, v23, v22
	ds_store_b32 v29, v2
.LBB54_55:                              ;   in Loop: Header=BB54_7 Depth=1
	;; [unrolled: 12-line block ×5, first 2 shown]
	s_or_b32 exec_lo, exec_lo, s11
	s_wait_dscnt 0x0
	s_barrier_signal -1
	s_barrier_wait -1
	s_and_saveexec_b32 s11, s6
	s_cbranch_execz .LBB54_6
; %bb.62:                               ;   in Loop: Header=BB54_7 Depth=1
	ds_load_b64 v[22:23], v3
	s_wait_dscnt 0x0
	v_min_i32_e32 v2, v23, v22
	ds_store_b32 v3, v2
	s_branch .LBB54_6
.LBB54_63:                              ;   in Loop: Header=BB54_7 Depth=1
	s_branch .LBB54_19
.LBB54_64:                              ;   in Loop: Header=BB54_7 Depth=1
	s_branch .LBB54_23
.LBB54_65:                              ;   in Loop: Header=BB54_7 Depth=1
	s_branch .LBB54_27
.LBB54_66:                              ;   in Loop: Header=BB54_7 Depth=1
	s_branch .LBB54_31
.LBB54_67:                              ;   in Loop: Header=BB54_7 Depth=1
	s_branch .LBB54_35
.LBB54_68:                              ;   in Loop: Header=BB54_7 Depth=1
	s_branch .LBB54_39
.LBB54_69:                              ;   in Loop: Header=BB54_7 Depth=1
	s_branch .LBB54_43
.LBB54_70:                              ;   in Loop: Header=BB54_7 Depth=1
	s_branch .LBB54_47
.LBB54_71:
	s_endpgm
	.section	.rodata,"a",@progbits
	.p2align	6, 0x0
	.amdhsa_kernel _ZN9rocsparseL40csr2gebsr_block_per_row_multipass_kernelILj128ELj16ELj64EfEEv20rocsparse_direction_iiiiii21rocsparse_index_base_PKT2_PKiS7_S2_PS3_PiS9_
		.amdhsa_group_segment_fixed_size 4100
		.amdhsa_private_segment_fixed_size 0
		.amdhsa_kernarg_size 88
		.amdhsa_user_sgpr_count 2
		.amdhsa_user_sgpr_dispatch_ptr 0
		.amdhsa_user_sgpr_queue_ptr 0
		.amdhsa_user_sgpr_kernarg_segment_ptr 1
		.amdhsa_user_sgpr_dispatch_id 0
		.amdhsa_user_sgpr_kernarg_preload_length 0
		.amdhsa_user_sgpr_kernarg_preload_offset 0
		.amdhsa_user_sgpr_private_segment_size 0
		.amdhsa_wavefront_size32 1
		.amdhsa_uses_dynamic_stack 0
		.amdhsa_enable_private_segment 0
		.amdhsa_system_sgpr_workgroup_id_x 1
		.amdhsa_system_sgpr_workgroup_id_y 0
		.amdhsa_system_sgpr_workgroup_id_z 0
		.amdhsa_system_sgpr_workgroup_info 0
		.amdhsa_system_vgpr_workitem_id 0
		.amdhsa_next_free_vgpr 41
		.amdhsa_next_free_sgpr 38
		.amdhsa_named_barrier_count 0
		.amdhsa_reserve_vcc 1
		.amdhsa_float_round_mode_32 0
		.amdhsa_float_round_mode_16_64 0
		.amdhsa_float_denorm_mode_32 3
		.amdhsa_float_denorm_mode_16_64 3
		.amdhsa_fp16_overflow 0
		.amdhsa_memory_ordered 1
		.amdhsa_forward_progress 1
		.amdhsa_inst_pref_size 20
		.amdhsa_round_robin_scheduling 0
		.amdhsa_exception_fp_ieee_invalid_op 0
		.amdhsa_exception_fp_denorm_src 0
		.amdhsa_exception_fp_ieee_div_zero 0
		.amdhsa_exception_fp_ieee_overflow 0
		.amdhsa_exception_fp_ieee_underflow 0
		.amdhsa_exception_fp_ieee_inexact 0
		.amdhsa_exception_int_div_zero 0
	.end_amdhsa_kernel
	.section	.text._ZN9rocsparseL40csr2gebsr_block_per_row_multipass_kernelILj128ELj16ELj64EfEEv20rocsparse_direction_iiiiii21rocsparse_index_base_PKT2_PKiS7_S2_PS3_PiS9_,"axG",@progbits,_ZN9rocsparseL40csr2gebsr_block_per_row_multipass_kernelILj128ELj16ELj64EfEEv20rocsparse_direction_iiiiii21rocsparse_index_base_PKT2_PKiS7_S2_PS3_PiS9_,comdat
.Lfunc_end54:
	.size	_ZN9rocsparseL40csr2gebsr_block_per_row_multipass_kernelILj128ELj16ELj64EfEEv20rocsparse_direction_iiiiii21rocsparse_index_base_PKT2_PKiS7_S2_PS3_PiS9_, .Lfunc_end54-_ZN9rocsparseL40csr2gebsr_block_per_row_multipass_kernelILj128ELj16ELj64EfEEv20rocsparse_direction_iiiiii21rocsparse_index_base_PKT2_PKiS7_S2_PS3_PiS9_
                                        ; -- End function
	.set _ZN9rocsparseL40csr2gebsr_block_per_row_multipass_kernelILj128ELj16ELj64EfEEv20rocsparse_direction_iiiiii21rocsparse_index_base_PKT2_PKiS7_S2_PS3_PiS9_.num_vgpr, 41
	.set _ZN9rocsparseL40csr2gebsr_block_per_row_multipass_kernelILj128ELj16ELj64EfEEv20rocsparse_direction_iiiiii21rocsparse_index_base_PKT2_PKiS7_S2_PS3_PiS9_.num_agpr, 0
	.set _ZN9rocsparseL40csr2gebsr_block_per_row_multipass_kernelILj128ELj16ELj64EfEEv20rocsparse_direction_iiiiii21rocsparse_index_base_PKT2_PKiS7_S2_PS3_PiS9_.numbered_sgpr, 38
	.set _ZN9rocsparseL40csr2gebsr_block_per_row_multipass_kernelILj128ELj16ELj64EfEEv20rocsparse_direction_iiiiii21rocsparse_index_base_PKT2_PKiS7_S2_PS3_PiS9_.num_named_barrier, 0
	.set _ZN9rocsparseL40csr2gebsr_block_per_row_multipass_kernelILj128ELj16ELj64EfEEv20rocsparse_direction_iiiiii21rocsparse_index_base_PKT2_PKiS7_S2_PS3_PiS9_.private_seg_size, 0
	.set _ZN9rocsparseL40csr2gebsr_block_per_row_multipass_kernelILj128ELj16ELj64EfEEv20rocsparse_direction_iiiiii21rocsparse_index_base_PKT2_PKiS7_S2_PS3_PiS9_.uses_vcc, 1
	.set _ZN9rocsparseL40csr2gebsr_block_per_row_multipass_kernelILj128ELj16ELj64EfEEv20rocsparse_direction_iiiiii21rocsparse_index_base_PKT2_PKiS7_S2_PS3_PiS9_.uses_flat_scratch, 0
	.set _ZN9rocsparseL40csr2gebsr_block_per_row_multipass_kernelILj128ELj16ELj64EfEEv20rocsparse_direction_iiiiii21rocsparse_index_base_PKT2_PKiS7_S2_PS3_PiS9_.has_dyn_sized_stack, 0
	.set _ZN9rocsparseL40csr2gebsr_block_per_row_multipass_kernelILj128ELj16ELj64EfEEv20rocsparse_direction_iiiiii21rocsparse_index_base_PKT2_PKiS7_S2_PS3_PiS9_.has_recursion, 0
	.set _ZN9rocsparseL40csr2gebsr_block_per_row_multipass_kernelILj128ELj16ELj64EfEEv20rocsparse_direction_iiiiii21rocsparse_index_base_PKT2_PKiS7_S2_PS3_PiS9_.has_indirect_call, 0
	.section	.AMDGPU.csdata,"",@progbits
; Kernel info:
; codeLenInByte = 2472
; TotalNumSgprs: 40
; NumVgprs: 41
; ScratchSize: 0
; MemoryBound: 0
; FloatMode: 240
; IeeeMode: 1
; LDSByteSize: 4100 bytes/workgroup (compile time only)
; SGPRBlocks: 0
; VGPRBlocks: 2
; NumSGPRsForWavesPerEU: 40
; NumVGPRsForWavesPerEU: 41
; NamedBarCnt: 0
; Occupancy: 16
; WaveLimiterHint : 0
; COMPUTE_PGM_RSRC2:SCRATCH_EN: 0
; COMPUTE_PGM_RSRC2:USER_SGPR: 2
; COMPUTE_PGM_RSRC2:TRAP_HANDLER: 0
; COMPUTE_PGM_RSRC2:TGID_X_EN: 1
; COMPUTE_PGM_RSRC2:TGID_Y_EN: 0
; COMPUTE_PGM_RSRC2:TGID_Z_EN: 0
; COMPUTE_PGM_RSRC2:TIDIG_COMP_CNT: 0
	.section	.text._ZN9rocsparseL44csr2gebsr_wavefront_per_row_multipass_kernelILi256ELi32ELi2ELi64EfEEv20rocsparse_direction_iiiiii21rocsparse_index_base_PKT3_PKiS7_S2_PS3_PiS9_,"axG",@progbits,_ZN9rocsparseL44csr2gebsr_wavefront_per_row_multipass_kernelILi256ELi32ELi2ELi64EfEEv20rocsparse_direction_iiiiii21rocsparse_index_base_PKT3_PKiS7_S2_PS3_PiS9_,comdat
	.globl	_ZN9rocsparseL44csr2gebsr_wavefront_per_row_multipass_kernelILi256ELi32ELi2ELi64EfEEv20rocsparse_direction_iiiiii21rocsparse_index_base_PKT3_PKiS7_S2_PS3_PiS9_ ; -- Begin function _ZN9rocsparseL44csr2gebsr_wavefront_per_row_multipass_kernelILi256ELi32ELi2ELi64EfEEv20rocsparse_direction_iiiiii21rocsparse_index_base_PKT3_PKiS7_S2_PS3_PiS9_
	.p2align	8
	.type	_ZN9rocsparseL44csr2gebsr_wavefront_per_row_multipass_kernelILi256ELi32ELi2ELi64EfEEv20rocsparse_direction_iiiiii21rocsparse_index_base_PKT3_PKiS7_S2_PS3_PiS9_,@function
_ZN9rocsparseL44csr2gebsr_wavefront_per_row_multipass_kernelILi256ELi32ELi2ELi64EfEEv20rocsparse_direction_iiiiii21rocsparse_index_base_PKT3_PKiS7_S2_PS3_PiS9_: ; @_ZN9rocsparseL44csr2gebsr_wavefront_per_row_multipass_kernelILi256ELi32ELi2ELi64EfEEv20rocsparse_direction_iiiiii21rocsparse_index_base_PKT3_PKiS7_S2_PS3_PiS9_
; %bb.0:
	s_clause 0x1
	s_load_b128 s[4:7], s[0:1], 0xc
	s_load_b64 s[12:13], s[0:1], 0x0
	s_bfe_u32 s2, ttmp6, 0x4000c
	s_and_b32 s3, ttmp6, 15
	s_add_co_i32 s2, s2, 1
	s_getreg_b32 s8, hwreg(HW_REG_IB_STS2, 6, 4)
	s_mul_i32 s2, ttmp9, s2
	v_dual_lshrrev_b32 v14, 6, v0 :: v_dual_mov_b32 v2, 0
	s_add_co_i32 s3, s3, s2
	s_cmp_eq_u32 s8, 0
	v_bfe_u32 v3, v0, 1, 5
	s_cselect_b32 s2, ttmp9, s3
	s_clause 0x1
	s_load_b32 s16, s[0:1], 0x1c
	s_load_b64 s[8:9], s[0:1], 0x28
	v_lshl_or_b32 v1, s2, 2, v14
	v_mov_b32_e32 v8, 0
	s_wait_kmcnt 0x0
	s_delay_alu instid0(VALU_DEP_2) | instskip(SKIP_1) | instid1(VALU_DEP_2)
	v_mad_u32 v4, v1, s6, v3
	v_cmp_gt_i32_e32 vcc_lo, s6, v3
	v_cmp_gt_i32_e64 s2, s13, v4
	s_and_b32 s2, vcc_lo, s2
	s_delay_alu instid0(SALU_CYCLE_1)
	s_and_saveexec_b32 s3, s2
	s_cbranch_execz .LBB55_2
; %bb.1:
	global_load_b32 v5, v4, s[8:9] scale_offset
	s_wait_loadcnt 0x0
	v_subrev_nc_u32_e32 v8, s16, v5
.LBB55_2:
	s_or_b32 exec_lo, exec_lo, s3
	v_mov_b32_e32 v15, 0
	s_and_saveexec_b32 s3, s2
	s_cbranch_execz .LBB55_4
; %bb.3:
	global_load_b32 v4, v4, s[8:9] offset:4 scale_offset
	s_wait_loadcnt 0x0
	v_subrev_nc_u32_e32 v15, s16, v4
.LBB55_4:
	s_or_b32 exec_lo, exec_lo, s3
	s_load_b32 s17, s[0:1], 0x38
	s_mov_b32 s3, exec_lo
	v_cmpx_gt_i32_e64 s4, v1
	s_cbranch_execz .LBB55_6
; %bb.5:
	s_load_b64 s[8:9], s[0:1], 0x48
	s_wait_kmcnt 0x0
	global_load_b32 v1, v1, s[8:9] scale_offset
	s_wait_loadcnt 0x0
	v_subrev_nc_u32_e32 v2, s17, v1
.LBB55_6:
	s_or_b32 exec_lo, exec_lo, s3
	s_cmp_lt_i32 s5, 1
	s_cbranch_scc1 .LBB55_24
; %bb.7:
	v_mbcnt_lo_u32_b32 v9, -1, 0
	s_clause 0x3
	s_load_b64 s[2:3], s[0:1], 0x50
	s_load_b64 s[14:15], s[0:1], 0x40
	;; [unrolled: 1-line block ×4, first 2 shown]
	v_and_b32_e32 v5, 0xc0, v0
	v_mul_lo_u32 v10, s7, v3
	v_bfrev_b32_e32 v25, 0.5
	v_dual_lshlrev_b32 v6, 3, v3 :: v_dual_bitop2_b32 v1, 1, v9 bitop3:0x14
	v_lshl_or_b32 v18, v9, 2, 4
	s_mov_b32 s13, 0
	v_mov_b32_e32 v26, 1
	s_wait_xcnt 0x0
	v_cmp_gt_i32_e64 s0, 32, v1
	v_and_b32_e32 v4, 1, v0
	v_lshl_or_b32 v16, v5, 2, v6
	s_delay_alu instid0(VALU_DEP_3) | instskip(NEXT) | instid1(VALU_DEP_3)
	v_dual_ashrrev_i32 v11, 31, v10 :: v_dual_cndmask_b32 v1, v9, v1, s0
	v_mul_lo_u32 v0, s6, v4
	v_lshlrev_b32_e32 v12, 2, v4
	v_cmp_gt_u32_e64 s0, s7, v4
	s_wait_kmcnt 0x0
	v_lshl_add_u64 v[10:11], v[10:11], 2, s[14:15]
	v_dual_lshlrev_b32 v17, 2, v1 :: v_dual_mov_b32 v1, 0
	v_or_b32_e32 v19, v16, v12
	s_and_b32 s4, vcc_lo, s0
	s_cmp_lg_u32 s12, 0
	s_mov_b32 s12, s6
	v_mov_b32_e32 v5, v1
	v_lshl_add_u64 v[6:7], v[0:1], 2, s[14:15]
	v_dual_lshlrev_b32 v0, 2, v3 :: v_dual_bitop2_b32 v3, 16, v9 bitop3:0x14
	v_mov_b32_e32 v13, v1
	s_cselect_b32 s18, -1, 0
	s_abs_i32 s6, s7
	s_delay_alu instid0(VALU_DEP_2)
	v_add_nc_u64_e32 v[6:7], v[6:7], v[0:1]
	v_or_b32_e32 v0, 32, v9
	s_cvt_f32_u32 s14, s6
	v_add_nc_u64_e32 v[10:11], v[10:11], v[12:13]
	s_ashr_i32 s1, s7, 31
	s_mov_b32 s0, s7
	v_cmp_gt_i32_e32 vcc_lo, 32, v0
	v_rcp_iflag_f32_e32 v22, s14
	v_cndmask_b32_e32 v0, v9, v0, vcc_lo
	v_cmp_gt_i32_e32 vcc_lo, 32, v3
	s_delay_alu instid0(TRANS32_DEP_1) | instskip(NEXT) | instid1(VALU_DEP_3)
	v_readfirstlane_b32 s14, v22
	v_dual_cndmask_b32 v3, v9, v3 :: v_dual_lshlrev_b32 v20, 2, v0
	v_xor_b32_e32 v0, 8, v9
	s_mul_f32 s14, s14, 0x4f7ffffe
	s_delay_alu instid0(VALU_DEP_2) | instskip(NEXT) | instid1(VALU_DEP_2)
	v_dual_lshlrev_b32 v21, 2, v3 :: v_dual_bitop2_b32 v3, 4, v9 bitop3:0x14
	v_cmp_gt_i32_e32 vcc_lo, 32, v0
	v_xor_b32_e32 v12, 2, v9
	s_cvt_u32_f32 s19, s14
	s_sub_co_i32 s14, 0, s6
	v_cndmask_b32_e32 v0, v9, v0, vcc_lo
	v_cmp_gt_i32_e32 vcc_lo, 32, v3
	s_mul_i32 s14, s14, s19
	s_delay_alu instid0(SALU_CYCLE_1)
	s_mul_hi_u32 s20, s19, s14
	s_mul_u64 s[14:15], s[0:1], s[12:13]
	v_cndmask_b32_e32 v3, v9, v3, vcc_lo
	v_cmp_gt_i32_e32 vcc_lo, 32, v12
	s_add_co_i32 s12, s19, s20
	s_mov_b32 s19, s13
	v_cndmask_b32_e32 v9, v9, v12, vcc_lo
	v_dual_lshlrev_b32 v22, 2, v0 :: v_dual_lshlrev_b32 v23, 2, v3
	s_delay_alu instid0(VALU_DEP_2)
	v_dual_mov_b32 v3, 0 :: v_dual_lshlrev_b32 v24, 2, v9
	s_branch .LBB55_10
.LBB55_8:                               ;   in Loop: Header=BB55_10 Depth=1
	s_wait_xcnt 0x0
	s_or_b32 exec_lo, exec_lo, s20
	s_wait_dscnt 0x0
	v_mov_b32_e32 v0, 1
.LBB55_9:                               ;   in Loop: Header=BB55_10 Depth=1
	s_or_b32 exec_lo, exec_lo, s0
	ds_bpermute_b32 v3, v20, v27
	s_wait_storecnt_dscnt 0x0
	v_dual_add_nc_u32 v2, v0, v2 :: v_dual_min_i32 v3, v3, v27
	ds_bpermute_b32 v9, v21, v3
	s_wait_dscnt 0x0
	v_min_i32_e32 v3, v9, v3
	ds_bpermute_b32 v9, v22, v3
	s_wait_dscnt 0x0
	v_min_i32_e32 v3, v9, v3
	;; [unrolled: 3-line block ×5, first 2 shown]
	ds_bpermute_b32 v3, v25, v3
	s_wait_dscnt 0x0
	v_cmp_le_i32_e32 vcc_lo, s5, v3
	s_or_b32 s19, vcc_lo, s19
	s_delay_alu instid0(SALU_CYCLE_1)
	s_and_not1_b32 exec_lo, exec_lo, s19
	s_cbranch_execz .LBB55_24
.LBB55_10:                              ; =>This Loop Header: Depth=1
                                        ;     Child Loop BB55_13 Depth 2
	v_dual_mov_b32 v27, s5 :: v_dual_add_nc_u32 v28, v8, v4
	v_mov_b32_e32 v30, v15
	s_mov_b32 s20, exec_lo
	ds_store_b8 v14, v1 offset:1024
	ds_store_b32 v19, v1
	s_wait_dscnt 0x0
	v_cmpx_lt_i32_e64 v28, v15
	s_cbranch_execz .LBB55_18
; %bb.11:                               ;   in Loop: Header=BB55_10 Depth=1
	v_dual_ashrrev_i32 v9, 31, v8 :: v_dual_mov_b32 v27, s5
	v_mul_lo_u32 v29, v3, s7
	v_mov_b32_e32 v30, v15
	s_mov_b32 s21, 0
	s_delay_alu instid0(VALU_DEP_3) | instskip(NEXT) | instid1(VALU_DEP_1)
	v_add_nc_u64_e32 v[8:9], v[4:5], v[8:9]
	v_lshlrev_b64_e32 v[12:13], 2, v[8:9]
	s_delay_alu instid0(VALU_DEP_1)
	v_add_nc_u64_e32 v[8:9], s[10:11], v[12:13]
	v_add_nc_u64_e32 v[12:13], s[8:9], v[12:13]
	s_branch .LBB55_13
.LBB55_12:                              ;   in Loop: Header=BB55_13 Depth=2
	s_wait_xcnt 0x0
	s_or_b32 exec_lo, exec_lo, s0
	v_add_nc_u32_e32 v28, 2, v28
	s_xor_b32 s22, vcc_lo, -1
	v_add_nc_u64_e32 v[8:9], 8, v[8:9]
	v_add_nc_u64_e32 v[12:13], 8, v[12:13]
	s_delay_alu instid0(VALU_DEP_3) | instskip(SKIP_1) | instid1(SALU_CYCLE_1)
	v_cmp_ge_i32_e64 s0, v28, v15
	s_or_b32 s0, s22, s0
	s_and_b32 s0, exec_lo, s0
	s_delay_alu instid0(SALU_CYCLE_1) | instskip(NEXT) | instid1(SALU_CYCLE_1)
	s_or_b32 s21, s0, s21
	s_and_not1_b32 exec_lo, exec_lo, s21
	s_cbranch_execz .LBB55_17
.LBB55_13:                              ;   Parent Loop BB55_10 Depth=1
                                        ; =>  This Inner Loop Header: Depth=2
	global_load_b32 v0, v[8:9], off
	s_wait_loadcnt 0x0
	v_subrev_nc_u32_e32 v31, s16, v0
	s_delay_alu instid0(VALU_DEP_1) | instskip(NEXT) | instid1(VALU_DEP_1)
	v_sub_nc_u32_e32 v0, 0, v31
	v_max_i32_e32 v0, v31, v0
	s_delay_alu instid0(VALU_DEP_1) | instskip(NEXT) | instid1(VALU_DEP_1)
	v_mul_u64_e32 v[32:33], s[12:13], v[0:1]
	v_mul_lo_u32 v32, v33, s6
	s_delay_alu instid0(VALU_DEP_1) | instskip(NEXT) | instid1(VALU_DEP_1)
	v_dual_sub_nc_u32 v0, v0, v32 :: v_dual_add_nc_u32 v32, 1, v33
	v_cmp_le_u32_e32 vcc_lo, s6, v0
	s_delay_alu instid0(VALU_DEP_2) | instskip(SKIP_1) | instid1(VALU_DEP_1)
	v_cndmask_b32_e32 v32, v33, v32, vcc_lo
	v_subrev_nc_u32_e32 v34, s6, v0
	v_dual_cndmask_b32 v0, v0, v34 :: v_dual_ashrrev_i32 v33, 31, v31
	s_delay_alu instid0(VALU_DEP_3) | instskip(NEXT) | instid1(VALU_DEP_2)
	v_add_nc_u32_e32 v34, 1, v32
	v_cmp_le_u32_e32 vcc_lo, s6, v0
	s_delay_alu instid0(VALU_DEP_2) | instskip(NEXT) | instid1(VALU_DEP_1)
	v_dual_cndmask_b32 v0, v32, v34, vcc_lo :: v_dual_bitop2_b32 v33, s1, v33 bitop3:0x14
	v_xor_b32_e32 v0, v0, v33
	s_delay_alu instid0(VALU_DEP_1) | instskip(NEXT) | instid1(VALU_DEP_1)
	v_dual_sub_nc_u32 v32, v0, v33 :: v_dual_mov_b32 v0, v30
	v_cmp_ne_u32_e64 s0, v32, v3
	v_cmp_eq_u32_e32 vcc_lo, v32, v3
	s_wait_xcnt 0x0
	s_and_saveexec_b32 s22, s0
	s_delay_alu instid0(SALU_CYCLE_1)
	s_xor_b32 s0, exec_lo, s22
; %bb.14:                               ;   in Loop: Header=BB55_13 Depth=2
	v_min_i32_e32 v27, v32, v27
                                        ; implicit-def: $vgpr31
                                        ; implicit-def: $vgpr0
; %bb.15:                               ;   in Loop: Header=BB55_13 Depth=2
	s_or_saveexec_b32 s0, s0
	v_mov_b32_e32 v30, v28
	s_xor_b32 exec_lo, exec_lo, s0
	s_cbranch_execz .LBB55_12
; %bb.16:                               ;   in Loop: Header=BB55_13 Depth=2
	global_load_b32 v32, v[12:13], off
	v_sub_nc_u32_e32 v30, v31, v29
	s_delay_alu instid0(VALU_DEP_1)
	v_lshl_add_u32 v31, v30, 2, v16
	v_mov_b32_e32 v30, v0
	ds_store_b8 v14, v26 offset:1024
	s_wait_loadcnt 0x0
	ds_store_b32 v31, v32
	s_branch .LBB55_12
.LBB55_17:                              ;   in Loop: Header=BB55_10 Depth=1
	s_or_b32 exec_lo, exec_lo, s21
.LBB55_18:                              ;   in Loop: Header=BB55_10 Depth=1
	s_delay_alu instid0(SALU_CYCLE_1)
	s_or_b32 exec_lo, exec_lo, s20
	ds_bpermute_b32 v0, v17, v30
	s_wait_dscnt 0x0
	ds_load_u8 v9, v14 offset:1024
	v_min_i32_e32 v0, v0, v30
	ds_bpermute_b32 v8, v18, v0
	s_wait_dscnt 0x1
	v_and_b32_e32 v0, 1, v9
	s_delay_alu instid0(VALU_DEP_1)
	v_cmp_eq_u32_e32 vcc_lo, 1, v0
	v_mov_b32_e32 v0, 0
	s_and_saveexec_b32 s0, vcc_lo
	s_cbranch_execz .LBB55_9
; %bb.19:                               ;   in Loop: Header=BB55_10 Depth=1
	v_add_nc_u32_e32 v0, s17, v3
	global_store_b32 v2, v0, s[2:3] scale_offset
	s_wait_xcnt 0x0
	s_and_saveexec_b32 s20, s4
	s_cbranch_execz .LBB55_8
; %bb.20:                               ;   in Loop: Header=BB55_10 Depth=1
	v_ashrrev_i32_e32 v3, 31, v2
	ds_load_b32 v0, v19
	s_and_b32 vcc_lo, exec_lo, s18
	v_mul_u64_e32 v[12:13], s[14:15], v[2:3]
	s_cbranch_vccz .LBB55_22
; %bb.21:                               ;   in Loop: Header=BB55_10 Depth=1
	s_delay_alu instid0(VALU_DEP_1)
	v_lshl_add_u64 v[28:29], v[12:13], 2, v[6:7]
	s_wait_dscnt 0x0
	global_store_b32 v[28:29], v0, off
	s_cbranch_execnz .LBB55_8
	s_branch .LBB55_23
.LBB55_22:                              ;   in Loop: Header=BB55_10 Depth=1
.LBB55_23:                              ;   in Loop: Header=BB55_10 Depth=1
	s_delay_alu instid0(VALU_DEP_1)
	v_lshl_add_u64 v[12:13], v[12:13], 2, v[10:11]
	s_wait_dscnt 0x0
	global_store_b32 v[12:13], v0, off
	s_branch .LBB55_8
.LBB55_24:
	s_endpgm
	.section	.rodata,"a",@progbits
	.p2align	6, 0x0
	.amdhsa_kernel _ZN9rocsparseL44csr2gebsr_wavefront_per_row_multipass_kernelILi256ELi32ELi2ELi64EfEEv20rocsparse_direction_iiiiii21rocsparse_index_base_PKT3_PKiS7_S2_PS3_PiS9_
		.amdhsa_group_segment_fixed_size 1028
		.amdhsa_private_segment_fixed_size 0
		.amdhsa_kernarg_size 88
		.amdhsa_user_sgpr_count 2
		.amdhsa_user_sgpr_dispatch_ptr 0
		.amdhsa_user_sgpr_queue_ptr 0
		.amdhsa_user_sgpr_kernarg_segment_ptr 1
		.amdhsa_user_sgpr_dispatch_id 0
		.amdhsa_user_sgpr_kernarg_preload_length 0
		.amdhsa_user_sgpr_kernarg_preload_offset 0
		.amdhsa_user_sgpr_private_segment_size 0
		.amdhsa_wavefront_size32 1
		.amdhsa_uses_dynamic_stack 0
		.amdhsa_enable_private_segment 0
		.amdhsa_system_sgpr_workgroup_id_x 1
		.amdhsa_system_sgpr_workgroup_id_y 0
		.amdhsa_system_sgpr_workgroup_id_z 0
		.amdhsa_system_sgpr_workgroup_info 0
		.amdhsa_system_vgpr_workitem_id 0
		.amdhsa_next_free_vgpr 35
		.amdhsa_next_free_sgpr 23
		.amdhsa_named_barrier_count 0
		.amdhsa_reserve_vcc 1
		.amdhsa_float_round_mode_32 0
		.amdhsa_float_round_mode_16_64 0
		.amdhsa_float_denorm_mode_32 3
		.amdhsa_float_denorm_mode_16_64 3
		.amdhsa_fp16_overflow 0
		.amdhsa_memory_ordered 1
		.amdhsa_forward_progress 1
		.amdhsa_inst_pref_size 12
		.amdhsa_round_robin_scheduling 0
		.amdhsa_exception_fp_ieee_invalid_op 0
		.amdhsa_exception_fp_denorm_src 0
		.amdhsa_exception_fp_ieee_div_zero 0
		.amdhsa_exception_fp_ieee_overflow 0
		.amdhsa_exception_fp_ieee_underflow 0
		.amdhsa_exception_fp_ieee_inexact 0
		.amdhsa_exception_int_div_zero 0
	.end_amdhsa_kernel
	.section	.text._ZN9rocsparseL44csr2gebsr_wavefront_per_row_multipass_kernelILi256ELi32ELi2ELi64EfEEv20rocsparse_direction_iiiiii21rocsparse_index_base_PKT3_PKiS7_S2_PS3_PiS9_,"axG",@progbits,_ZN9rocsparseL44csr2gebsr_wavefront_per_row_multipass_kernelILi256ELi32ELi2ELi64EfEEv20rocsparse_direction_iiiiii21rocsparse_index_base_PKT3_PKiS7_S2_PS3_PiS9_,comdat
.Lfunc_end55:
	.size	_ZN9rocsparseL44csr2gebsr_wavefront_per_row_multipass_kernelILi256ELi32ELi2ELi64EfEEv20rocsparse_direction_iiiiii21rocsparse_index_base_PKT3_PKiS7_S2_PS3_PiS9_, .Lfunc_end55-_ZN9rocsparseL44csr2gebsr_wavefront_per_row_multipass_kernelILi256ELi32ELi2ELi64EfEEv20rocsparse_direction_iiiiii21rocsparse_index_base_PKT3_PKiS7_S2_PS3_PiS9_
                                        ; -- End function
	.set _ZN9rocsparseL44csr2gebsr_wavefront_per_row_multipass_kernelILi256ELi32ELi2ELi64EfEEv20rocsparse_direction_iiiiii21rocsparse_index_base_PKT3_PKiS7_S2_PS3_PiS9_.num_vgpr, 35
	.set _ZN9rocsparseL44csr2gebsr_wavefront_per_row_multipass_kernelILi256ELi32ELi2ELi64EfEEv20rocsparse_direction_iiiiii21rocsparse_index_base_PKT3_PKiS7_S2_PS3_PiS9_.num_agpr, 0
	.set _ZN9rocsparseL44csr2gebsr_wavefront_per_row_multipass_kernelILi256ELi32ELi2ELi64EfEEv20rocsparse_direction_iiiiii21rocsparse_index_base_PKT3_PKiS7_S2_PS3_PiS9_.numbered_sgpr, 23
	.set _ZN9rocsparseL44csr2gebsr_wavefront_per_row_multipass_kernelILi256ELi32ELi2ELi64EfEEv20rocsparse_direction_iiiiii21rocsparse_index_base_PKT3_PKiS7_S2_PS3_PiS9_.num_named_barrier, 0
	.set _ZN9rocsparseL44csr2gebsr_wavefront_per_row_multipass_kernelILi256ELi32ELi2ELi64EfEEv20rocsparse_direction_iiiiii21rocsparse_index_base_PKT3_PKiS7_S2_PS3_PiS9_.private_seg_size, 0
	.set _ZN9rocsparseL44csr2gebsr_wavefront_per_row_multipass_kernelILi256ELi32ELi2ELi64EfEEv20rocsparse_direction_iiiiii21rocsparse_index_base_PKT3_PKiS7_S2_PS3_PiS9_.uses_vcc, 1
	.set _ZN9rocsparseL44csr2gebsr_wavefront_per_row_multipass_kernelILi256ELi32ELi2ELi64EfEEv20rocsparse_direction_iiiiii21rocsparse_index_base_PKT3_PKiS7_S2_PS3_PiS9_.uses_flat_scratch, 0
	.set _ZN9rocsparseL44csr2gebsr_wavefront_per_row_multipass_kernelILi256ELi32ELi2ELi64EfEEv20rocsparse_direction_iiiiii21rocsparse_index_base_PKT3_PKiS7_S2_PS3_PiS9_.has_dyn_sized_stack, 0
	.set _ZN9rocsparseL44csr2gebsr_wavefront_per_row_multipass_kernelILi256ELi32ELi2ELi64EfEEv20rocsparse_direction_iiiiii21rocsparse_index_base_PKT3_PKiS7_S2_PS3_PiS9_.has_recursion, 0
	.set _ZN9rocsparseL44csr2gebsr_wavefront_per_row_multipass_kernelILi256ELi32ELi2ELi64EfEEv20rocsparse_direction_iiiiii21rocsparse_index_base_PKT3_PKiS7_S2_PS3_PiS9_.has_indirect_call, 0
	.section	.AMDGPU.csdata,"",@progbits
; Kernel info:
; codeLenInByte = 1440
; TotalNumSgprs: 25
; NumVgprs: 35
; ScratchSize: 0
; MemoryBound: 0
; FloatMode: 240
; IeeeMode: 1
; LDSByteSize: 1028 bytes/workgroup (compile time only)
; SGPRBlocks: 0
; VGPRBlocks: 2
; NumSGPRsForWavesPerEU: 25
; NumVGPRsForWavesPerEU: 35
; NamedBarCnt: 0
; Occupancy: 16
; WaveLimiterHint : 0
; COMPUTE_PGM_RSRC2:SCRATCH_EN: 0
; COMPUTE_PGM_RSRC2:USER_SGPR: 2
; COMPUTE_PGM_RSRC2:TRAP_HANDLER: 0
; COMPUTE_PGM_RSRC2:TGID_X_EN: 1
; COMPUTE_PGM_RSRC2:TGID_Y_EN: 0
; COMPUTE_PGM_RSRC2:TGID_Z_EN: 0
; COMPUTE_PGM_RSRC2:TIDIG_COMP_CNT: 0
	.section	.text._ZN9rocsparseL44csr2gebsr_wavefront_per_row_multipass_kernelILi256ELi32ELi2ELi32EfEEv20rocsparse_direction_iiiiii21rocsparse_index_base_PKT3_PKiS7_S2_PS3_PiS9_,"axG",@progbits,_ZN9rocsparseL44csr2gebsr_wavefront_per_row_multipass_kernelILi256ELi32ELi2ELi32EfEEv20rocsparse_direction_iiiiii21rocsparse_index_base_PKT3_PKiS7_S2_PS3_PiS9_,comdat
	.globl	_ZN9rocsparseL44csr2gebsr_wavefront_per_row_multipass_kernelILi256ELi32ELi2ELi32EfEEv20rocsparse_direction_iiiiii21rocsparse_index_base_PKT3_PKiS7_S2_PS3_PiS9_ ; -- Begin function _ZN9rocsparseL44csr2gebsr_wavefront_per_row_multipass_kernelILi256ELi32ELi2ELi32EfEEv20rocsparse_direction_iiiiii21rocsparse_index_base_PKT3_PKiS7_S2_PS3_PiS9_
	.p2align	8
	.type	_ZN9rocsparseL44csr2gebsr_wavefront_per_row_multipass_kernelILi256ELi32ELi2ELi32EfEEv20rocsparse_direction_iiiiii21rocsparse_index_base_PKT3_PKiS7_S2_PS3_PiS9_,@function
_ZN9rocsparseL44csr2gebsr_wavefront_per_row_multipass_kernelILi256ELi32ELi2ELi32EfEEv20rocsparse_direction_iiiiii21rocsparse_index_base_PKT3_PKiS7_S2_PS3_PiS9_: ; @_ZN9rocsparseL44csr2gebsr_wavefront_per_row_multipass_kernelILi256ELi32ELi2ELi32EfEEv20rocsparse_direction_iiiiii21rocsparse_index_base_PKT3_PKiS7_S2_PS3_PiS9_
; %bb.0:
	s_clause 0x1
	s_load_b128 s[4:7], s[0:1], 0xc
	s_load_b64 s[12:13], s[0:1], 0x0
	s_bfe_u32 s2, ttmp6, 0x4000c
	s_and_b32 s3, ttmp6, 15
	s_add_co_i32 s2, s2, 1
	s_getreg_b32 s8, hwreg(HW_REG_IB_STS2, 6, 4)
	s_mul_i32 s2, ttmp9, s2
	v_dual_lshrrev_b32 v16, 5, v0 :: v_dual_bitop2_b32 v1, 31, v0 bitop3:0x40
	s_add_co_i32 s3, s3, s2
	s_cmp_eq_u32 s8, 0
	s_clause 0x1
	s_load_b32 s18, s[0:1], 0x1c
	s_load_b64 s[8:9], s[0:1], 0x28
	s_cselect_b32 s2, ttmp9, s3
	v_dual_mov_b32 v2, 0 :: v_dual_mov_b32 v4, 0
	v_lshl_or_b32 v3, s2, 3, v16
	s_wait_kmcnt 0x0
	s_delay_alu instid0(VALU_DEP_1) | instskip(SKIP_1) | instid1(VALU_DEP_2)
	v_mad_u32 v5, v3, s6, v1
	v_cmp_gt_i32_e32 vcc_lo, s6, v1
	v_cmp_gt_i32_e64 s2, s13, v5
	s_and_b32 s2, vcc_lo, s2
	s_delay_alu instid0(SALU_CYCLE_1)
	s_and_saveexec_b32 s3, s2
	s_cbranch_execz .LBB56_2
; %bb.1:
	global_load_b32 v4, v5, s[8:9] scale_offset
	s_wait_loadcnt 0x0
	v_subrev_nc_u32_e32 v4, s18, v4
.LBB56_2:
	s_or_b32 exec_lo, exec_lo, s3
	v_mov_b32_e32 v17, 0
	s_and_saveexec_b32 s3, s2
	s_cbranch_execz .LBB56_4
; %bb.3:
	global_load_b32 v5, v5, s[8:9] offset:4 scale_offset
	s_wait_loadcnt 0x0
	v_subrev_nc_u32_e32 v17, s18, v5
.LBB56_4:
	s_or_b32 exec_lo, exec_lo, s3
	s_load_b32 s19, s[0:1], 0x38
	s_mov_b32 s3, exec_lo
	v_cmpx_gt_i32_e64 s4, v3
	s_cbranch_execz .LBB56_6
; %bb.5:
	s_load_b64 s[8:9], s[0:1], 0x48
	s_wait_kmcnt 0x0
	global_load_b32 v2, v3, s[8:9] scale_offset
	s_wait_loadcnt 0x0
	v_subrev_nc_u32_e32 v2, s19, v2
.LBB56_6:
	s_or_b32 exec_lo, exec_lo, s3
	s_cmp_lt_i32 s5, 1
	s_cbranch_scc1 .LBB56_29
; %bb.7:
	s_clause 0x3
	s_load_b64 s[16:17], s[0:1], 0x40
	s_load_b64 s[2:3], s[0:1], 0x50
	;; [unrolled: 1-line block ×4, first 2 shown]
	v_mul_lo_u32 v8, s7, v1
	v_mbcnt_lo_u32_b32 v3, -1, 0
	s_cmp_lg_u32 s12, 0
	s_mov_b32 s13, 0
	s_cselect_b32 s4, -1, 0
	s_wait_xcnt 0x0
	s_ashr_i32 s1, s7, 31
	v_xor_b32_e32 v5, 16, v3
	s_mov_b32 s12, s6
	s_mov_b32 s0, s7
	s_cmp_lg_u32 s7, 0
	s_mul_u64 s[14:15], s[0:1], s[12:13]
	s_cselect_b32 s0, -1, 0
	v_dual_lshlrev_b32 v18, 3, v0 :: v_dual_lshlrev_b32 v0, 2, v1
	v_dual_mov_b32 v1, 0 :: v_dual_lshlrev_b32 v19, 2, v3
	v_ashrrev_i32_e32 v9, 31, v8
	s_and_b32 s6, vcc_lo, s0
	v_cmp_gt_i32_e64 s0, 32, v5
	s_cmp_gt_u32 s7, 1
	s_wait_kmcnt 0x0
	v_add_nc_u64_e32 v[6:7], s[16:17], v[0:1]
	s_cselect_b32 s21, -1, 0
	s_abs_i32 s20, s7
	v_dual_cndmask_b32 v0, v3, v5, s0 :: v_dual_bitop2_b32 v5, 8, v3 bitop3:0x14
	s_cvt_f32_u32 s0, s20
	v_xor_b32_e32 v11, 2, v3
	v_lshl_add_u64 v[8:9], v[8:9], 2, s[16:17]
	s_delay_alu instid0(VALU_DEP_3)
	v_dual_lshlrev_b32 v20, 2, v0 :: v_dual_bitop2_b32 v0, 4, v3 bitop3:0x14
	v_rcp_iflag_f32_e32 v10, s0
	v_cmp_gt_i32_e64 s0, 32, v5
	v_dual_mov_b32 v25, 0x7c :: v_dual_mov_b32 v26, 1
	v_mov_b32_e32 v27, 0
	s_and_b32 s21, vcc_lo, s21
	v_cndmask_b32_e64 v5, v3, v5, s0
	v_cmp_gt_i32_e64 s0, 32, v0
	v_xor_b32_e32 v12, 1, v3
	v_readfirstlane_b32 s16, v10
	s_mov_b32 s17, s13
	s_mov_b32 s22, s13
	v_cndmask_b32_e64 v0, v3, v0, s0
	v_cmp_gt_i32_e64 s0, 32, v11
	s_delay_alu instid0(VALU_DEP_2) | instskip(NEXT) | instid1(VALU_DEP_2)
	v_dual_lshlrev_b32 v21, 2, v5 :: v_dual_lshlrev_b32 v22, 2, v0
	v_cndmask_b32_e64 v10, v3, v11, s0
	v_cmp_gt_i32_e64 s0, 32, v12
	s_delay_alu instid0(VALU_DEP_1)
	v_cndmask_b32_e64 v3, v3, v12, s0
	s_mul_f32 s0, s16, 0x4f7ffffe
	s_sub_co_i32 s16, 0, s20
	v_lshlrev_b32_e32 v23, 2, v10
	v_mov_b64_e32 v[10:11], 0
	s_cvt_u32_f32 s0, s0
	v_lshlrev_b32_e32 v24, 2, v3
	s_delay_alu instid0(SALU_CYCLE_2) | instskip(NEXT) | instid1(SALU_CYCLE_1)
	s_mul_i32 s16, s16, s0
	s_mul_hi_u32 s16, s0, s16
	s_delay_alu instid0(SALU_CYCLE_1)
	s_add_co_i32 s16, s0, s16
	s_branch .LBB56_10
.LBB56_8:                               ;   in Loop: Header=BB56_10 Depth=1
	s_wait_xcnt 0x0
	s_or_b32 exec_lo, exec_lo, s23
	s_wait_dscnt 0x0
	v_mov_b32_e32 v0, 1
.LBB56_9:                               ;   in Loop: Header=BB56_10 Depth=1
	s_or_b32 exec_lo, exec_lo, s0
	ds_bpermute_b32 v3, v20, v5
	s_wait_storecnt_dscnt 0x0
	v_dual_add_nc_u32 v2, v0, v2 :: v_dual_min_i32 v3, v3, v5
	ds_bpermute_b32 v5, v21, v3
	s_wait_dscnt 0x0
	v_min_i32_e32 v3, v5, v3
	ds_bpermute_b32 v5, v22, v3
	s_wait_dscnt 0x0
	v_min_i32_e32 v3, v5, v3
	;; [unrolled: 3-line block ×4, first 2 shown]
	ds_bpermute_b32 v27, v25, v3
	s_wait_dscnt 0x0
	v_cmp_le_i32_e32 vcc_lo, s5, v27
	s_or_b32 s22, vcc_lo, s22
	s_delay_alu instid0(SALU_CYCLE_1)
	s_and_not1_b32 exec_lo, exec_lo, s22
	s_cbranch_execz .LBB56_29
.LBB56_10:                              ; =>This Loop Header: Depth=1
                                        ;     Child Loop BB56_13 Depth 2
	v_dual_mov_b32 v5, s5 :: v_dual_mov_b32 v28, v17
	s_mov_b32 s23, exec_lo
	ds_store_b8 v16, v1 offset:2048
	ds_store_b64 v18, v[10:11]
	s_wait_dscnt 0x0
	v_cmpx_lt_i32_e64 v4, v17
	s_cbranch_execz .LBB56_18
; %bb.11:                               ;   in Loop: Header=BB56_10 Depth=1
	v_dual_mov_b32 v28, v17 :: v_dual_ashrrev_i32 v5, 31, v4
	v_mul_lo_u32 v3, v27, s7
	s_mov_b32 s24, 0
	s_delay_alu instid0(VALU_DEP_2) | instskip(SKIP_1) | instid1(VALU_DEP_2)
	v_lshlrev_b64_e32 v[14:15], 2, v[4:5]
	v_mov_b32_e32 v5, s5
	v_add_nc_u64_e32 v[12:13], s[10:11], v[14:15]
	v_add_nc_u64_e32 v[14:15], s[8:9], v[14:15]
	s_branch .LBB56_13
.LBB56_12:                              ;   in Loop: Header=BB56_13 Depth=2
	s_wait_xcnt 0x0
	s_or_b32 exec_lo, exec_lo, s0
	v_add_nc_u32_e32 v4, 1, v4
	s_xor_b32 s25, vcc_lo, -1
	v_add_nc_u64_e32 v[12:13], 4, v[12:13]
	v_add_nc_u64_e32 v[14:15], 4, v[14:15]
	s_delay_alu instid0(VALU_DEP_3) | instskip(SKIP_1) | instid1(SALU_CYCLE_1)
	v_cmp_ge_i32_e64 s0, v4, v17
	s_or_b32 s0, s25, s0
	s_and_b32 s0, exec_lo, s0
	s_delay_alu instid0(SALU_CYCLE_1) | instskip(NEXT) | instid1(SALU_CYCLE_1)
	s_or_b32 s24, s0, s24
	s_and_not1_b32 exec_lo, exec_lo, s24
	s_cbranch_execz .LBB56_17
.LBB56_13:                              ;   Parent Loop BB56_10 Depth=1
                                        ; =>  This Inner Loop Header: Depth=2
	global_load_b32 v0, v[12:13], off
	s_wait_loadcnt 0x0
	v_subrev_nc_u32_e32 v29, s18, v0
	s_delay_alu instid0(VALU_DEP_1) | instskip(NEXT) | instid1(VALU_DEP_1)
	v_sub_nc_u32_e32 v0, 0, v29
	v_max_i32_e32 v0, v29, v0
	s_delay_alu instid0(VALU_DEP_1) | instskip(NEXT) | instid1(VALU_DEP_1)
	v_mul_u64_e32 v[30:31], s[16:17], v[0:1]
	v_mul_lo_u32 v30, v31, s20
	s_delay_alu instid0(VALU_DEP_1) | instskip(NEXT) | instid1(VALU_DEP_1)
	v_dual_sub_nc_u32 v0, v0, v30 :: v_dual_add_nc_u32 v30, 1, v31
	v_cmp_le_u32_e32 vcc_lo, s20, v0
	s_delay_alu instid0(VALU_DEP_2) | instskip(SKIP_1) | instid1(VALU_DEP_1)
	v_dual_cndmask_b32 v30, v31, v30 :: v_dual_ashrrev_i32 v31, 31, v29
	v_subrev_nc_u32_e32 v32, s20, v0
	v_dual_cndmask_b32 v0, v0, v32, vcc_lo :: v_dual_add_nc_u32 v32, 1, v30
	s_delay_alu instid0(VALU_DEP_1) | instskip(NEXT) | instid1(VALU_DEP_2)
	v_cmp_le_u32_e32 vcc_lo, s20, v0
	v_dual_cndmask_b32 v0, v30, v32, vcc_lo :: v_dual_bitop2_b32 v31, s1, v31 bitop3:0x14
	s_delay_alu instid0(VALU_DEP_1) | instskip(NEXT) | instid1(VALU_DEP_1)
	v_xor_b32_e32 v0, v0, v31
	v_sub_nc_u32_e32 v30, v0, v31
	v_mov_b32_e32 v0, v28
	s_delay_alu instid0(VALU_DEP_2) | instskip(SKIP_3) | instid1(SALU_CYCLE_1)
	v_cmp_ne_u32_e64 s0, v30, v27
	v_cmp_eq_u32_e32 vcc_lo, v30, v27
	s_wait_xcnt 0x0
	s_and_saveexec_b32 s25, s0
	s_xor_b32 s0, exec_lo, s25
; %bb.14:                               ;   in Loop: Header=BB56_13 Depth=2
	v_min_i32_e32 v5, v30, v5
                                        ; implicit-def: $vgpr29
                                        ; implicit-def: $vgpr0
; %bb.15:                               ;   in Loop: Header=BB56_13 Depth=2
	s_or_saveexec_b32 s0, s0
	v_mov_b32_e32 v28, v4
	s_xor_b32 exec_lo, exec_lo, s0
	s_cbranch_execz .LBB56_12
; %bb.16:                               ;   in Loop: Header=BB56_13 Depth=2
	global_load_b32 v30, v[14:15], off
	v_sub_nc_u32_e32 v28, v29, v3
	s_delay_alu instid0(VALU_DEP_1)
	v_lshl_add_u32 v29, v28, 2, v18
	v_mov_b32_e32 v28, v0
	ds_store_b8 v16, v26 offset:2048
	s_wait_loadcnt 0x0
	ds_store_b32 v29, v30
	s_branch .LBB56_12
.LBB56_17:                              ;   in Loop: Header=BB56_10 Depth=1
	s_or_b32 exec_lo, exec_lo, s24
.LBB56_18:                              ;   in Loop: Header=BB56_10 Depth=1
	s_delay_alu instid0(SALU_CYCLE_1)
	s_or_b32 exec_lo, exec_lo, s23
	s_wait_dscnt 0x0
	ds_load_u8 v0, v16 offset:2048
	ds_bpermute_b32 v4, v19, v28
	s_wait_dscnt 0x1
	v_and_b32_e32 v0, 1, v0
	s_delay_alu instid0(VALU_DEP_1)
	v_cmp_eq_u32_e32 vcc_lo, 1, v0
	v_mov_b32_e32 v0, 0
	s_and_saveexec_b32 s0, vcc_lo
	s_cbranch_execz .LBB56_9
; %bb.19:                               ;   in Loop: Header=BB56_10 Depth=1
	v_dual_ashrrev_i32 v3, 31, v2 :: v_dual_add_nc_u32 v0, s19, v27
	s_delay_alu instid0(VALU_DEP_1) | instskip(SKIP_2) | instid1(VALU_DEP_1)
	v_mul_u64_e32 v[12:13], s[14:15], v[2:3]
	global_store_b32 v2, v0, s[2:3] scale_offset
	v_lshlrev_b64_e32 v[12:13], 2, v[12:13]
	v_add_nc_u64_e32 v[14:15], v[6:7], v[12:13]
	v_add_nc_u64_e32 v[12:13], v[8:9], v[12:13]
	s_wait_xcnt 0x0
	s_and_saveexec_b32 s23, s6
	s_cbranch_execz .LBB56_23
; %bb.20:                               ;   in Loop: Header=BB56_10 Depth=1
	ds_load_b32 v0, v18
	s_and_b32 vcc_lo, exec_lo, s4
	s_cbranch_vccz .LBB56_26
; %bb.21:                               ;   in Loop: Header=BB56_10 Depth=1
	s_wait_dscnt 0x0
	global_store_b32 v[14:15], v0, off
	s_cbranch_execnz .LBB56_23
.LBB56_22:                              ;   in Loop: Header=BB56_10 Depth=1
	s_wait_dscnt 0x0
	global_store_b32 v[12:13], v0, off
.LBB56_23:                              ;   in Loop: Header=BB56_10 Depth=1
	s_wait_xcnt 0x0
	s_or_b32 exec_lo, exec_lo, s23
	s_and_saveexec_b32 s23, s21
	s_cbranch_execz .LBB56_8
; %bb.24:                               ;   in Loop: Header=BB56_10 Depth=1
	s_wait_dscnt 0x0
	ds_load_b32 v0, v18 offset:4
	s_and_not1_b32 vcc_lo, exec_lo, s4
	s_cbranch_vccnz .LBB56_27
; %bb.25:                               ;   in Loop: Header=BB56_10 Depth=1
	v_lshl_add_u64 v[14:15], s[12:13], 2, v[14:15]
	s_wait_dscnt 0x0
	global_store_b32 v[14:15], v0, off
	s_cbranch_execnz .LBB56_8
	s_branch .LBB56_28
.LBB56_26:                              ;   in Loop: Header=BB56_10 Depth=1
	s_branch .LBB56_22
.LBB56_27:                              ;   in Loop: Header=BB56_10 Depth=1
.LBB56_28:                              ;   in Loop: Header=BB56_10 Depth=1
	s_wait_dscnt 0x0
	global_store_b32 v[12:13], v0, off offset:4
	s_branch .LBB56_8
.LBB56_29:
	s_endpgm
	.section	.rodata,"a",@progbits
	.p2align	6, 0x0
	.amdhsa_kernel _ZN9rocsparseL44csr2gebsr_wavefront_per_row_multipass_kernelILi256ELi32ELi2ELi32EfEEv20rocsparse_direction_iiiiii21rocsparse_index_base_PKT3_PKiS7_S2_PS3_PiS9_
		.amdhsa_group_segment_fixed_size 2056
		.amdhsa_private_segment_fixed_size 0
		.amdhsa_kernarg_size 88
		.amdhsa_user_sgpr_count 2
		.amdhsa_user_sgpr_dispatch_ptr 0
		.amdhsa_user_sgpr_queue_ptr 0
		.amdhsa_user_sgpr_kernarg_segment_ptr 1
		.amdhsa_user_sgpr_dispatch_id 0
		.amdhsa_user_sgpr_kernarg_preload_length 0
		.amdhsa_user_sgpr_kernarg_preload_offset 0
		.amdhsa_user_sgpr_private_segment_size 0
		.amdhsa_wavefront_size32 1
		.amdhsa_uses_dynamic_stack 0
		.amdhsa_enable_private_segment 0
		.amdhsa_system_sgpr_workgroup_id_x 1
		.amdhsa_system_sgpr_workgroup_id_y 0
		.amdhsa_system_sgpr_workgroup_id_z 0
		.amdhsa_system_sgpr_workgroup_info 0
		.amdhsa_system_vgpr_workitem_id 0
		.amdhsa_next_free_vgpr 33
		.amdhsa_next_free_sgpr 26
		.amdhsa_named_barrier_count 0
		.amdhsa_reserve_vcc 1
		.amdhsa_float_round_mode_32 0
		.amdhsa_float_round_mode_16_64 0
		.amdhsa_float_denorm_mode_32 3
		.amdhsa_float_denorm_mode_16_64 3
		.amdhsa_fp16_overflow 0
		.amdhsa_memory_ordered 1
		.amdhsa_forward_progress 1
		.amdhsa_inst_pref_size 12
		.amdhsa_round_robin_scheduling 0
		.amdhsa_exception_fp_ieee_invalid_op 0
		.amdhsa_exception_fp_denorm_src 0
		.amdhsa_exception_fp_ieee_div_zero 0
		.amdhsa_exception_fp_ieee_overflow 0
		.amdhsa_exception_fp_ieee_underflow 0
		.amdhsa_exception_fp_ieee_inexact 0
		.amdhsa_exception_int_div_zero 0
	.end_amdhsa_kernel
	.section	.text._ZN9rocsparseL44csr2gebsr_wavefront_per_row_multipass_kernelILi256ELi32ELi2ELi32EfEEv20rocsparse_direction_iiiiii21rocsparse_index_base_PKT3_PKiS7_S2_PS3_PiS9_,"axG",@progbits,_ZN9rocsparseL44csr2gebsr_wavefront_per_row_multipass_kernelILi256ELi32ELi2ELi32EfEEv20rocsparse_direction_iiiiii21rocsparse_index_base_PKT3_PKiS7_S2_PS3_PiS9_,comdat
.Lfunc_end56:
	.size	_ZN9rocsparseL44csr2gebsr_wavefront_per_row_multipass_kernelILi256ELi32ELi2ELi32EfEEv20rocsparse_direction_iiiiii21rocsparse_index_base_PKT3_PKiS7_S2_PS3_PiS9_, .Lfunc_end56-_ZN9rocsparseL44csr2gebsr_wavefront_per_row_multipass_kernelILi256ELi32ELi2ELi32EfEEv20rocsparse_direction_iiiiii21rocsparse_index_base_PKT3_PKiS7_S2_PS3_PiS9_
                                        ; -- End function
	.set _ZN9rocsparseL44csr2gebsr_wavefront_per_row_multipass_kernelILi256ELi32ELi2ELi32EfEEv20rocsparse_direction_iiiiii21rocsparse_index_base_PKT3_PKiS7_S2_PS3_PiS9_.num_vgpr, 33
	.set _ZN9rocsparseL44csr2gebsr_wavefront_per_row_multipass_kernelILi256ELi32ELi2ELi32EfEEv20rocsparse_direction_iiiiii21rocsparse_index_base_PKT3_PKiS7_S2_PS3_PiS9_.num_agpr, 0
	.set _ZN9rocsparseL44csr2gebsr_wavefront_per_row_multipass_kernelILi256ELi32ELi2ELi32EfEEv20rocsparse_direction_iiiiii21rocsparse_index_base_PKT3_PKiS7_S2_PS3_PiS9_.numbered_sgpr, 26
	.set _ZN9rocsparseL44csr2gebsr_wavefront_per_row_multipass_kernelILi256ELi32ELi2ELi32EfEEv20rocsparse_direction_iiiiii21rocsparse_index_base_PKT3_PKiS7_S2_PS3_PiS9_.num_named_barrier, 0
	.set _ZN9rocsparseL44csr2gebsr_wavefront_per_row_multipass_kernelILi256ELi32ELi2ELi32EfEEv20rocsparse_direction_iiiiii21rocsparse_index_base_PKT3_PKiS7_S2_PS3_PiS9_.private_seg_size, 0
	.set _ZN9rocsparseL44csr2gebsr_wavefront_per_row_multipass_kernelILi256ELi32ELi2ELi32EfEEv20rocsparse_direction_iiiiii21rocsparse_index_base_PKT3_PKiS7_S2_PS3_PiS9_.uses_vcc, 1
	.set _ZN9rocsparseL44csr2gebsr_wavefront_per_row_multipass_kernelILi256ELi32ELi2ELi32EfEEv20rocsparse_direction_iiiiii21rocsparse_index_base_PKT3_PKiS7_S2_PS3_PiS9_.uses_flat_scratch, 0
	.set _ZN9rocsparseL44csr2gebsr_wavefront_per_row_multipass_kernelILi256ELi32ELi2ELi32EfEEv20rocsparse_direction_iiiiii21rocsparse_index_base_PKT3_PKiS7_S2_PS3_PiS9_.has_dyn_sized_stack, 0
	.set _ZN9rocsparseL44csr2gebsr_wavefront_per_row_multipass_kernelILi256ELi32ELi2ELi32EfEEv20rocsparse_direction_iiiiii21rocsparse_index_base_PKT3_PKiS7_S2_PS3_PiS9_.has_recursion, 0
	.set _ZN9rocsparseL44csr2gebsr_wavefront_per_row_multipass_kernelILi256ELi32ELi2ELi32EfEEv20rocsparse_direction_iiiiii21rocsparse_index_base_PKT3_PKiS7_S2_PS3_PiS9_.has_indirect_call, 0
	.section	.AMDGPU.csdata,"",@progbits
; Kernel info:
; codeLenInByte = 1444
; TotalNumSgprs: 28
; NumVgprs: 33
; ScratchSize: 0
; MemoryBound: 0
; FloatMode: 240
; IeeeMode: 1
; LDSByteSize: 2056 bytes/workgroup (compile time only)
; SGPRBlocks: 0
; VGPRBlocks: 2
; NumSGPRsForWavesPerEU: 28
; NumVGPRsForWavesPerEU: 33
; NamedBarCnt: 0
; Occupancy: 16
; WaveLimiterHint : 0
; COMPUTE_PGM_RSRC2:SCRATCH_EN: 0
; COMPUTE_PGM_RSRC2:USER_SGPR: 2
; COMPUTE_PGM_RSRC2:TRAP_HANDLER: 0
; COMPUTE_PGM_RSRC2:TGID_X_EN: 1
; COMPUTE_PGM_RSRC2:TGID_Y_EN: 0
; COMPUTE_PGM_RSRC2:TGID_Z_EN: 0
; COMPUTE_PGM_RSRC2:TIDIG_COMP_CNT: 0
	.section	.text._ZN9rocsparseL44csr2gebsr_wavefront_per_row_multipass_kernelILi256ELi32ELi4ELi64EfEEv20rocsparse_direction_iiiiii21rocsparse_index_base_PKT3_PKiS7_S2_PS3_PiS9_,"axG",@progbits,_ZN9rocsparseL44csr2gebsr_wavefront_per_row_multipass_kernelILi256ELi32ELi4ELi64EfEEv20rocsparse_direction_iiiiii21rocsparse_index_base_PKT3_PKiS7_S2_PS3_PiS9_,comdat
	.globl	_ZN9rocsparseL44csr2gebsr_wavefront_per_row_multipass_kernelILi256ELi32ELi4ELi64EfEEv20rocsparse_direction_iiiiii21rocsparse_index_base_PKT3_PKiS7_S2_PS3_PiS9_ ; -- Begin function _ZN9rocsparseL44csr2gebsr_wavefront_per_row_multipass_kernelILi256ELi32ELi4ELi64EfEEv20rocsparse_direction_iiiiii21rocsparse_index_base_PKT3_PKiS7_S2_PS3_PiS9_
	.p2align	8
	.type	_ZN9rocsparseL44csr2gebsr_wavefront_per_row_multipass_kernelILi256ELi32ELi4ELi64EfEEv20rocsparse_direction_iiiiii21rocsparse_index_base_PKT3_PKiS7_S2_PS3_PiS9_,@function
_ZN9rocsparseL44csr2gebsr_wavefront_per_row_multipass_kernelILi256ELi32ELi4ELi64EfEEv20rocsparse_direction_iiiiii21rocsparse_index_base_PKT3_PKiS7_S2_PS3_PiS9_: ; @_ZN9rocsparseL44csr2gebsr_wavefront_per_row_multipass_kernelILi256ELi32ELi4ELi64EfEEv20rocsparse_direction_iiiiii21rocsparse_index_base_PKT3_PKiS7_S2_PS3_PiS9_
; %bb.0:
	s_clause 0x1
	s_load_b128 s[4:7], s[0:1], 0xc
	s_load_b64 s[12:13], s[0:1], 0x0
	s_bfe_u32 s2, ttmp6, 0x4000c
	s_and_b32 s3, ttmp6, 15
	s_add_co_i32 s2, s2, 1
	s_getreg_b32 s8, hwreg(HW_REG_IB_STS2, 6, 4)
	s_mul_i32 s2, ttmp9, s2
	v_dual_lshrrev_b32 v20, 6, v0 :: v_dual_mov_b32 v2, 0
	s_add_co_i32 s3, s3, s2
	s_cmp_eq_u32 s8, 0
	v_bfe_u32 v1, v0, 1, 5
	s_cselect_b32 s2, ttmp9, s3
	s_clause 0x1
	s_load_b32 s18, s[0:1], 0x1c
	s_load_b64 s[8:9], s[0:1], 0x28
	v_lshl_or_b32 v3, s2, 2, v20
	v_mov_b32_e32 v10, 0
	s_wait_kmcnt 0x0
	s_delay_alu instid0(VALU_DEP_2) | instskip(SKIP_1) | instid1(VALU_DEP_2)
	v_mad_u32 v4, v3, s6, v1
	v_cmp_gt_i32_e32 vcc_lo, s6, v1
	v_cmp_gt_i32_e64 s2, s13, v4
	s_and_b32 s2, vcc_lo, s2
	s_delay_alu instid0(SALU_CYCLE_1)
	s_and_saveexec_b32 s3, s2
	s_cbranch_execz .LBB57_2
; %bb.1:
	global_load_b32 v5, v4, s[8:9] scale_offset
	s_wait_loadcnt 0x0
	v_subrev_nc_u32_e32 v10, s18, v5
.LBB57_2:
	s_or_b32 exec_lo, exec_lo, s3
	v_mov_b32_e32 v21, 0
	s_and_saveexec_b32 s3, s2
	s_cbranch_execz .LBB57_4
; %bb.3:
	global_load_b32 v4, v4, s[8:9] offset:4 scale_offset
	s_wait_loadcnt 0x0
	v_subrev_nc_u32_e32 v21, s18, v4
.LBB57_4:
	s_or_b32 exec_lo, exec_lo, s3
	s_load_b32 s19, s[0:1], 0x38
	s_mov_b32 s3, exec_lo
	v_cmpx_gt_i32_e64 s4, v3
	s_cbranch_execz .LBB57_6
; %bb.5:
	s_load_b64 s[8:9], s[0:1], 0x48
	s_wait_kmcnt 0x0
	global_load_b32 v2, v3, s[8:9] scale_offset
	s_wait_loadcnt 0x0
	v_subrev_nc_u32_e32 v2, s19, v2
.LBB57_6:
	s_or_b32 exec_lo, exec_lo, s3
	s_cmp_lt_i32 s5, 1
	s_cbranch_scc1 .LBB57_29
; %bb.7:
	v_mbcnt_lo_u32_b32 v3, -1, 0
	s_clause 0x3
	s_load_b64 s[2:3], s[0:1], 0x50
	s_load_b64 s[20:21], s[0:1], 0x40
	;; [unrolled: 1-line block ×4, first 2 shown]
	v_mul_lo_u32 v6, s7, v1
	v_and_b32_e32 v0, 1, v0
	s_cmp_lg_u32 s12, 0
	v_dual_lshlrev_b32 v5, 4, v1 :: v_dual_bitop2_b32 v4, 1, v3 bitop3:0x14
	s_mov_b32 s13, 0
	s_cselect_b32 s4, -1, 0
	s_mov_b32 s12, s6
	s_wait_xcnt 0x0
	v_cmp_gt_i32_e64 s0, 32, v4
	v_lshl_or_b32 v22, v20, 9, v5
	s_ashr_i32 s15, s7, 31
	v_dual_ashrrev_i32 v7, 31, v6 :: v_dual_lshlrev_b32 v8, 2, v0
	v_dual_cndmask_b32 v4, v3, v4, s0 :: v_dual_mov_b32 v5, 0
	s_mov_b32 s14, s7
	v_lshl_or_b32 v23, v3, 2, 4
	s_wait_kmcnt 0x0
	v_lshl_add_u64 v[12:13], v[6:7], 2, s[20:21]
	v_dual_lshlrev_b32 v24, 2, v4 :: v_dual_bitop2_b32 v11, 32, v3 bitop3:0x54
	v_dual_lshlrev_b32 v4, 2, v1 :: v_dual_bitop2_b32 v25, v22, v8 bitop3:0x54
	v_dual_mov_b32 v9, v5 :: v_dual_bitop2_b32 v1, 16, v3 bitop3:0x14
	s_delay_alu instid0(VALU_DEP_3) | instskip(NEXT) | instid1(VALU_DEP_3)
	v_cmp_gt_i32_e64 s0, 32, v11
	v_add_nc_u64_e32 v[6:7], s[20:21], v[4:5]
	s_mul_u64 s[16:17], s[14:15], s[12:13]
	v_add_nc_u64_e32 v[8:9], v[12:13], v[8:9]
	v_xor_b32_e32 v12, 2, v3
	v_cndmask_b32_e64 v11, v3, v11, s0
	v_cmp_gt_i32_e64 s0, 32, v1
	v_xor_b32_e32 v4, 8, v3
	s_abs_i32 s14, s7
	v_bfrev_b32_e32 v31, 0.5
	s_cvt_f32_u32 s1, s14
	v_dual_cndmask_b32 v14, v3, v1, s0 :: v_dual_mov_b32 v1, v5
	v_lshlrev_b32_e32 v26, 2, v11
	v_cmp_gt_i32_e64 s0, 32, v4
	v_xor_b32_e32 v11, 4, v3
	v_rcp_iflag_f32_e32 v13, s1
	v_dual_mov_b32 v32, 1 :: v_dual_lshlrev_b32 v27, 2, v14
	s_delay_alu instid0(VALU_DEP_3) | instskip(NEXT) | instid1(VALU_DEP_3)
	v_dual_mov_b32 v34, 0 :: v_dual_cndmask_b32 v4, v3, v4, s0
	v_cmp_gt_i32_e64 s0, 32, v11
	s_delay_alu instid0(VALU_DEP_2) | instskip(NEXT) | instid1(VALU_DEP_2)
	v_dual_mov_b32 v15, v5 :: v_dual_lshlrev_b32 v28, 2, v4
	v_cndmask_b32_e64 v11, v3, v11, s0
	v_cmp_gt_i32_e64 s0, 32, v12
	s_delay_alu instid0(VALU_DEP_1) | instskip(SKIP_2) | instid1(VALU_DEP_3)
	v_cndmask_b32_e64 v3, v3, v12, s0
	v_mul_lo_u32 v12, v0, s6
	v_readfirstlane_b32 s0, v13
	v_dual_mov_b32 v13, v5 :: v_dual_lshlrev_b32 v30, 2, v3
	v_or_b32_e32 v3, 2, v0
	s_mul_f32 s12, s0, 0x4f7ffffe
	v_cmp_gt_u32_e64 s0, s7, v0
	v_lshlrev_b32_e32 v29, 2, v11
	s_delay_alu instid0(SALU_CYCLE_1)
	s_cvt_u32_f32 s12, s12
	v_lshl_add_u32 v14, s6, 1, v12
	s_sub_co_i32 s6, 0, s14
	v_cmp_gt_u32_e64 s1, s7, v3
	s_mul_i32 s20, s6, s12
	s_and_b32 s6, s0, vcc_lo
	s_mul_hi_u32 s0, s12, s20
	s_mov_b32 s20, s13
	s_and_b32 s1, vcc_lo, s1
	s_add_co_i32 s12, s12, s0
	s_branch .LBB57_10
.LBB57_8:                               ;   in Loop: Header=BB57_10 Depth=1
	s_wait_xcnt 0x0
	s_or_b32 exec_lo, exec_lo, s21
	s_wait_dscnt 0x0
	v_mov_b32_e32 v3, 1
.LBB57_9:                               ;   in Loop: Header=BB57_10 Depth=1
	s_or_b32 exec_lo, exec_lo, s0
	ds_bpermute_b32 v4, v26, v33
	s_wait_storecnt_dscnt 0x0
	v_dual_add_nc_u32 v2, v3, v2 :: v_dual_min_i32 v4, v4, v33
	ds_bpermute_b32 v11, v27, v4
	s_wait_dscnt 0x0
	v_min_i32_e32 v4, v11, v4
	ds_bpermute_b32 v11, v28, v4
	s_wait_dscnt 0x0
	v_min_i32_e32 v4, v11, v4
	;; [unrolled: 3-line block ×5, first 2 shown]
	ds_bpermute_b32 v34, v31, v4
	s_wait_dscnt 0x0
	v_cmp_le_i32_e32 vcc_lo, s5, v34
	s_or_b32 s20, vcc_lo, s20
	s_delay_alu instid0(SALU_CYCLE_1)
	s_and_not1_b32 exec_lo, exec_lo, s20
	s_cbranch_execz .LBB57_29
.LBB57_10:                              ; =>This Loop Header: Depth=1
                                        ;     Child Loop BB57_13 Depth 2
	v_dual_add_nc_u32 v3, v10, v0 :: v_dual_mov_b32 v33, s5
	v_mov_b32_e32 v19, v21
	s_mov_b32 s21, exec_lo
	ds_store_b8 v20, v5 offset:2048
	ds_store_2addr_b32 v25, v5, v5 offset1:2
	s_wait_dscnt 0x0
	v_cmpx_lt_i32_e64 v3, v21
	s_cbranch_execz .LBB57_18
; %bb.11:                               ;   in Loop: Header=BB57_10 Depth=1
	v_dual_ashrrev_i32 v11, 31, v10 :: v_dual_mov_b32 v33, s5
	v_mul_lo_u32 v18, v34, s7
	v_mov_b32_e32 v19, v21
	s_mov_b32 s22, 0
	s_delay_alu instid0(VALU_DEP_3) | instskip(NEXT) | instid1(VALU_DEP_1)
	v_add_nc_u64_e32 v[10:11], v[0:1], v[10:11]
	v_lshlrev_b64_e32 v[16:17], 2, v[10:11]
	s_delay_alu instid0(VALU_DEP_1)
	v_add_nc_u64_e32 v[10:11], s[10:11], v[16:17]
	v_add_nc_u64_e32 v[16:17], s[8:9], v[16:17]
	s_branch .LBB57_13
.LBB57_12:                              ;   in Loop: Header=BB57_13 Depth=2
	s_wait_xcnt 0x0
	s_or_b32 exec_lo, exec_lo, s0
	v_add_nc_u32_e32 v3, 2, v3
	s_xor_b32 s23, vcc_lo, -1
	v_add_nc_u64_e32 v[10:11], 8, v[10:11]
	v_add_nc_u64_e32 v[16:17], 8, v[16:17]
	s_delay_alu instid0(VALU_DEP_3) | instskip(SKIP_1) | instid1(SALU_CYCLE_1)
	v_cmp_ge_i32_e64 s0, v3, v21
	s_or_b32 s0, s23, s0
	s_and_b32 s0, exec_lo, s0
	s_delay_alu instid0(SALU_CYCLE_1) | instskip(NEXT) | instid1(SALU_CYCLE_1)
	s_or_b32 s22, s0, s22
	s_and_not1_b32 exec_lo, exec_lo, s22
	s_cbranch_execz .LBB57_17
.LBB57_13:                              ;   Parent Loop BB57_10 Depth=1
                                        ; =>  This Inner Loop Header: Depth=2
	global_load_b32 v4, v[10:11], off
	s_wait_loadcnt 0x0
	v_subrev_nc_u32_e32 v35, s18, v4
	s_delay_alu instid0(VALU_DEP_1) | instskip(NEXT) | instid1(VALU_DEP_1)
	v_sub_nc_u32_e32 v4, 0, v35
	v_max_i32_e32 v4, v35, v4
	s_delay_alu instid0(VALU_DEP_1) | instskip(NEXT) | instid1(VALU_DEP_1)
	v_mul_u64_e32 v[36:37], s[12:13], v[4:5]
	v_mul_lo_u32 v36, v37, s14
	s_delay_alu instid0(VALU_DEP_1) | instskip(NEXT) | instid1(VALU_DEP_1)
	v_dual_sub_nc_u32 v4, v4, v36 :: v_dual_add_nc_u32 v36, 1, v37
	v_cmp_le_u32_e32 vcc_lo, s14, v4
	s_delay_alu instid0(VALU_DEP_2) | instskip(SKIP_1) | instid1(VALU_DEP_1)
	v_cndmask_b32_e32 v36, v37, v36, vcc_lo
	v_subrev_nc_u32_e32 v38, s14, v4
	v_dual_cndmask_b32 v4, v4, v38 :: v_dual_ashrrev_i32 v37, 31, v35
	s_delay_alu instid0(VALU_DEP_3) | instskip(NEXT) | instid1(VALU_DEP_2)
	v_add_nc_u32_e32 v38, 1, v36
	v_cmp_le_u32_e32 vcc_lo, s14, v4
	s_delay_alu instid0(VALU_DEP_2) | instskip(NEXT) | instid1(VALU_DEP_1)
	v_dual_cndmask_b32 v4, v36, v38, vcc_lo :: v_dual_bitop2_b32 v37, s15, v37 bitop3:0x14
	v_xor_b32_e32 v4, v4, v37
	s_delay_alu instid0(VALU_DEP_1) | instskip(NEXT) | instid1(VALU_DEP_1)
	v_dual_sub_nc_u32 v36, v4, v37 :: v_dual_mov_b32 v4, v19
	v_cmp_ne_u32_e64 s0, v36, v34
	v_cmp_eq_u32_e32 vcc_lo, v36, v34
	s_wait_xcnt 0x0
	s_and_saveexec_b32 s23, s0
	s_delay_alu instid0(SALU_CYCLE_1)
	s_xor_b32 s0, exec_lo, s23
; %bb.14:                               ;   in Loop: Header=BB57_13 Depth=2
	v_min_i32_e32 v33, v36, v33
                                        ; implicit-def: $vgpr35
                                        ; implicit-def: $vgpr4
; %bb.15:                               ;   in Loop: Header=BB57_13 Depth=2
	s_or_saveexec_b32 s0, s0
	v_mov_b32_e32 v19, v3
	s_xor_b32 exec_lo, exec_lo, s0
	s_cbranch_execz .LBB57_12
; %bb.16:                               ;   in Loop: Header=BB57_13 Depth=2
	global_load_b32 v36, v[16:17], off
	v_sub_nc_u32_e32 v19, v35, v18
	s_delay_alu instid0(VALU_DEP_1)
	v_lshl_add_u32 v35, v19, 2, v22
	v_mov_b32_e32 v19, v4
	ds_store_b8 v20, v32 offset:2048
	s_wait_loadcnt 0x0
	ds_store_b32 v35, v36
	s_branch .LBB57_12
.LBB57_17:                              ;   in Loop: Header=BB57_10 Depth=1
	s_or_b32 exec_lo, exec_lo, s22
.LBB57_18:                              ;   in Loop: Header=BB57_10 Depth=1
	s_delay_alu instid0(SALU_CYCLE_1)
	s_or_b32 exec_lo, exec_lo, s21
	ds_bpermute_b32 v3, v24, v19
	s_wait_dscnt 0x0
	ds_load_u8 v4, v20 offset:2048
	v_min_i32_e32 v3, v3, v19
	ds_bpermute_b32 v10, v23, v3
	s_wait_dscnt 0x1
	v_and_b32_e32 v3, 1, v4
	s_delay_alu instid0(VALU_DEP_1)
	v_cmp_eq_u32_e32 vcc_lo, 1, v3
	v_mov_b32_e32 v3, 0
	s_and_saveexec_b32 s0, vcc_lo
	s_cbranch_execz .LBB57_9
; %bb.19:                               ;   in Loop: Header=BB57_10 Depth=1
	v_ashrrev_i32_e32 v3, 31, v2
	s_delay_alu instid0(VALU_DEP_1) | instskip(SKIP_3) | instid1(VALU_DEP_1)
	v_mul_u64_e32 v[16:17], s[16:17], v[2:3]
	v_add_nc_u32_e32 v3, s19, v34
	global_store_b32 v2, v3, s[2:3] scale_offset
	v_lshlrev_b64_e32 v[16:17], 2, v[16:17]
	v_add_nc_u64_e32 v[18:19], v[6:7], v[16:17]
	v_add_nc_u64_e32 v[16:17], v[8:9], v[16:17]
	s_wait_xcnt 0x0
	s_and_saveexec_b32 s21, s6
	s_cbranch_execz .LBB57_23
; %bb.20:                               ;   in Loop: Header=BB57_10 Depth=1
	ds_load_b32 v3, v25
	s_and_b32 vcc_lo, exec_lo, s4
	s_cbranch_vccz .LBB57_26
; %bb.21:                               ;   in Loop: Header=BB57_10 Depth=1
	v_lshl_add_u64 v[34:35], v[12:13], 2, v[18:19]
	s_wait_dscnt 0x0
	global_store_b32 v[34:35], v3, off
	s_cbranch_execnz .LBB57_23
.LBB57_22:                              ;   in Loop: Header=BB57_10 Depth=1
	s_wait_dscnt 0x0
	global_store_b32 v[16:17], v3, off
.LBB57_23:                              ;   in Loop: Header=BB57_10 Depth=1
	s_wait_xcnt 0x0
	s_or_b32 exec_lo, exec_lo, s21
	s_and_saveexec_b32 s21, s1
	s_cbranch_execz .LBB57_8
; %bb.24:                               ;   in Loop: Header=BB57_10 Depth=1
	s_and_not1_b32 vcc_lo, exec_lo, s4
	s_cbranch_vccnz .LBB57_27
; %bb.25:                               ;   in Loop: Header=BB57_10 Depth=1
	s_wait_dscnt 0x0
	ds_load_b32 v3, v25 offset:8
	v_lshl_add_u64 v[18:19], v[14:15], 2, v[18:19]
	s_wait_dscnt 0x0
	global_store_b32 v[18:19], v3, off
	s_cbranch_execnz .LBB57_8
	s_branch .LBB57_28
.LBB57_26:                              ;   in Loop: Header=BB57_10 Depth=1
	s_branch .LBB57_22
.LBB57_27:                              ;   in Loop: Header=BB57_10 Depth=1
.LBB57_28:                              ;   in Loop: Header=BB57_10 Depth=1
	s_wait_dscnt 0x0
	s_wait_xcnt 0x0
	ds_load_b32 v3, v25 offset:8
	s_wait_dscnt 0x0
	global_store_b32 v[16:17], v3, off offset:8
	s_branch .LBB57_8
.LBB57_29:
	s_endpgm
	.section	.rodata,"a",@progbits
	.p2align	6, 0x0
	.amdhsa_kernel _ZN9rocsparseL44csr2gebsr_wavefront_per_row_multipass_kernelILi256ELi32ELi4ELi64EfEEv20rocsparse_direction_iiiiii21rocsparse_index_base_PKT3_PKiS7_S2_PS3_PiS9_
		.amdhsa_group_segment_fixed_size 2052
		.amdhsa_private_segment_fixed_size 0
		.amdhsa_kernarg_size 88
		.amdhsa_user_sgpr_count 2
		.amdhsa_user_sgpr_dispatch_ptr 0
		.amdhsa_user_sgpr_queue_ptr 0
		.amdhsa_user_sgpr_kernarg_segment_ptr 1
		.amdhsa_user_sgpr_dispatch_id 0
		.amdhsa_user_sgpr_kernarg_preload_length 0
		.amdhsa_user_sgpr_kernarg_preload_offset 0
		.amdhsa_user_sgpr_private_segment_size 0
		.amdhsa_wavefront_size32 1
		.amdhsa_uses_dynamic_stack 0
		.amdhsa_enable_private_segment 0
		.amdhsa_system_sgpr_workgroup_id_x 1
		.amdhsa_system_sgpr_workgroup_id_y 0
		.amdhsa_system_sgpr_workgroup_id_z 0
		.amdhsa_system_sgpr_workgroup_info 0
		.amdhsa_system_vgpr_workitem_id 0
		.amdhsa_next_free_vgpr 39
		.amdhsa_next_free_sgpr 24
		.amdhsa_named_barrier_count 0
		.amdhsa_reserve_vcc 1
		.amdhsa_float_round_mode_32 0
		.amdhsa_float_round_mode_16_64 0
		.amdhsa_float_denorm_mode_32 3
		.amdhsa_float_denorm_mode_16_64 3
		.amdhsa_fp16_overflow 0
		.amdhsa_memory_ordered 1
		.amdhsa_forward_progress 1
		.amdhsa_inst_pref_size 13
		.amdhsa_round_robin_scheduling 0
		.amdhsa_exception_fp_ieee_invalid_op 0
		.amdhsa_exception_fp_denorm_src 0
		.amdhsa_exception_fp_ieee_div_zero 0
		.amdhsa_exception_fp_ieee_overflow 0
		.amdhsa_exception_fp_ieee_underflow 0
		.amdhsa_exception_fp_ieee_inexact 0
		.amdhsa_exception_int_div_zero 0
	.end_amdhsa_kernel
	.section	.text._ZN9rocsparseL44csr2gebsr_wavefront_per_row_multipass_kernelILi256ELi32ELi4ELi64EfEEv20rocsparse_direction_iiiiii21rocsparse_index_base_PKT3_PKiS7_S2_PS3_PiS9_,"axG",@progbits,_ZN9rocsparseL44csr2gebsr_wavefront_per_row_multipass_kernelILi256ELi32ELi4ELi64EfEEv20rocsparse_direction_iiiiii21rocsparse_index_base_PKT3_PKiS7_S2_PS3_PiS9_,comdat
.Lfunc_end57:
	.size	_ZN9rocsparseL44csr2gebsr_wavefront_per_row_multipass_kernelILi256ELi32ELi4ELi64EfEEv20rocsparse_direction_iiiiii21rocsparse_index_base_PKT3_PKiS7_S2_PS3_PiS9_, .Lfunc_end57-_ZN9rocsparseL44csr2gebsr_wavefront_per_row_multipass_kernelILi256ELi32ELi4ELi64EfEEv20rocsparse_direction_iiiiii21rocsparse_index_base_PKT3_PKiS7_S2_PS3_PiS9_
                                        ; -- End function
	.set _ZN9rocsparseL44csr2gebsr_wavefront_per_row_multipass_kernelILi256ELi32ELi4ELi64EfEEv20rocsparse_direction_iiiiii21rocsparse_index_base_PKT3_PKiS7_S2_PS3_PiS9_.num_vgpr, 39
	.set _ZN9rocsparseL44csr2gebsr_wavefront_per_row_multipass_kernelILi256ELi32ELi4ELi64EfEEv20rocsparse_direction_iiiiii21rocsparse_index_base_PKT3_PKiS7_S2_PS3_PiS9_.num_agpr, 0
	.set _ZN9rocsparseL44csr2gebsr_wavefront_per_row_multipass_kernelILi256ELi32ELi4ELi64EfEEv20rocsparse_direction_iiiiii21rocsparse_index_base_PKT3_PKiS7_S2_PS3_PiS9_.numbered_sgpr, 24
	.set _ZN9rocsparseL44csr2gebsr_wavefront_per_row_multipass_kernelILi256ELi32ELi4ELi64EfEEv20rocsparse_direction_iiiiii21rocsparse_index_base_PKT3_PKiS7_S2_PS3_PiS9_.num_named_barrier, 0
	.set _ZN9rocsparseL44csr2gebsr_wavefront_per_row_multipass_kernelILi256ELi32ELi4ELi64EfEEv20rocsparse_direction_iiiiii21rocsparse_index_base_PKT3_PKiS7_S2_PS3_PiS9_.private_seg_size, 0
	.set _ZN9rocsparseL44csr2gebsr_wavefront_per_row_multipass_kernelILi256ELi32ELi4ELi64EfEEv20rocsparse_direction_iiiiii21rocsparse_index_base_PKT3_PKiS7_S2_PS3_PiS9_.uses_vcc, 1
	.set _ZN9rocsparseL44csr2gebsr_wavefront_per_row_multipass_kernelILi256ELi32ELi4ELi64EfEEv20rocsparse_direction_iiiiii21rocsparse_index_base_PKT3_PKiS7_S2_PS3_PiS9_.uses_flat_scratch, 0
	.set _ZN9rocsparseL44csr2gebsr_wavefront_per_row_multipass_kernelILi256ELi32ELi4ELi64EfEEv20rocsparse_direction_iiiiii21rocsparse_index_base_PKT3_PKiS7_S2_PS3_PiS9_.has_dyn_sized_stack, 0
	.set _ZN9rocsparseL44csr2gebsr_wavefront_per_row_multipass_kernelILi256ELi32ELi4ELi64EfEEv20rocsparse_direction_iiiiii21rocsparse_index_base_PKT3_PKiS7_S2_PS3_PiS9_.has_recursion, 0
	.set _ZN9rocsparseL44csr2gebsr_wavefront_per_row_multipass_kernelILi256ELi32ELi4ELi64EfEEv20rocsparse_direction_iiiiii21rocsparse_index_base_PKT3_PKiS7_S2_PS3_PiS9_.has_indirect_call, 0
	.section	.AMDGPU.csdata,"",@progbits
; Kernel info:
; codeLenInByte = 1596
; TotalNumSgprs: 26
; NumVgprs: 39
; ScratchSize: 0
; MemoryBound: 0
; FloatMode: 240
; IeeeMode: 1
; LDSByteSize: 2052 bytes/workgroup (compile time only)
; SGPRBlocks: 0
; VGPRBlocks: 2
; NumSGPRsForWavesPerEU: 26
; NumVGPRsForWavesPerEU: 39
; NamedBarCnt: 0
; Occupancy: 16
; WaveLimiterHint : 0
; COMPUTE_PGM_RSRC2:SCRATCH_EN: 0
; COMPUTE_PGM_RSRC2:USER_SGPR: 2
; COMPUTE_PGM_RSRC2:TRAP_HANDLER: 0
; COMPUTE_PGM_RSRC2:TGID_X_EN: 1
; COMPUTE_PGM_RSRC2:TGID_Y_EN: 0
; COMPUTE_PGM_RSRC2:TGID_Z_EN: 0
; COMPUTE_PGM_RSRC2:TIDIG_COMP_CNT: 0
	.section	.text._ZN9rocsparseL44csr2gebsr_wavefront_per_row_multipass_kernelILi256ELi32ELi4ELi32EfEEv20rocsparse_direction_iiiiii21rocsparse_index_base_PKT3_PKiS7_S2_PS3_PiS9_,"axG",@progbits,_ZN9rocsparseL44csr2gebsr_wavefront_per_row_multipass_kernelILi256ELi32ELi4ELi32EfEEv20rocsparse_direction_iiiiii21rocsparse_index_base_PKT3_PKiS7_S2_PS3_PiS9_,comdat
	.globl	_ZN9rocsparseL44csr2gebsr_wavefront_per_row_multipass_kernelILi256ELi32ELi4ELi32EfEEv20rocsparse_direction_iiiiii21rocsparse_index_base_PKT3_PKiS7_S2_PS3_PiS9_ ; -- Begin function _ZN9rocsparseL44csr2gebsr_wavefront_per_row_multipass_kernelILi256ELi32ELi4ELi32EfEEv20rocsparse_direction_iiiiii21rocsparse_index_base_PKT3_PKiS7_S2_PS3_PiS9_
	.p2align	8
	.type	_ZN9rocsparseL44csr2gebsr_wavefront_per_row_multipass_kernelILi256ELi32ELi4ELi32EfEEv20rocsparse_direction_iiiiii21rocsparse_index_base_PKT3_PKiS7_S2_PS3_PiS9_,@function
_ZN9rocsparseL44csr2gebsr_wavefront_per_row_multipass_kernelILi256ELi32ELi4ELi32EfEEv20rocsparse_direction_iiiiii21rocsparse_index_base_PKT3_PKiS7_S2_PS3_PiS9_: ; @_ZN9rocsparseL44csr2gebsr_wavefront_per_row_multipass_kernelILi256ELi32ELi4ELi32EfEEv20rocsparse_direction_iiiiii21rocsparse_index_base_PKT3_PKiS7_S2_PS3_PiS9_
; %bb.0:
	s_clause 0x1
	s_load_b128 s[4:7], s[0:1], 0xc
	s_load_b64 s[12:13], s[0:1], 0x0
	s_bfe_u32 s2, ttmp6, 0x4000c
	s_and_b32 s3, ttmp6, 15
	s_add_co_i32 s2, s2, 1
	s_getreg_b32 s8, hwreg(HW_REG_IB_STS2, 6, 4)
	s_mul_i32 s2, ttmp9, s2
	v_dual_lshrrev_b32 v18, 5, v0 :: v_dual_bitop2_b32 v1, 31, v0 bitop3:0x40
	s_add_co_i32 s3, s3, s2
	s_cmp_eq_u32 s8, 0
	s_clause 0x1
	s_load_b32 s22, s[0:1], 0x1c
	s_load_b64 s[8:9], s[0:1], 0x28
	s_cselect_b32 s2, ttmp9, s3
	v_dual_mov_b32 v4, 0 :: v_dual_mov_b32 v6, 0
	v_lshl_or_b32 v2, s2, 3, v18
	s_wait_kmcnt 0x0
	s_delay_alu instid0(VALU_DEP_1) | instskip(SKIP_1) | instid1(VALU_DEP_2)
	v_mad_u32 v3, v2, s6, v1
	v_cmp_gt_i32_e32 vcc_lo, s6, v1
	v_cmp_gt_i32_e64 s2, s13, v3
	s_and_b32 s2, vcc_lo, s2
	s_delay_alu instid0(SALU_CYCLE_1)
	s_and_saveexec_b32 s3, s2
	s_cbranch_execz .LBB58_2
; %bb.1:
	global_load_b32 v5, v3, s[8:9] scale_offset
	s_wait_loadcnt 0x0
	v_subrev_nc_u32_e32 v6, s22, v5
.LBB58_2:
	s_or_b32 exec_lo, exec_lo, s3
	v_mov_b32_e32 v19, 0
	s_and_saveexec_b32 s3, s2
	s_cbranch_execz .LBB58_4
; %bb.3:
	global_load_b32 v3, v3, s[8:9] offset:4 scale_offset
	s_wait_loadcnt 0x0
	v_subrev_nc_u32_e32 v19, s22, v3
.LBB58_4:
	s_or_b32 exec_lo, exec_lo, s3
	s_load_b32 s23, s[0:1], 0x38
	s_mov_b32 s3, exec_lo
	v_cmpx_gt_i32_e64 s4, v2
	s_cbranch_execz .LBB58_6
; %bb.5:
	s_load_b64 s[8:9], s[0:1], 0x48
	s_wait_kmcnt 0x0
	global_load_b32 v2, v2, s[8:9] scale_offset
	s_wait_loadcnt 0x0
	v_subrev_nc_u32_e32 v4, s23, v2
.LBB58_6:
	s_or_b32 exec_lo, exec_lo, s3
	s_cmp_lt_i32 s5, 1
	s_cbranch_scc1 .LBB58_39
; %bb.7:
	s_cmp_lg_u32 s12, 0
	v_mbcnt_lo_u32_b32 v2, -1, 0
	s_clause 0x3
	s_load_b64 s[16:17], s[0:1], 0x40
	s_load_b64 s[2:3], s[0:1], 0x50
	;; [unrolled: 1-line block ×4, first 2 shown]
	v_lshlrev_b32_e32 v20, 4, v0
	v_mul_lo_u32 v0, s7, v1
	s_cselect_b32 s4, -1, 0
	s_wait_xcnt 0x0
	s_ashr_i32 s1, s7, 31
	s_cmp_lg_u32 s7, 0
	s_mov_b32 s13, 0
	s_cselect_b32 s18, -1, 0
	s_mov_b32 s12, s6
	s_and_b32 s24, vcc_lo, s18
	s_mov_b32 s0, s7
	s_cmp_gt_u32 s7, 1
	s_mul_u64 s[14:15], s[0:1], s[12:13]
	s_cselect_b32 s0, -1, 0
	v_dual_mov_b32 v9, 0 :: v_dual_lshlrev_b32 v8, 2, v1
	v_dual_ashrrev_i32 v1, 31, v0 :: v_dual_bitop2_b32 v3, 16, v2 bitop3:0x14
	s_and_b32 s25, vcc_lo, s0
	s_cmp_gt_u32 s7, 2
	s_wait_kmcnt 0x0
	v_add_nc_u64_e32 v[10:11], s[16:17], v[8:9]
	s_cselect_b32 s0, -1, 0
	v_lshl_add_u64 v[12:13], v[0:1], 2, s[16:17]
	s_and_b32 s26, vcc_lo, s0
	v_cmp_gt_i32_e64 s0, 32, v3
	s_lshl_b32 s16, s6, 1
	s_cmp_gt_u32 s7, 3
	v_xor_b32_e32 v1, 8, v2
	s_cselect_b32 s18, -1, 0
	s_abs_i32 s27, s7
	v_cndmask_b32_e64 v0, v2, v3, s0
	s_cvt_f32_u32 s0, s27
	v_lshlrev_b32_e32 v21, 2, v2
	s_sub_co_i32 s19, 0, s27
	s_and_b32 s28, vcc_lo, s18
	v_dual_lshlrev_b32 v22, 2, v0 :: v_dual_bitop2_b32 v0, 4, v2 bitop3:0x14
	v_rcp_iflag_f32_e32 v5, s0
	v_cmp_gt_i32_e64 s0, 32, v1
	v_xor_b32_e32 v3, 2, v2
	s_mul_i32 s18, s6, 3
	v_mov_b32_e32 v27, 0x7c
	v_dual_mov_b32 v29, 0 :: v_dual_cndmask_b32 v1, v2, v1, s0
	v_cmp_gt_i32_e64 s0, 32, v0
	v_xor_b32_e32 v7, 1, v2
	v_readfirstlane_b32 s17, v5
	s_delay_alu instid0(VALU_DEP_4) | instskip(NEXT) | instid1(VALU_DEP_4)
	v_dual_mov_b32 v28, 1 :: v_dual_lshlrev_b32 v23, 2, v1
	v_cndmask_b32_e64 v0, v2, v0, s0
	v_cmp_gt_i32_e64 s0, 32, v3
	v_mov_b32_e32 v1, v9
	s_mov_b32 s21, s13
	v_dual_lshlrev_b32 v24, 2, v0 :: v_dual_cndmask_b32 v3, v2, v3, s0
	v_cmp_gt_i32_e64 s0, 32, v7
	s_delay_alu instid0(VALU_DEP_1) | instskip(SKIP_1) | instid1(VALU_DEP_3)
	v_dual_mov_b32 v0, v9 :: v_dual_cndmask_b32 v2, v2, v7, s0
	s_mul_f32 s0, s17, 0x4f7ffffe
	v_dual_lshlrev_b32 v25, 2, v3 :: v_dual_mov_b32 v3, v9
	s_mov_b32 s17, s13
	s_delay_alu instid0(SALU_CYCLE_1) | instskip(SKIP_1) | instid1(SALU_CYCLE_2)
	s_cvt_u32_f32 s0, s0
	v_dual_lshlrev_b32 v26, 2, v2 :: v_dual_mov_b32 v2, v9
	s_mul_i32 s6, s19, s0
	s_mov_b32 s19, s13
	s_mul_hi_u32 s6, s0, s6
	s_delay_alu instid0(SALU_CYCLE_1)
	s_add_co_i32 s20, s0, s6
	s_mov_b32 s6, s13
	s_branch .LBB58_10
.LBB58_8:                               ;   in Loop: Header=BB58_10 Depth=1
	s_wait_xcnt 0x0
	s_or_b32 exec_lo, exec_lo, s29
	s_wait_dscnt 0x0
	v_mov_b32_e32 v5, 1
.LBB58_9:                               ;   in Loop: Header=BB58_10 Depth=1
	s_or_b32 exec_lo, exec_lo, s0
	ds_bpermute_b32 v8, v22, v7
	s_wait_storecnt_dscnt 0x0
	v_dual_add_nc_u32 v4, v5, v4 :: v_dual_min_i32 v7, v8, v7
	ds_bpermute_b32 v8, v23, v7
	s_wait_dscnt 0x0
	v_min_i32_e32 v7, v8, v7
	ds_bpermute_b32 v8, v24, v7
	s_wait_dscnt 0x0
	v_min_i32_e32 v7, v8, v7
	;; [unrolled: 3-line block ×4, first 2 shown]
	ds_bpermute_b32 v29, v27, v7
	s_wait_dscnt 0x0
	v_cmp_le_i32_e32 vcc_lo, s5, v29
	s_or_b32 s6, vcc_lo, s6
	s_delay_alu instid0(SALU_CYCLE_1)
	s_and_not1_b32 exec_lo, exec_lo, s6
	s_cbranch_execz .LBB58_39
.LBB58_10:                              ; =>This Loop Header: Depth=1
                                        ;     Child Loop BB58_13 Depth 2
	v_dual_mov_b32 v7, s5 :: v_dual_mov_b32 v30, v19
	s_mov_b32 s29, exec_lo
	ds_store_b8 v18, v9 offset:4096
	ds_store_b128 v20, v[0:3]
	s_wait_dscnt 0x0
	v_cmpx_lt_i32_e64 v6, v19
	s_cbranch_execz .LBB58_18
; %bb.11:                               ;   in Loop: Header=BB58_10 Depth=1
	v_dual_mov_b32 v30, v19 :: v_dual_ashrrev_i32 v7, 31, v6
	v_mul_lo_u32 v5, v29, s7
	s_mov_b32 s30, 0
	s_delay_alu instid0(VALU_DEP_2) | instskip(SKIP_1) | instid1(VALU_DEP_2)
	v_lshlrev_b64_e32 v[16:17], 2, v[6:7]
	v_mov_b32_e32 v7, s5
	v_add_nc_u64_e32 v[14:15], s[10:11], v[16:17]
	v_add_nc_u64_e32 v[16:17], s[8:9], v[16:17]
	s_branch .LBB58_13
.LBB58_12:                              ;   in Loop: Header=BB58_13 Depth=2
	s_wait_xcnt 0x0
	s_or_b32 exec_lo, exec_lo, s0
	v_add_nc_u32_e32 v6, 1, v6
	s_xor_b32 s31, vcc_lo, -1
	v_add_nc_u64_e32 v[14:15], 4, v[14:15]
	v_add_nc_u64_e32 v[16:17], 4, v[16:17]
	s_delay_alu instid0(VALU_DEP_3) | instskip(SKIP_1) | instid1(SALU_CYCLE_1)
	v_cmp_ge_i32_e64 s0, v6, v19
	s_or_b32 s0, s31, s0
	s_and_b32 s0, exec_lo, s0
	s_delay_alu instid0(SALU_CYCLE_1) | instskip(NEXT) | instid1(SALU_CYCLE_1)
	s_or_b32 s30, s0, s30
	s_and_not1_b32 exec_lo, exec_lo, s30
	s_cbranch_execz .LBB58_17
.LBB58_13:                              ;   Parent Loop BB58_10 Depth=1
                                        ; =>  This Inner Loop Header: Depth=2
	global_load_b32 v8, v[14:15], off
	s_wait_loadcnt 0x0
	v_subrev_nc_u32_e32 v31, s22, v8
	s_delay_alu instid0(VALU_DEP_1) | instskip(NEXT) | instid1(VALU_DEP_1)
	v_sub_nc_u32_e32 v8, 0, v31
	v_max_i32_e32 v8, v31, v8
	s_delay_alu instid0(VALU_DEP_1) | instskip(NEXT) | instid1(VALU_DEP_1)
	v_mul_u64_e32 v[32:33], s[20:21], v[8:9]
	v_mul_lo_u32 v32, v33, s27
	s_delay_alu instid0(VALU_DEP_1) | instskip(NEXT) | instid1(VALU_DEP_1)
	v_dual_sub_nc_u32 v8, v8, v32 :: v_dual_add_nc_u32 v32, 1, v33
	v_cmp_le_u32_e32 vcc_lo, s27, v8
	s_delay_alu instid0(VALU_DEP_2) | instskip(SKIP_1) | instid1(VALU_DEP_1)
	v_cndmask_b32_e32 v32, v33, v32, vcc_lo
	v_subrev_nc_u32_e32 v34, s27, v8
	v_dual_cndmask_b32 v8, v8, v34 :: v_dual_ashrrev_i32 v33, 31, v31
	s_delay_alu instid0(VALU_DEP_3) | instskip(NEXT) | instid1(VALU_DEP_2)
	v_add_nc_u32_e32 v34, 1, v32
	v_cmp_le_u32_e32 vcc_lo, s27, v8
	s_delay_alu instid0(VALU_DEP_2) | instskip(NEXT) | instid1(VALU_DEP_1)
	v_dual_cndmask_b32 v8, v32, v34, vcc_lo :: v_dual_bitop2_b32 v33, s1, v33 bitop3:0x14
	v_xor_b32_e32 v8, v8, v33
	s_delay_alu instid0(VALU_DEP_1) | instskip(NEXT) | instid1(VALU_DEP_1)
	v_dual_sub_nc_u32 v32, v8, v33 :: v_dual_mov_b32 v8, v30
	v_cmp_ne_u32_e64 s0, v32, v29
	v_cmp_eq_u32_e32 vcc_lo, v32, v29
	s_wait_xcnt 0x0
	s_and_saveexec_b32 s31, s0
	s_delay_alu instid0(SALU_CYCLE_1)
	s_xor_b32 s0, exec_lo, s31
; %bb.14:                               ;   in Loop: Header=BB58_13 Depth=2
	v_min_i32_e32 v7, v32, v7
                                        ; implicit-def: $vgpr31
                                        ; implicit-def: $vgpr8
; %bb.15:                               ;   in Loop: Header=BB58_13 Depth=2
	s_or_saveexec_b32 s0, s0
	v_mov_b32_e32 v30, v6
	s_xor_b32 exec_lo, exec_lo, s0
	s_cbranch_execz .LBB58_12
; %bb.16:                               ;   in Loop: Header=BB58_13 Depth=2
	global_load_b32 v32, v[16:17], off
	v_sub_nc_u32_e32 v30, v31, v5
	s_delay_alu instid0(VALU_DEP_1)
	v_lshl_add_u32 v31, v30, 2, v20
	v_mov_b32_e32 v30, v8
	ds_store_b8 v18, v28 offset:4096
	s_wait_loadcnt 0x0
	ds_store_b32 v31, v32
	s_branch .LBB58_12
.LBB58_17:                              ;   in Loop: Header=BB58_10 Depth=1
	s_or_b32 exec_lo, exec_lo, s30
.LBB58_18:                              ;   in Loop: Header=BB58_10 Depth=1
	s_delay_alu instid0(SALU_CYCLE_1)
	s_or_b32 exec_lo, exec_lo, s29
	s_wait_dscnt 0x0
	ds_load_u8 v5, v18 offset:4096
	ds_bpermute_b32 v6, v21, v30
	s_wait_dscnt 0x1
	v_and_b32_e32 v5, 1, v5
	s_delay_alu instid0(VALU_DEP_1)
	v_cmp_eq_u32_e32 vcc_lo, 1, v5
	v_mov_b32_e32 v5, 0
	s_and_saveexec_b32 s0, vcc_lo
	s_cbranch_execz .LBB58_9
; %bb.19:                               ;   in Loop: Header=BB58_10 Depth=1
	v_ashrrev_i32_e32 v5, 31, v4
	s_delay_alu instid0(VALU_DEP_1) | instskip(SKIP_3) | instid1(VALU_DEP_1)
	v_mul_u64_e32 v[14:15], s[14:15], v[4:5]
	v_add_nc_u32_e32 v5, s23, v29
	global_store_b32 v4, v5, s[2:3] scale_offset
	v_lshlrev_b64_e32 v[14:15], 2, v[14:15]
	v_add_nc_u64_e32 v[16:17], v[10:11], v[14:15]
	v_add_nc_u64_e32 v[14:15], v[12:13], v[14:15]
	s_wait_xcnt 0x0
	s_and_saveexec_b32 s29, s24
	s_cbranch_execz .LBB58_23
; %bb.20:                               ;   in Loop: Header=BB58_10 Depth=1
	ds_load_b32 v5, v20
	s_and_b32 vcc_lo, exec_lo, s4
	s_cbranch_vccz .LBB58_34
; %bb.21:                               ;   in Loop: Header=BB58_10 Depth=1
	s_wait_dscnt 0x0
	global_store_b32 v[16:17], v5, off
	s_cbranch_execnz .LBB58_23
.LBB58_22:                              ;   in Loop: Header=BB58_10 Depth=1
	s_wait_dscnt 0x0
	global_store_b32 v[14:15], v5, off
.LBB58_23:                              ;   in Loop: Header=BB58_10 Depth=1
	s_wait_xcnt 0x0
	s_or_b32 exec_lo, exec_lo, s29
	s_and_saveexec_b32 s29, s25
	s_cbranch_execz .LBB58_27
; %bb.24:                               ;   in Loop: Header=BB58_10 Depth=1
	s_wait_dscnt 0x0
	ds_load_b32 v5, v20 offset:4
	s_and_not1_b32 vcc_lo, exec_lo, s4
	s_cbranch_vccnz .LBB58_35
; %bb.25:                               ;   in Loop: Header=BB58_10 Depth=1
	v_lshl_add_u64 v[30:31], s[12:13], 2, v[16:17]
	s_wait_dscnt 0x0
	global_store_b32 v[30:31], v5, off
	s_cbranch_execnz .LBB58_27
.LBB58_26:                              ;   in Loop: Header=BB58_10 Depth=1
	s_wait_dscnt 0x0
	global_store_b32 v[14:15], v5, off offset:4
.LBB58_27:                              ;   in Loop: Header=BB58_10 Depth=1
	s_wait_xcnt 0x0
	s_or_b32 exec_lo, exec_lo, s29
	s_and_saveexec_b32 s29, s26
	s_cbranch_execz .LBB58_31
; %bb.28:                               ;   in Loop: Header=BB58_10 Depth=1
	s_wait_dscnt 0x0
	ds_load_b32 v5, v20 offset:8
	s_and_not1_b32 vcc_lo, exec_lo, s4
	s_cbranch_vccnz .LBB58_36
; %bb.29:                               ;   in Loop: Header=BB58_10 Depth=1
	v_lshl_add_u64 v[30:31], s[16:17], 2, v[16:17]
	s_wait_dscnt 0x0
	global_store_b32 v[30:31], v5, off
	s_cbranch_execnz .LBB58_31
.LBB58_30:                              ;   in Loop: Header=BB58_10 Depth=1
	s_wait_dscnt 0x0
	global_store_b32 v[14:15], v5, off offset:8
.LBB58_31:                              ;   in Loop: Header=BB58_10 Depth=1
	s_wait_xcnt 0x0
	s_or_b32 exec_lo, exec_lo, s29
	s_and_saveexec_b32 s29, s28
	s_cbranch_execz .LBB58_8
; %bb.32:                               ;   in Loop: Header=BB58_10 Depth=1
	s_wait_dscnt 0x0
	ds_load_b32 v5, v20 offset:12
	s_and_not1_b32 vcc_lo, exec_lo, s4
	s_cbranch_vccnz .LBB58_37
; %bb.33:                               ;   in Loop: Header=BB58_10 Depth=1
	v_lshl_add_u64 v[16:17], s[18:19], 2, v[16:17]
	s_wait_dscnt 0x0
	global_store_b32 v[16:17], v5, off
	s_cbranch_execnz .LBB58_8
	s_branch .LBB58_38
.LBB58_34:                              ;   in Loop: Header=BB58_10 Depth=1
	s_branch .LBB58_22
.LBB58_35:                              ;   in Loop: Header=BB58_10 Depth=1
	s_branch .LBB58_26
.LBB58_36:                              ;   in Loop: Header=BB58_10 Depth=1
	s_branch .LBB58_30
.LBB58_37:                              ;   in Loop: Header=BB58_10 Depth=1
.LBB58_38:                              ;   in Loop: Header=BB58_10 Depth=1
	s_wait_dscnt 0x0
	global_store_b32 v[14:15], v5, off offset:12
	s_branch .LBB58_8
.LBB58_39:
	s_endpgm
	.section	.rodata,"a",@progbits
	.p2align	6, 0x0
	.amdhsa_kernel _ZN9rocsparseL44csr2gebsr_wavefront_per_row_multipass_kernelILi256ELi32ELi4ELi32EfEEv20rocsparse_direction_iiiiii21rocsparse_index_base_PKT3_PKiS7_S2_PS3_PiS9_
		.amdhsa_group_segment_fixed_size 4104
		.amdhsa_private_segment_fixed_size 0
		.amdhsa_kernarg_size 88
		.amdhsa_user_sgpr_count 2
		.amdhsa_user_sgpr_dispatch_ptr 0
		.amdhsa_user_sgpr_queue_ptr 0
		.amdhsa_user_sgpr_kernarg_segment_ptr 1
		.amdhsa_user_sgpr_dispatch_id 0
		.amdhsa_user_sgpr_kernarg_preload_length 0
		.amdhsa_user_sgpr_kernarg_preload_offset 0
		.amdhsa_user_sgpr_private_segment_size 0
		.amdhsa_wavefront_size32 1
		.amdhsa_uses_dynamic_stack 0
		.amdhsa_enable_private_segment 0
		.amdhsa_system_sgpr_workgroup_id_x 1
		.amdhsa_system_sgpr_workgroup_id_y 0
		.amdhsa_system_sgpr_workgroup_id_z 0
		.amdhsa_system_sgpr_workgroup_info 0
		.amdhsa_system_vgpr_workitem_id 0
		.amdhsa_next_free_vgpr 35
		.amdhsa_next_free_sgpr 32
		.amdhsa_named_barrier_count 0
		.amdhsa_reserve_vcc 1
		.amdhsa_float_round_mode_32 0
		.amdhsa_float_round_mode_16_64 0
		.amdhsa_float_denorm_mode_32 3
		.amdhsa_float_denorm_mode_16_64 3
		.amdhsa_fp16_overflow 0
		.amdhsa_memory_ordered 1
		.amdhsa_forward_progress 1
		.amdhsa_inst_pref_size 13
		.amdhsa_round_robin_scheduling 0
		.amdhsa_exception_fp_ieee_invalid_op 0
		.amdhsa_exception_fp_denorm_src 0
		.amdhsa_exception_fp_ieee_div_zero 0
		.amdhsa_exception_fp_ieee_overflow 0
		.amdhsa_exception_fp_ieee_underflow 0
		.amdhsa_exception_fp_ieee_inexact 0
		.amdhsa_exception_int_div_zero 0
	.end_amdhsa_kernel
	.section	.text._ZN9rocsparseL44csr2gebsr_wavefront_per_row_multipass_kernelILi256ELi32ELi4ELi32EfEEv20rocsparse_direction_iiiiii21rocsparse_index_base_PKT3_PKiS7_S2_PS3_PiS9_,"axG",@progbits,_ZN9rocsparseL44csr2gebsr_wavefront_per_row_multipass_kernelILi256ELi32ELi4ELi32EfEEv20rocsparse_direction_iiiiii21rocsparse_index_base_PKT3_PKiS7_S2_PS3_PiS9_,comdat
.Lfunc_end58:
	.size	_ZN9rocsparseL44csr2gebsr_wavefront_per_row_multipass_kernelILi256ELi32ELi4ELi32EfEEv20rocsparse_direction_iiiiii21rocsparse_index_base_PKT3_PKiS7_S2_PS3_PiS9_, .Lfunc_end58-_ZN9rocsparseL44csr2gebsr_wavefront_per_row_multipass_kernelILi256ELi32ELi4ELi32EfEEv20rocsparse_direction_iiiiii21rocsparse_index_base_PKT3_PKiS7_S2_PS3_PiS9_
                                        ; -- End function
	.set _ZN9rocsparseL44csr2gebsr_wavefront_per_row_multipass_kernelILi256ELi32ELi4ELi32EfEEv20rocsparse_direction_iiiiii21rocsparse_index_base_PKT3_PKiS7_S2_PS3_PiS9_.num_vgpr, 35
	.set _ZN9rocsparseL44csr2gebsr_wavefront_per_row_multipass_kernelILi256ELi32ELi4ELi32EfEEv20rocsparse_direction_iiiiii21rocsparse_index_base_PKT3_PKiS7_S2_PS3_PiS9_.num_agpr, 0
	.set _ZN9rocsparseL44csr2gebsr_wavefront_per_row_multipass_kernelILi256ELi32ELi4ELi32EfEEv20rocsparse_direction_iiiiii21rocsparse_index_base_PKT3_PKiS7_S2_PS3_PiS9_.numbered_sgpr, 32
	.set _ZN9rocsparseL44csr2gebsr_wavefront_per_row_multipass_kernelILi256ELi32ELi4ELi32EfEEv20rocsparse_direction_iiiiii21rocsparse_index_base_PKT3_PKiS7_S2_PS3_PiS9_.num_named_barrier, 0
	.set _ZN9rocsparseL44csr2gebsr_wavefront_per_row_multipass_kernelILi256ELi32ELi4ELi32EfEEv20rocsparse_direction_iiiiii21rocsparse_index_base_PKT3_PKiS7_S2_PS3_PiS9_.private_seg_size, 0
	.set _ZN9rocsparseL44csr2gebsr_wavefront_per_row_multipass_kernelILi256ELi32ELi4ELi32EfEEv20rocsparse_direction_iiiiii21rocsparse_index_base_PKT3_PKiS7_S2_PS3_PiS9_.uses_vcc, 1
	.set _ZN9rocsparseL44csr2gebsr_wavefront_per_row_multipass_kernelILi256ELi32ELi4ELi32EfEEv20rocsparse_direction_iiiiii21rocsparse_index_base_PKT3_PKiS7_S2_PS3_PiS9_.uses_flat_scratch, 0
	.set _ZN9rocsparseL44csr2gebsr_wavefront_per_row_multipass_kernelILi256ELi32ELi4ELi32EfEEv20rocsparse_direction_iiiiii21rocsparse_index_base_PKT3_PKiS7_S2_PS3_PiS9_.has_dyn_sized_stack, 0
	.set _ZN9rocsparseL44csr2gebsr_wavefront_per_row_multipass_kernelILi256ELi32ELi4ELi32EfEEv20rocsparse_direction_iiiiii21rocsparse_index_base_PKT3_PKiS7_S2_PS3_PiS9_.has_recursion, 0
	.set _ZN9rocsparseL44csr2gebsr_wavefront_per_row_multipass_kernelILi256ELi32ELi4ELi32EfEEv20rocsparse_direction_iiiiii21rocsparse_index_base_PKT3_PKiS7_S2_PS3_PiS9_.has_indirect_call, 0
	.section	.AMDGPU.csdata,"",@progbits
; Kernel info:
; codeLenInByte = 1660
; TotalNumSgprs: 34
; NumVgprs: 35
; ScratchSize: 0
; MemoryBound: 0
; FloatMode: 240
; IeeeMode: 1
; LDSByteSize: 4104 bytes/workgroup (compile time only)
; SGPRBlocks: 0
; VGPRBlocks: 2
; NumSGPRsForWavesPerEU: 34
; NumVGPRsForWavesPerEU: 35
; NamedBarCnt: 0
; Occupancy: 16
; WaveLimiterHint : 0
; COMPUTE_PGM_RSRC2:SCRATCH_EN: 0
; COMPUTE_PGM_RSRC2:USER_SGPR: 2
; COMPUTE_PGM_RSRC2:TRAP_HANDLER: 0
; COMPUTE_PGM_RSRC2:TGID_X_EN: 1
; COMPUTE_PGM_RSRC2:TGID_Y_EN: 0
; COMPUTE_PGM_RSRC2:TGID_Z_EN: 0
; COMPUTE_PGM_RSRC2:TIDIG_COMP_CNT: 0
	.section	.text._ZN9rocsparseL44csr2gebsr_wavefront_per_row_multipass_kernelILi256ELi32ELi8ELi64EfEEv20rocsparse_direction_iiiiii21rocsparse_index_base_PKT3_PKiS7_S2_PS3_PiS9_,"axG",@progbits,_ZN9rocsparseL44csr2gebsr_wavefront_per_row_multipass_kernelILi256ELi32ELi8ELi64EfEEv20rocsparse_direction_iiiiii21rocsparse_index_base_PKT3_PKiS7_S2_PS3_PiS9_,comdat
	.globl	_ZN9rocsparseL44csr2gebsr_wavefront_per_row_multipass_kernelILi256ELi32ELi8ELi64EfEEv20rocsparse_direction_iiiiii21rocsparse_index_base_PKT3_PKiS7_S2_PS3_PiS9_ ; -- Begin function _ZN9rocsparseL44csr2gebsr_wavefront_per_row_multipass_kernelILi256ELi32ELi8ELi64EfEEv20rocsparse_direction_iiiiii21rocsparse_index_base_PKT3_PKiS7_S2_PS3_PiS9_
	.p2align	8
	.type	_ZN9rocsparseL44csr2gebsr_wavefront_per_row_multipass_kernelILi256ELi32ELi8ELi64EfEEv20rocsparse_direction_iiiiii21rocsparse_index_base_PKT3_PKiS7_S2_PS3_PiS9_,@function
_ZN9rocsparseL44csr2gebsr_wavefront_per_row_multipass_kernelILi256ELi32ELi8ELi64EfEEv20rocsparse_direction_iiiiii21rocsparse_index_base_PKT3_PKiS7_S2_PS3_PiS9_: ; @_ZN9rocsparseL44csr2gebsr_wavefront_per_row_multipass_kernelILi256ELi32ELi8ELi64EfEEv20rocsparse_direction_iiiiii21rocsparse_index_base_PKT3_PKiS7_S2_PS3_PiS9_
; %bb.0:
	s_clause 0x1
	s_load_b128 s[4:7], s[0:1], 0xc
	s_load_b64 s[14:15], s[0:1], 0x0
	s_bfe_u32 s2, ttmp6, 0x4000c
	s_and_b32 s3, ttmp6, 15
	s_add_co_i32 s2, s2, 1
	s_getreg_b32 s8, hwreg(HW_REG_IB_STS2, 6, 4)
	s_mul_i32 s2, ttmp9, s2
	v_dual_lshrrev_b32 v24, 6, v0 :: v_dual_mov_b32 v2, 0
	s_add_co_i32 s3, s3, s2
	s_cmp_eq_u32 s8, 0
	v_bfe_u32 v1, v0, 1, 5
	s_cselect_b32 s2, ttmp9, s3
	s_clause 0x1
	s_load_b32 s20, s[0:1], 0x1c
	s_load_b64 s[8:9], s[0:1], 0x28
	v_lshl_or_b32 v3, s2, 2, v24
	v_mov_b32_e32 v10, 0
	s_wait_kmcnt 0x0
	s_delay_alu instid0(VALU_DEP_2) | instskip(SKIP_1) | instid1(VALU_DEP_2)
	v_mad_u32 v4, v3, s6, v1
	v_cmp_gt_i32_e32 vcc_lo, s6, v1
	v_cmp_gt_i32_e64 s2, s15, v4
	s_and_b32 s2, vcc_lo, s2
	s_delay_alu instid0(SALU_CYCLE_1)
	s_and_saveexec_b32 s3, s2
	s_cbranch_execz .LBB59_2
; %bb.1:
	global_load_b32 v5, v4, s[8:9] scale_offset
	s_wait_loadcnt 0x0
	v_subrev_nc_u32_e32 v10, s20, v5
.LBB59_2:
	s_or_b32 exec_lo, exec_lo, s3
	v_mov_b32_e32 v25, 0
	s_and_saveexec_b32 s3, s2
	s_cbranch_execz .LBB59_4
; %bb.3:
	global_load_b32 v4, v4, s[8:9] offset:4 scale_offset
	s_wait_loadcnt 0x0
	v_subrev_nc_u32_e32 v25, s20, v4
.LBB59_4:
	s_or_b32 exec_lo, exec_lo, s3
	s_load_b32 s21, s[0:1], 0x38
	s_mov_b32 s3, exec_lo
	v_cmpx_gt_i32_e64 s4, v3
	s_cbranch_execz .LBB59_6
; %bb.5:
	s_load_b64 s[8:9], s[0:1], 0x48
	s_wait_kmcnt 0x0
	global_load_b32 v2, v3, s[8:9] scale_offset
	s_wait_loadcnt 0x0
	v_subrev_nc_u32_e32 v2, s21, v2
.LBB59_6:
	s_or_b32 exec_lo, exec_lo, s3
	s_cmp_lt_i32 s5, 1
	s_cbranch_scc1 .LBB59_39
; %bb.7:
	v_mbcnt_lo_u32_b32 v3, -1, 0
	s_clause 0x3
	s_load_b64 s[8:9], s[0:1], 0x50
	s_load_b64 s[2:3], s[0:1], 0x40
	;; [unrolled: 1-line block ×4, first 2 shown]
	v_mul_lo_u32 v6, s7, v1
	v_and_b32_e32 v0, 1, v0
	s_cmp_lg_u32 s14, 0
	v_dual_lshlrev_b32 v5, 5, v1 :: v_dual_bitop2_b32 v4, 1, v3 bitop3:0x14
	s_mov_b32 s15, 0
	s_cselect_b32 s4, -1, 0
	s_mov_b32 s14, s6
	s_wait_xcnt 0x0
	v_cmp_gt_i32_e64 s0, 32, v4
	v_lshl_or_b32 v26, v24, 10, v5
	v_dual_ashrrev_i32 v7, 31, v6 :: v_dual_bitop2_b32 v11, 32, v3 bitop3:0x54
	v_lshlrev_b32_e32 v8, 2, v0
	s_delay_alu instid0(VALU_DEP_4) | instskip(NEXT) | instid1(VALU_DEP_3)
	v_dual_cndmask_b32 v4, v3, v4, s0 :: v_dual_mov_b32 v5, 0
	v_cmp_gt_i32_e64 s0, 32, v11
	s_ashr_i32 s17, s7, 31
	v_or_b32_e32 v29, v26, v8
	v_dual_lshlrev_b32 v27, 2, v4 :: v_dual_lshlrev_b32 v4, 2, v1
	s_wait_kmcnt 0x0
	v_lshl_add_u64 v[12:13], v[6:7], 2, s[2:3]
	v_dual_mov_b32 v9, v5 :: v_dual_cndmask_b32 v11, v3, v11, s0
	v_mov_b32_e32 v1, v5
	v_add_nc_u64_e32 v[6:7], s[2:3], v[4:5]
	s_mov_b32 s16, s7
	s_delay_alu instid0(VALU_DEP_3)
	v_add_nc_u64_e32 v[8:9], v[12:13], v[8:9]
	v_xor_b32_e32 v13, 2, v3
	v_xor_b32_e32 v12, 4, v3
	;; [unrolled: 1-line block ×3, first 2 shown]
	s_mul_u64 s[18:19], s[16:17], s[14:15]
	s_abs_i32 s16, s7
	v_lshl_or_b32 v28, v3, 2, 4
	s_cvt_f32_u32 s1, s16
	v_cmp_gt_i32_e64 s0, 32, v4
	v_lshlrev_b32_e32 v30, 2, v11
	v_bfrev_b32_e32 v35, 0.5
	v_dual_mov_b32 v19, v5 :: v_dual_mov_b32 v36, 1
	s_delay_alu instid0(VALU_DEP_4) | instskip(SKIP_2) | instid1(VALU_DEP_2)
	v_dual_cndmask_b32 v4, v3, v4, s0 :: v_dual_bitop2_b32 v11, 8, v3 bitop3:0x14
	v_mov_b32_e32 v38, 0
	s_mov_b32 s22, s15
	v_dual_mov_b32 v15, v5 :: v_dual_lshlrev_b32 v31, 2, v4
	s_delay_alu instid0(VALU_DEP_3) | instskip(SKIP_1) | instid1(VALU_DEP_1)
	v_cmp_gt_i32_e64 s0, 32, v11
	v_rcp_iflag_f32_e32 v4, s1
	v_cndmask_b32_e64 v11, v3, v11, s0
	v_cmp_gt_i32_e64 s0, 32, v12
	s_delay_alu instid0(TRANS32_DEP_1) | instskip(NEXT) | instid1(VALU_DEP_2)
	v_readfirstlane_b32 s3, v4
	v_cndmask_b32_e64 v12, v3, v12, s0
	s_mul_f32 s14, s3, 0x4f7ffffe
	s_delay_alu instid0(VALU_DEP_1)
	v_lshlrev_b32_e32 v33, 2, v12
	v_mul_lo_u32 v12, v0, s6
	v_cmp_gt_i32_e64 s0, 32, v13
	s_lshl_b32 s6, s6, 1
	s_cvt_u32_f32 s14, s14
	v_cndmask_b32_e64 v3, v3, v13, s0
	v_cmp_gt_u32_e64 s0, s7, v0
	s_delay_alu instid0(VALU_DEP_2) | instskip(SKIP_3) | instid1(VALU_DEP_3)
	v_dual_mov_b32 v13, v5 :: v_dual_lshlrev_b32 v34, 2, v3
	v_add_nc_u32_e32 v14, s6, v12
	v_or_b32_e32 v3, 2, v0
	v_dual_lshlrev_b32 v32, 2, v11 :: v_dual_bitop2_b32 v4, 6, v0 bitop3:0x54
	v_add_nc_u32_e32 v16, s6, v14
	s_delay_alu instid0(VALU_DEP_3) | instskip(SKIP_1) | instid1(VALU_DEP_4)
	v_cmp_gt_u32_e64 s1, s7, v3
	v_dual_mov_b32 v17, v5 :: v_dual_bitop2_b32 v3, 4, v0 bitop3:0x54
	v_cmp_gt_u32_e64 s3, s7, v4
	s_delay_alu instid0(VALU_DEP_4)
	v_add_nc_u32_e32 v18, s6, v16
	s_and_b32 s6, s0, vcc_lo
	s_sub_co_i32 s0, 0, s16
	v_cmp_gt_u32_e64 s2, s7, v3
	s_mul_i32 s0, s0, s14
	s_and_b32 s1, vcc_lo, s1
	s_mul_hi_u32 s0, s14, s0
	s_and_b32 s3, vcc_lo, s3
	s_and_b32 s2, vcc_lo, s2
	s_add_co_i32 s14, s14, s0
	s_branch .LBB59_10
.LBB59_8:                               ;   in Loop: Header=BB59_10 Depth=1
	s_wait_xcnt 0x0
	s_or_b32 exec_lo, exec_lo, s23
	s_wait_dscnt 0x0
	v_mov_b32_e32 v3, 1
.LBB59_9:                               ;   in Loop: Header=BB59_10 Depth=1
	s_or_b32 exec_lo, exec_lo, s0
	ds_bpermute_b32 v4, v30, v37
	s_wait_storecnt_dscnt 0x0
	v_dual_add_nc_u32 v2, v3, v2 :: v_dual_min_i32 v4, v4, v37
	ds_bpermute_b32 v11, v31, v4
	s_wait_dscnt 0x0
	v_min_i32_e32 v4, v11, v4
	ds_bpermute_b32 v11, v32, v4
	s_wait_dscnt 0x0
	v_min_i32_e32 v4, v11, v4
	;; [unrolled: 3-line block ×5, first 2 shown]
	ds_bpermute_b32 v38, v35, v4
	s_wait_dscnt 0x0
	v_cmp_le_i32_e32 vcc_lo, s5, v38
	s_or_b32 s22, vcc_lo, s22
	s_delay_alu instid0(SALU_CYCLE_1)
	s_and_not1_b32 exec_lo, exec_lo, s22
	s_cbranch_execz .LBB59_39
.LBB59_10:                              ; =>This Loop Header: Depth=1
                                        ;     Child Loop BB59_13 Depth 2
	v_dual_add_nc_u32 v3, v10, v0 :: v_dual_mov_b32 v37, s5
	v_mov_b32_e32 v23, v25
	s_mov_b32 s23, exec_lo
	ds_store_b8 v24, v5 offset:4096
	ds_store_2addr_b32 v29, v5, v5 offset1:2
	ds_store_2addr_b32 v29, v5, v5 offset0:4 offset1:6
	s_wait_dscnt 0x0
	v_cmpx_lt_i32_e64 v3, v25
	s_cbranch_execz .LBB59_18
; %bb.11:                               ;   in Loop: Header=BB59_10 Depth=1
	v_dual_ashrrev_i32 v11, 31, v10 :: v_dual_mov_b32 v37, s5
	v_mul_lo_u32 v22, v38, s7
	v_mov_b32_e32 v23, v25
	s_mov_b32 s24, 0
	s_delay_alu instid0(VALU_DEP_3) | instskip(NEXT) | instid1(VALU_DEP_1)
	v_add_nc_u64_e32 v[10:11], v[0:1], v[10:11]
	v_lshlrev_b64_e32 v[20:21], 2, v[10:11]
	s_delay_alu instid0(VALU_DEP_1)
	v_add_nc_u64_e32 v[10:11], s[12:13], v[20:21]
	v_add_nc_u64_e32 v[20:21], s[10:11], v[20:21]
	s_branch .LBB59_13
.LBB59_12:                              ;   in Loop: Header=BB59_13 Depth=2
	s_wait_xcnt 0x0
	s_or_b32 exec_lo, exec_lo, s0
	v_add_nc_u32_e32 v3, 2, v3
	s_xor_b32 s25, vcc_lo, -1
	v_add_nc_u64_e32 v[10:11], 8, v[10:11]
	v_add_nc_u64_e32 v[20:21], 8, v[20:21]
	s_delay_alu instid0(VALU_DEP_3) | instskip(SKIP_1) | instid1(SALU_CYCLE_1)
	v_cmp_ge_i32_e64 s0, v3, v25
	s_or_b32 s0, s25, s0
	s_and_b32 s0, exec_lo, s0
	s_delay_alu instid0(SALU_CYCLE_1) | instskip(NEXT) | instid1(SALU_CYCLE_1)
	s_or_b32 s24, s0, s24
	s_and_not1_b32 exec_lo, exec_lo, s24
	s_cbranch_execz .LBB59_17
.LBB59_13:                              ;   Parent Loop BB59_10 Depth=1
                                        ; =>  This Inner Loop Header: Depth=2
	global_load_b32 v4, v[10:11], off
	s_wait_loadcnt 0x0
	v_subrev_nc_u32_e32 v39, s20, v4
	s_delay_alu instid0(VALU_DEP_1) | instskip(NEXT) | instid1(VALU_DEP_1)
	v_sub_nc_u32_e32 v4, 0, v39
	v_max_i32_e32 v4, v39, v4
	s_delay_alu instid0(VALU_DEP_1) | instskip(NEXT) | instid1(VALU_DEP_1)
	v_mul_u64_e32 v[40:41], s[14:15], v[4:5]
	v_mul_lo_u32 v40, v41, s16
	s_delay_alu instid0(VALU_DEP_1) | instskip(NEXT) | instid1(VALU_DEP_1)
	v_dual_sub_nc_u32 v4, v4, v40 :: v_dual_add_nc_u32 v40, 1, v41
	v_cmp_le_u32_e32 vcc_lo, s16, v4
	s_delay_alu instid0(VALU_DEP_2) | instskip(SKIP_1) | instid1(VALU_DEP_1)
	v_cndmask_b32_e32 v40, v41, v40, vcc_lo
	v_subrev_nc_u32_e32 v42, s16, v4
	v_dual_cndmask_b32 v4, v4, v42 :: v_dual_ashrrev_i32 v41, 31, v39
	s_delay_alu instid0(VALU_DEP_3) | instskip(NEXT) | instid1(VALU_DEP_2)
	v_add_nc_u32_e32 v42, 1, v40
	v_cmp_le_u32_e32 vcc_lo, s16, v4
	s_delay_alu instid0(VALU_DEP_2) | instskip(NEXT) | instid1(VALU_DEP_1)
	v_dual_cndmask_b32 v4, v40, v42, vcc_lo :: v_dual_bitop2_b32 v41, s17, v41 bitop3:0x14
	v_xor_b32_e32 v4, v4, v41
	s_delay_alu instid0(VALU_DEP_1) | instskip(NEXT) | instid1(VALU_DEP_1)
	v_dual_sub_nc_u32 v40, v4, v41 :: v_dual_mov_b32 v4, v23
	v_cmp_ne_u32_e64 s0, v40, v38
	v_cmp_eq_u32_e32 vcc_lo, v40, v38
	s_wait_xcnt 0x0
	s_and_saveexec_b32 s25, s0
	s_delay_alu instid0(SALU_CYCLE_1)
	s_xor_b32 s0, exec_lo, s25
; %bb.14:                               ;   in Loop: Header=BB59_13 Depth=2
	v_min_i32_e32 v37, v40, v37
                                        ; implicit-def: $vgpr39
                                        ; implicit-def: $vgpr4
; %bb.15:                               ;   in Loop: Header=BB59_13 Depth=2
	s_or_saveexec_b32 s0, s0
	v_mov_b32_e32 v23, v3
	s_xor_b32 exec_lo, exec_lo, s0
	s_cbranch_execz .LBB59_12
; %bb.16:                               ;   in Loop: Header=BB59_13 Depth=2
	global_load_b32 v40, v[20:21], off
	v_sub_nc_u32_e32 v23, v39, v22
	s_delay_alu instid0(VALU_DEP_1)
	v_lshl_add_u32 v39, v23, 2, v26
	v_mov_b32_e32 v23, v4
	ds_store_b8 v24, v36 offset:4096
	s_wait_loadcnt 0x0
	ds_store_b32 v39, v40
	s_branch .LBB59_12
.LBB59_17:                              ;   in Loop: Header=BB59_10 Depth=1
	s_or_b32 exec_lo, exec_lo, s24
.LBB59_18:                              ;   in Loop: Header=BB59_10 Depth=1
	s_delay_alu instid0(SALU_CYCLE_1)
	s_or_b32 exec_lo, exec_lo, s23
	ds_bpermute_b32 v3, v27, v23
	s_wait_dscnt 0x0
	ds_load_u8 v4, v24 offset:4096
	v_min_i32_e32 v3, v3, v23
	ds_bpermute_b32 v10, v28, v3
	s_wait_dscnt 0x1
	v_and_b32_e32 v3, 1, v4
	s_delay_alu instid0(VALU_DEP_1)
	v_cmp_eq_u32_e32 vcc_lo, 1, v3
	v_mov_b32_e32 v3, 0
	s_and_saveexec_b32 s0, vcc_lo
	s_cbranch_execz .LBB59_9
; %bb.19:                               ;   in Loop: Header=BB59_10 Depth=1
	v_ashrrev_i32_e32 v3, 31, v2
	s_delay_alu instid0(VALU_DEP_1) | instskip(SKIP_3) | instid1(VALU_DEP_1)
	v_mul_u64_e32 v[20:21], s[18:19], v[2:3]
	v_add_nc_u32_e32 v3, s21, v38
	global_store_b32 v2, v3, s[8:9] scale_offset
	v_lshlrev_b64_e32 v[20:21], 2, v[20:21]
	v_add_nc_u64_e32 v[22:23], v[6:7], v[20:21]
	v_add_nc_u64_e32 v[20:21], v[8:9], v[20:21]
	s_wait_xcnt 0x0
	s_and_saveexec_b32 s23, s6
	s_cbranch_execz .LBB59_23
; %bb.20:                               ;   in Loop: Header=BB59_10 Depth=1
	ds_load_b32 v3, v29
	s_and_b32 vcc_lo, exec_lo, s4
	s_cbranch_vccz .LBB59_34
; %bb.21:                               ;   in Loop: Header=BB59_10 Depth=1
	v_lshl_add_u64 v[38:39], v[12:13], 2, v[22:23]
	s_wait_dscnt 0x0
	global_store_b32 v[38:39], v3, off
	s_cbranch_execnz .LBB59_23
.LBB59_22:                              ;   in Loop: Header=BB59_10 Depth=1
	s_wait_dscnt 0x0
	global_store_b32 v[20:21], v3, off
.LBB59_23:                              ;   in Loop: Header=BB59_10 Depth=1
	s_wait_xcnt 0x0
	s_or_b32 exec_lo, exec_lo, s23
	s_and_saveexec_b32 s23, s1
	s_cbranch_execz .LBB59_27
; %bb.24:                               ;   in Loop: Header=BB59_10 Depth=1
	s_and_not1_b32 vcc_lo, exec_lo, s4
	s_cbranch_vccnz .LBB59_35
; %bb.25:                               ;   in Loop: Header=BB59_10 Depth=1
	s_wait_dscnt 0x0
	ds_load_b32 v3, v29 offset:8
	v_lshl_add_u64 v[38:39], v[14:15], 2, v[22:23]
	s_wait_dscnt 0x0
	global_store_b32 v[38:39], v3, off
	s_cbranch_execnz .LBB59_27
.LBB59_26:                              ;   in Loop: Header=BB59_10 Depth=1
	s_wait_dscnt 0x0
	s_wait_xcnt 0x0
	ds_load_b32 v3, v29 offset:8
	s_wait_dscnt 0x0
	global_store_b32 v[20:21], v3, off offset:8
.LBB59_27:                              ;   in Loop: Header=BB59_10 Depth=1
	s_wait_xcnt 0x0
	s_or_b32 exec_lo, exec_lo, s23
	s_and_saveexec_b32 s23, s2
	s_cbranch_execz .LBB59_31
; %bb.28:                               ;   in Loop: Header=BB59_10 Depth=1
	s_and_not1_b32 vcc_lo, exec_lo, s4
	s_cbranch_vccnz .LBB59_36
; %bb.29:                               ;   in Loop: Header=BB59_10 Depth=1
	s_wait_dscnt 0x0
	ds_load_b32 v3, v29 offset:16
	v_lshl_add_u64 v[38:39], v[16:17], 2, v[22:23]
	s_wait_dscnt 0x0
	global_store_b32 v[38:39], v3, off
	s_cbranch_execnz .LBB59_31
.LBB59_30:                              ;   in Loop: Header=BB59_10 Depth=1
	s_wait_dscnt 0x0
	s_wait_xcnt 0x0
	ds_load_b32 v3, v29 offset:16
	s_wait_dscnt 0x0
	global_store_b32 v[20:21], v3, off offset:16
.LBB59_31:                              ;   in Loop: Header=BB59_10 Depth=1
	s_wait_xcnt 0x0
	s_or_b32 exec_lo, exec_lo, s23
	s_and_saveexec_b32 s23, s3
	s_cbranch_execz .LBB59_8
; %bb.32:                               ;   in Loop: Header=BB59_10 Depth=1
	s_and_not1_b32 vcc_lo, exec_lo, s4
	s_cbranch_vccnz .LBB59_37
; %bb.33:                               ;   in Loop: Header=BB59_10 Depth=1
	s_wait_dscnt 0x0
	ds_load_b32 v3, v29 offset:24
	v_lshl_add_u64 v[22:23], v[18:19], 2, v[22:23]
	s_wait_dscnt 0x0
	global_store_b32 v[22:23], v3, off
	s_cbranch_execnz .LBB59_8
	s_branch .LBB59_38
.LBB59_34:                              ;   in Loop: Header=BB59_10 Depth=1
	s_branch .LBB59_22
.LBB59_35:                              ;   in Loop: Header=BB59_10 Depth=1
	s_branch .LBB59_26
.LBB59_36:                              ;   in Loop: Header=BB59_10 Depth=1
	s_branch .LBB59_30
.LBB59_37:                              ;   in Loop: Header=BB59_10 Depth=1
.LBB59_38:                              ;   in Loop: Header=BB59_10 Depth=1
	s_wait_dscnt 0x0
	s_wait_xcnt 0x0
	ds_load_b32 v3, v29 offset:24
	s_wait_dscnt 0x0
	global_store_b32 v[20:21], v3, off offset:24
	s_branch .LBB59_8
.LBB59_39:
	s_endpgm
	.section	.rodata,"a",@progbits
	.p2align	6, 0x0
	.amdhsa_kernel _ZN9rocsparseL44csr2gebsr_wavefront_per_row_multipass_kernelILi256ELi32ELi8ELi64EfEEv20rocsparse_direction_iiiiii21rocsparse_index_base_PKT3_PKiS7_S2_PS3_PiS9_
		.amdhsa_group_segment_fixed_size 4100
		.amdhsa_private_segment_fixed_size 0
		.amdhsa_kernarg_size 88
		.amdhsa_user_sgpr_count 2
		.amdhsa_user_sgpr_dispatch_ptr 0
		.amdhsa_user_sgpr_queue_ptr 0
		.amdhsa_user_sgpr_kernarg_segment_ptr 1
		.amdhsa_user_sgpr_dispatch_id 0
		.amdhsa_user_sgpr_kernarg_preload_length 0
		.amdhsa_user_sgpr_kernarg_preload_offset 0
		.amdhsa_user_sgpr_private_segment_size 0
		.amdhsa_wavefront_size32 1
		.amdhsa_uses_dynamic_stack 0
		.amdhsa_enable_private_segment 0
		.amdhsa_system_sgpr_workgroup_id_x 1
		.amdhsa_system_sgpr_workgroup_id_y 0
		.amdhsa_system_sgpr_workgroup_id_z 0
		.amdhsa_system_sgpr_workgroup_info 0
		.amdhsa_system_vgpr_workitem_id 0
		.amdhsa_next_free_vgpr 43
		.amdhsa_next_free_sgpr 26
		.amdhsa_named_barrier_count 0
		.amdhsa_reserve_vcc 1
		.amdhsa_float_round_mode_32 0
		.amdhsa_float_round_mode_16_64 0
		.amdhsa_float_denorm_mode_32 3
		.amdhsa_float_denorm_mode_16_64 3
		.amdhsa_fp16_overflow 0
		.amdhsa_memory_ordered 1
		.amdhsa_forward_progress 1
		.amdhsa_inst_pref_size 15
		.amdhsa_round_robin_scheduling 0
		.amdhsa_exception_fp_ieee_invalid_op 0
		.amdhsa_exception_fp_denorm_src 0
		.amdhsa_exception_fp_ieee_div_zero 0
		.amdhsa_exception_fp_ieee_overflow 0
		.amdhsa_exception_fp_ieee_underflow 0
		.amdhsa_exception_fp_ieee_inexact 0
		.amdhsa_exception_int_div_zero 0
	.end_amdhsa_kernel
	.section	.text._ZN9rocsparseL44csr2gebsr_wavefront_per_row_multipass_kernelILi256ELi32ELi8ELi64EfEEv20rocsparse_direction_iiiiii21rocsparse_index_base_PKT3_PKiS7_S2_PS3_PiS9_,"axG",@progbits,_ZN9rocsparseL44csr2gebsr_wavefront_per_row_multipass_kernelILi256ELi32ELi8ELi64EfEEv20rocsparse_direction_iiiiii21rocsparse_index_base_PKT3_PKiS7_S2_PS3_PiS9_,comdat
.Lfunc_end59:
	.size	_ZN9rocsparseL44csr2gebsr_wavefront_per_row_multipass_kernelILi256ELi32ELi8ELi64EfEEv20rocsparse_direction_iiiiii21rocsparse_index_base_PKT3_PKiS7_S2_PS3_PiS9_, .Lfunc_end59-_ZN9rocsparseL44csr2gebsr_wavefront_per_row_multipass_kernelILi256ELi32ELi8ELi64EfEEv20rocsparse_direction_iiiiii21rocsparse_index_base_PKT3_PKiS7_S2_PS3_PiS9_
                                        ; -- End function
	.set _ZN9rocsparseL44csr2gebsr_wavefront_per_row_multipass_kernelILi256ELi32ELi8ELi64EfEEv20rocsparse_direction_iiiiii21rocsparse_index_base_PKT3_PKiS7_S2_PS3_PiS9_.num_vgpr, 43
	.set _ZN9rocsparseL44csr2gebsr_wavefront_per_row_multipass_kernelILi256ELi32ELi8ELi64EfEEv20rocsparse_direction_iiiiii21rocsparse_index_base_PKT3_PKiS7_S2_PS3_PiS9_.num_agpr, 0
	.set _ZN9rocsparseL44csr2gebsr_wavefront_per_row_multipass_kernelILi256ELi32ELi8ELi64EfEEv20rocsparse_direction_iiiiii21rocsparse_index_base_PKT3_PKiS7_S2_PS3_PiS9_.numbered_sgpr, 26
	.set _ZN9rocsparseL44csr2gebsr_wavefront_per_row_multipass_kernelILi256ELi32ELi8ELi64EfEEv20rocsparse_direction_iiiiii21rocsparse_index_base_PKT3_PKiS7_S2_PS3_PiS9_.num_named_barrier, 0
	.set _ZN9rocsparseL44csr2gebsr_wavefront_per_row_multipass_kernelILi256ELi32ELi8ELi64EfEEv20rocsparse_direction_iiiiii21rocsparse_index_base_PKT3_PKiS7_S2_PS3_PiS9_.private_seg_size, 0
	.set _ZN9rocsparseL44csr2gebsr_wavefront_per_row_multipass_kernelILi256ELi32ELi8ELi64EfEEv20rocsparse_direction_iiiiii21rocsparse_index_base_PKT3_PKiS7_S2_PS3_PiS9_.uses_vcc, 1
	.set _ZN9rocsparseL44csr2gebsr_wavefront_per_row_multipass_kernelILi256ELi32ELi8ELi64EfEEv20rocsparse_direction_iiiiii21rocsparse_index_base_PKT3_PKiS7_S2_PS3_PiS9_.uses_flat_scratch, 0
	.set _ZN9rocsparseL44csr2gebsr_wavefront_per_row_multipass_kernelILi256ELi32ELi8ELi64EfEEv20rocsparse_direction_iiiiii21rocsparse_index_base_PKT3_PKiS7_S2_PS3_PiS9_.has_dyn_sized_stack, 0
	.set _ZN9rocsparseL44csr2gebsr_wavefront_per_row_multipass_kernelILi256ELi32ELi8ELi64EfEEv20rocsparse_direction_iiiiii21rocsparse_index_base_PKT3_PKiS7_S2_PS3_PiS9_.has_recursion, 0
	.set _ZN9rocsparseL44csr2gebsr_wavefront_per_row_multipass_kernelILi256ELi32ELi8ELi64EfEEv20rocsparse_direction_iiiiii21rocsparse_index_base_PKT3_PKiS7_S2_PS3_PiS9_.has_indirect_call, 0
	.section	.AMDGPU.csdata,"",@progbits
; Kernel info:
; codeLenInByte = 1872
; TotalNumSgprs: 28
; NumVgprs: 43
; ScratchSize: 0
; MemoryBound: 0
; FloatMode: 240
; IeeeMode: 1
; LDSByteSize: 4100 bytes/workgroup (compile time only)
; SGPRBlocks: 0
; VGPRBlocks: 2
; NumSGPRsForWavesPerEU: 28
; NumVGPRsForWavesPerEU: 43
; NamedBarCnt: 0
; Occupancy: 16
; WaveLimiterHint : 0
; COMPUTE_PGM_RSRC2:SCRATCH_EN: 0
; COMPUTE_PGM_RSRC2:USER_SGPR: 2
; COMPUTE_PGM_RSRC2:TRAP_HANDLER: 0
; COMPUTE_PGM_RSRC2:TGID_X_EN: 1
; COMPUTE_PGM_RSRC2:TGID_Y_EN: 0
; COMPUTE_PGM_RSRC2:TGID_Z_EN: 0
; COMPUTE_PGM_RSRC2:TIDIG_COMP_CNT: 0
	.section	.text._ZN9rocsparseL44csr2gebsr_wavefront_per_row_multipass_kernelILi256ELi32ELi8ELi32EfEEv20rocsparse_direction_iiiiii21rocsparse_index_base_PKT3_PKiS7_S2_PS3_PiS9_,"axG",@progbits,_ZN9rocsparseL44csr2gebsr_wavefront_per_row_multipass_kernelILi256ELi32ELi8ELi32EfEEv20rocsparse_direction_iiiiii21rocsparse_index_base_PKT3_PKiS7_S2_PS3_PiS9_,comdat
	.globl	_ZN9rocsparseL44csr2gebsr_wavefront_per_row_multipass_kernelILi256ELi32ELi8ELi32EfEEv20rocsparse_direction_iiiiii21rocsparse_index_base_PKT3_PKiS7_S2_PS3_PiS9_ ; -- Begin function _ZN9rocsparseL44csr2gebsr_wavefront_per_row_multipass_kernelILi256ELi32ELi8ELi32EfEEv20rocsparse_direction_iiiiii21rocsparse_index_base_PKT3_PKiS7_S2_PS3_PiS9_
	.p2align	8
	.type	_ZN9rocsparseL44csr2gebsr_wavefront_per_row_multipass_kernelILi256ELi32ELi8ELi32EfEEv20rocsparse_direction_iiiiii21rocsparse_index_base_PKT3_PKiS7_S2_PS3_PiS9_,@function
_ZN9rocsparseL44csr2gebsr_wavefront_per_row_multipass_kernelILi256ELi32ELi8ELi32EfEEv20rocsparse_direction_iiiiii21rocsparse_index_base_PKT3_PKiS7_S2_PS3_PiS9_: ; @_ZN9rocsparseL44csr2gebsr_wavefront_per_row_multipass_kernelILi256ELi32ELi8ELi32EfEEv20rocsparse_direction_iiiiii21rocsparse_index_base_PKT3_PKiS7_S2_PS3_PiS9_
; %bb.0:
	s_clause 0x1
	s_load_b128 s[4:7], s[0:1], 0xc
	s_load_b64 s[12:13], s[0:1], 0x0
	s_bfe_u32 s2, ttmp6, 0x4000c
	s_and_b32 s3, ttmp6, 15
	s_add_co_i32 s2, s2, 1
	s_getreg_b32 s8, hwreg(HW_REG_IB_STS2, 6, 4)
	s_mul_i32 s2, ttmp9, s2
	v_dual_lshrrev_b32 v18, 5, v0 :: v_dual_bitop2_b32 v1, 31, v0 bitop3:0x40
	s_add_co_i32 s3, s3, s2
	s_cmp_eq_u32 s8, 0
	s_clause 0x1
	s_load_b32 s30, s[0:1], 0x1c
	s_load_b64 s[8:9], s[0:1], 0x28
	s_cselect_b32 s2, ttmp9, s3
	v_dual_mov_b32 v4, 0 :: v_dual_mov_b32 v6, 0
	v_lshl_or_b32 v2, s2, 3, v18
	s_wait_kmcnt 0x0
	s_delay_alu instid0(VALU_DEP_1) | instskip(SKIP_1) | instid1(VALU_DEP_2)
	v_mad_u32 v3, v2, s6, v1
	v_cmp_gt_i32_e32 vcc_lo, s6, v1
	v_cmp_gt_i32_e64 s2, s13, v3
	s_and_b32 s2, vcc_lo, s2
	s_delay_alu instid0(SALU_CYCLE_1)
	s_and_saveexec_b32 s3, s2
	s_cbranch_execz .LBB60_2
; %bb.1:
	global_load_b32 v5, v3, s[8:9] scale_offset
	s_wait_loadcnt 0x0
	v_subrev_nc_u32_e32 v6, s30, v5
.LBB60_2:
	s_or_b32 exec_lo, exec_lo, s3
	v_mov_b32_e32 v19, 0
	s_and_saveexec_b32 s3, s2
	s_cbranch_execz .LBB60_4
; %bb.3:
	global_load_b32 v3, v3, s[8:9] offset:4 scale_offset
	s_wait_loadcnt 0x0
	v_subrev_nc_u32_e32 v19, s30, v3
.LBB60_4:
	s_or_b32 exec_lo, exec_lo, s3
	s_load_b32 s31, s[0:1], 0x38
	s_mov_b32 s3, exec_lo
	v_cmpx_gt_i32_e64 s4, v2
	s_cbranch_execz .LBB60_6
; %bb.5:
	s_load_b64 s[8:9], s[0:1], 0x48
	s_wait_kmcnt 0x0
	global_load_b32 v2, v2, s[8:9] scale_offset
	s_wait_loadcnt 0x0
	v_subrev_nc_u32_e32 v4, s31, v2
.LBB60_6:
	s_or_b32 exec_lo, exec_lo, s3
	s_cmp_lt_i32 s5, 1
	s_cbranch_scc1 .LBB60_59
; %bb.7:
	s_cmp_lg_u32 s12, 0
	s_clause 0x3
	s_load_b64 s[2:3], s[0:1], 0x50
	s_load_b64 s[18:19], s[0:1], 0x40
	;; [unrolled: 1-line block ×4, first 2 shown]
	s_cselect_b32 s4, -1, 0
	s_wait_xcnt 0x0
	s_ashr_i32 s1, s7, 31
	s_cmp_lg_u32 s7, 0
	v_mbcnt_lo_u32_b32 v2, -1, 0
	s_cselect_b32 s14, -1, 0
	v_lshlrev_b32_e32 v20, 5, v0
	v_mul_lo_u32 v0, s7, v1
	s_and_b32 s33, vcc_lo, s14
	s_mov_b32 s13, 0
	s_mov_b32 s12, s6
	;; [unrolled: 1-line block ×3, first 2 shown]
	s_cmp_gt_u32 s7, 1
	s_mul_u64 s[14:15], s[0:1], s[12:13]
	s_cselect_b32 s0, -1, 0
	v_xor_b32_e32 v3, 16, v2
	s_and_b32 s34, vcc_lo, s0
	s_cmp_gt_u32 s7, 2
	v_dual_mov_b32 v9, 0 :: v_dual_lshlrev_b32 v8, 2, v1
	s_cselect_b32 s0, -1, 0
	v_ashrrev_i32_e32 v1, 31, v0
	s_and_b32 s35, vcc_lo, s0
	v_cmp_gt_i32_e64 s0, 32, v3
	s_lshl_b32 s16, s6, 1
	s_cmp_gt_u32 s7, 3
	s_wait_kmcnt 0x0
	v_lshl_add_u64 v[12:13], v[0:1], 2, s[18:19]
	v_dual_cndmask_b32 v3, v2, v3, s0 :: v_dual_bitop2_b32 v0, 8, v2 bitop3:0x14
	s_cselect_b32 s0, -1, 0
	v_xor_b32_e32 v1, 4, v2
	s_and_b32 s36, vcc_lo, s0
	s_cmp_gt_u32 s7, 4
	v_lshlrev_b32_e32 v22, 2, v3
	s_cselect_b32 s0, -1, 0
	v_add_nc_u64_e32 v[10:11], s[18:19], v[8:9]
	s_and_b32 s37, vcc_lo, s0
	v_cmp_gt_i32_e64 s0, 32, v0
	s_lshl_b32 s18, s6, 2
	s_cmp_gt_u32 s7, 5
	v_xor_b32_e32 v5, 1, v2
	s_cselect_b32 s17, -1, 0
	v_cndmask_b32_e64 v0, v2, v0, s0
	v_cmp_gt_i32_e64 s0, 32, v1
	s_and_b32 s38, vcc_lo, s17
	s_cmp_gt_u32 s7, 6
	v_dual_lshlrev_b32 v21, 2, v2 :: v_dual_bitop2_b32 v3, 2, v2 bitop3:0x14
	v_cndmask_b32_e64 v1, v2, v1, s0
	s_cselect_b32 s0, -1, 0
	v_lshlrev_b32_e32 v23, 2, v0
	s_and_b32 s39, vcc_lo, s0
	s_cmp_gt_u32 s7, 7
	v_cmp_gt_i32_e64 s0, 32, v3
	s_cselect_b32 s26, -1, 0
	s_abs_i32 s40, s7
	s_mov_b32 s44, s13
	s_cvt_f32_u32 s17, s40
	v_cndmask_b32_e64 v3, v2, v3, s0
	v_cmp_gt_i32_e64 s0, 32, v5
	s_mov_b32 s45, s13
	v_rcp_iflag_f32_e32 v0, s17
	s_mov_b32 s46, s13
	s_mov_b32 s47, s13
	v_cndmask_b32_e64 v2, v2, v5, s0
	v_dual_lshlrev_b32 v24, 2, v1 :: v_dual_lshlrev_b32 v25, 2, v3
	s_mul_i32 s20, s6, 3
	s_delay_alu instid0(TRANS32_DEP_1) | instskip(NEXT) | instid1(VALU_DEP_3)
	v_readfirstlane_b32 s0, v0
	v_lshlrev_b32_e32 v26, 2, v2
	s_mul_i32 s22, s6, 5
	s_mul_i32 s24, s6, 6
	s_and_b32 s41, vcc_lo, s26
	s_mul_f32 s0, s0, 0x4f7ffffe
	s_mul_i32 s26, s6, 7
	s_sub_co_i32 s6, 0, s40
	v_mov_b64_e32 v[0:1], s[44:45]
	s_cvt_u32_f32 s0, s0
	v_mov_b64_e32 v[2:3], s[46:47]
	v_dual_mov_b32 v27, 0x7c :: v_dual_mov_b32 v28, 1
	s_delay_alu instid0(SALU_CYCLE_1)
	s_mul_i32 s6, s6, s0
	v_mov_b32_e32 v29, 0
	s_mul_hi_u32 s6, s0, s6
	s_mov_b32 s17, s13
	s_mov_b32 s21, s13
	;; [unrolled: 1-line block ×6, first 2 shown]
	s_add_co_i32 s28, s0, s6
	s_mov_b32 s29, s13
	s_mov_b32 s6, s13
	s_branch .LBB60_10
.LBB60_8:                               ;   in Loop: Header=BB60_10 Depth=1
	s_wait_xcnt 0x0
	s_or_b32 exec_lo, exec_lo, s42
	s_wait_dscnt 0x0
	v_mov_b32_e32 v5, 1
.LBB60_9:                               ;   in Loop: Header=BB60_10 Depth=1
	s_or_b32 exec_lo, exec_lo, s0
	ds_bpermute_b32 v8, v22, v7
	s_wait_storecnt_dscnt 0x0
	v_dual_add_nc_u32 v4, v5, v4 :: v_dual_min_i32 v7, v8, v7
	ds_bpermute_b32 v8, v23, v7
	s_wait_dscnt 0x0
	v_min_i32_e32 v7, v8, v7
	ds_bpermute_b32 v8, v24, v7
	s_wait_dscnt 0x0
	v_min_i32_e32 v7, v8, v7
	;; [unrolled: 3-line block ×4, first 2 shown]
	ds_bpermute_b32 v29, v27, v7
	s_wait_dscnt 0x0
	v_cmp_le_i32_e32 vcc_lo, s5, v29
	s_or_b32 s6, vcc_lo, s6
	s_delay_alu instid0(SALU_CYCLE_1)
	s_and_not1_b32 exec_lo, exec_lo, s6
	s_cbranch_execz .LBB60_59
.LBB60_10:                              ; =>This Loop Header: Depth=1
                                        ;     Child Loop BB60_13 Depth 2
	v_dual_mov_b32 v7, s5 :: v_dual_mov_b32 v30, v19
	s_mov_b32 s42, exec_lo
	ds_store_b8 v18, v9 offset:8192
	ds_store_b128 v20, v[0:3]
	ds_store_b128 v20, v[0:3] offset:16
	s_wait_dscnt 0x0
	v_cmpx_lt_i32_e64 v6, v19
	s_cbranch_execz .LBB60_18
; %bb.11:                               ;   in Loop: Header=BB60_10 Depth=1
	v_dual_mov_b32 v30, v19 :: v_dual_ashrrev_i32 v7, 31, v6
	v_mul_lo_u32 v5, v29, s7
	s_mov_b32 s43, 0
	s_delay_alu instid0(VALU_DEP_2) | instskip(SKIP_1) | instid1(VALU_DEP_2)
	v_lshlrev_b64_e32 v[16:17], 2, v[6:7]
	v_mov_b32_e32 v7, s5
	v_add_nc_u64_e32 v[14:15], s[10:11], v[16:17]
	v_add_nc_u64_e32 v[16:17], s[8:9], v[16:17]
	s_branch .LBB60_13
.LBB60_12:                              ;   in Loop: Header=BB60_13 Depth=2
	s_wait_xcnt 0x0
	s_or_b32 exec_lo, exec_lo, s0
	v_add_nc_u32_e32 v6, 1, v6
	s_xor_b32 s44, vcc_lo, -1
	v_add_nc_u64_e32 v[14:15], 4, v[14:15]
	v_add_nc_u64_e32 v[16:17], 4, v[16:17]
	s_delay_alu instid0(VALU_DEP_3) | instskip(SKIP_1) | instid1(SALU_CYCLE_1)
	v_cmp_ge_i32_e64 s0, v6, v19
	s_or_b32 s0, s44, s0
	s_and_b32 s0, exec_lo, s0
	s_delay_alu instid0(SALU_CYCLE_1) | instskip(NEXT) | instid1(SALU_CYCLE_1)
	s_or_b32 s43, s0, s43
	s_and_not1_b32 exec_lo, exec_lo, s43
	s_cbranch_execz .LBB60_17
.LBB60_13:                              ;   Parent Loop BB60_10 Depth=1
                                        ; =>  This Inner Loop Header: Depth=2
	global_load_b32 v8, v[14:15], off
	s_wait_loadcnt 0x0
	v_subrev_nc_u32_e32 v31, s30, v8
	s_delay_alu instid0(VALU_DEP_1) | instskip(NEXT) | instid1(VALU_DEP_1)
	v_sub_nc_u32_e32 v8, 0, v31
	v_max_i32_e32 v8, v31, v8
	s_delay_alu instid0(VALU_DEP_1) | instskip(NEXT) | instid1(VALU_DEP_1)
	v_mul_u64_e32 v[32:33], s[28:29], v[8:9]
	v_mul_lo_u32 v32, v33, s40
	s_delay_alu instid0(VALU_DEP_1) | instskip(NEXT) | instid1(VALU_DEP_1)
	v_dual_sub_nc_u32 v8, v8, v32 :: v_dual_add_nc_u32 v32, 1, v33
	v_cmp_le_u32_e32 vcc_lo, s40, v8
	s_delay_alu instid0(VALU_DEP_2) | instskip(SKIP_1) | instid1(VALU_DEP_1)
	v_cndmask_b32_e32 v32, v33, v32, vcc_lo
	v_subrev_nc_u32_e32 v34, s40, v8
	v_dual_cndmask_b32 v8, v8, v34 :: v_dual_ashrrev_i32 v33, 31, v31
	s_delay_alu instid0(VALU_DEP_3) | instskip(NEXT) | instid1(VALU_DEP_2)
	v_add_nc_u32_e32 v34, 1, v32
	v_cmp_le_u32_e32 vcc_lo, s40, v8
	s_delay_alu instid0(VALU_DEP_2) | instskip(NEXT) | instid1(VALU_DEP_1)
	v_dual_cndmask_b32 v8, v32, v34, vcc_lo :: v_dual_bitop2_b32 v33, s1, v33 bitop3:0x14
	v_xor_b32_e32 v8, v8, v33
	s_delay_alu instid0(VALU_DEP_1) | instskip(NEXT) | instid1(VALU_DEP_1)
	v_dual_sub_nc_u32 v32, v8, v33 :: v_dual_mov_b32 v8, v30
	v_cmp_ne_u32_e64 s0, v32, v29
	v_cmp_eq_u32_e32 vcc_lo, v32, v29
	s_wait_xcnt 0x0
	s_and_saveexec_b32 s44, s0
	s_delay_alu instid0(SALU_CYCLE_1)
	s_xor_b32 s0, exec_lo, s44
; %bb.14:                               ;   in Loop: Header=BB60_13 Depth=2
	v_min_i32_e32 v7, v32, v7
                                        ; implicit-def: $vgpr31
                                        ; implicit-def: $vgpr8
; %bb.15:                               ;   in Loop: Header=BB60_13 Depth=2
	s_or_saveexec_b32 s0, s0
	v_mov_b32_e32 v30, v6
	s_xor_b32 exec_lo, exec_lo, s0
	s_cbranch_execz .LBB60_12
; %bb.16:                               ;   in Loop: Header=BB60_13 Depth=2
	global_load_b32 v32, v[16:17], off
	v_sub_nc_u32_e32 v30, v31, v5
	s_delay_alu instid0(VALU_DEP_1)
	v_lshl_add_u32 v31, v30, 2, v20
	v_mov_b32_e32 v30, v8
	ds_store_b8 v18, v28 offset:8192
	s_wait_loadcnt 0x0
	ds_store_b32 v31, v32
	s_branch .LBB60_12
.LBB60_17:                              ;   in Loop: Header=BB60_10 Depth=1
	s_or_b32 exec_lo, exec_lo, s43
.LBB60_18:                              ;   in Loop: Header=BB60_10 Depth=1
	s_delay_alu instid0(SALU_CYCLE_1)
	s_or_b32 exec_lo, exec_lo, s42
	s_wait_dscnt 0x0
	ds_load_u8 v5, v18 offset:8192
	ds_bpermute_b32 v6, v21, v30
	s_wait_dscnt 0x1
	v_and_b32_e32 v5, 1, v5
	s_delay_alu instid0(VALU_DEP_1)
	v_cmp_eq_u32_e32 vcc_lo, 1, v5
	v_mov_b32_e32 v5, 0
	s_and_saveexec_b32 s0, vcc_lo
	s_cbranch_execz .LBB60_9
; %bb.19:                               ;   in Loop: Header=BB60_10 Depth=1
	v_ashrrev_i32_e32 v5, 31, v4
	s_delay_alu instid0(VALU_DEP_1) | instskip(SKIP_3) | instid1(VALU_DEP_1)
	v_mul_u64_e32 v[14:15], s[14:15], v[4:5]
	v_add_nc_u32_e32 v5, s31, v29
	global_store_b32 v4, v5, s[2:3] scale_offset
	v_lshlrev_b64_e32 v[14:15], 2, v[14:15]
	v_add_nc_u64_e32 v[16:17], v[10:11], v[14:15]
	v_add_nc_u64_e32 v[14:15], v[12:13], v[14:15]
	s_wait_xcnt 0x0
	s_and_saveexec_b32 s42, s33
	s_cbranch_execz .LBB60_23
; %bb.20:                               ;   in Loop: Header=BB60_10 Depth=1
	ds_load_b32 v5, v20
	s_and_b32 vcc_lo, exec_lo, s4
	s_cbranch_vccz .LBB60_50
; %bb.21:                               ;   in Loop: Header=BB60_10 Depth=1
	s_wait_dscnt 0x0
	global_store_b32 v[16:17], v5, off
	s_cbranch_execnz .LBB60_23
.LBB60_22:                              ;   in Loop: Header=BB60_10 Depth=1
	s_wait_dscnt 0x0
	global_store_b32 v[14:15], v5, off
.LBB60_23:                              ;   in Loop: Header=BB60_10 Depth=1
	s_wait_xcnt 0x0
	s_or_b32 exec_lo, exec_lo, s42
	s_and_saveexec_b32 s42, s34
	s_cbranch_execz .LBB60_27
; %bb.24:                               ;   in Loop: Header=BB60_10 Depth=1
	s_wait_dscnt 0x0
	ds_load_b32 v5, v20 offset:4
	s_and_not1_b32 vcc_lo, exec_lo, s4
	s_cbranch_vccnz .LBB60_51
; %bb.25:                               ;   in Loop: Header=BB60_10 Depth=1
	v_lshl_add_u64 v[30:31], s[12:13], 2, v[16:17]
	s_wait_dscnt 0x0
	global_store_b32 v[30:31], v5, off
	s_cbranch_execnz .LBB60_27
.LBB60_26:                              ;   in Loop: Header=BB60_10 Depth=1
	s_wait_dscnt 0x0
	global_store_b32 v[14:15], v5, off offset:4
.LBB60_27:                              ;   in Loop: Header=BB60_10 Depth=1
	s_wait_xcnt 0x0
	s_or_b32 exec_lo, exec_lo, s42
	s_and_saveexec_b32 s42, s35
	s_cbranch_execz .LBB60_31
; %bb.28:                               ;   in Loop: Header=BB60_10 Depth=1
	s_wait_dscnt 0x0
	ds_load_b32 v5, v20 offset:8
	s_and_not1_b32 vcc_lo, exec_lo, s4
	s_cbranch_vccnz .LBB60_52
; %bb.29:                               ;   in Loop: Header=BB60_10 Depth=1
	v_lshl_add_u64 v[30:31], s[16:17], 2, v[16:17]
	s_wait_dscnt 0x0
	global_store_b32 v[30:31], v5, off
	s_cbranch_execnz .LBB60_31
.LBB60_30:                              ;   in Loop: Header=BB60_10 Depth=1
	s_wait_dscnt 0x0
	global_store_b32 v[14:15], v5, off offset:8
.LBB60_31:                              ;   in Loop: Header=BB60_10 Depth=1
	s_wait_xcnt 0x0
	s_or_b32 exec_lo, exec_lo, s42
	s_and_saveexec_b32 s42, s36
	s_cbranch_execz .LBB60_35
; %bb.32:                               ;   in Loop: Header=BB60_10 Depth=1
	s_wait_dscnt 0x0
	ds_load_b32 v5, v20 offset:12
	s_and_not1_b32 vcc_lo, exec_lo, s4
	s_cbranch_vccnz .LBB60_53
; %bb.33:                               ;   in Loop: Header=BB60_10 Depth=1
	v_lshl_add_u64 v[30:31], s[20:21], 2, v[16:17]
	s_wait_dscnt 0x0
	global_store_b32 v[30:31], v5, off
	s_cbranch_execnz .LBB60_35
.LBB60_34:                              ;   in Loop: Header=BB60_10 Depth=1
	s_wait_dscnt 0x0
	global_store_b32 v[14:15], v5, off offset:12
.LBB60_35:                              ;   in Loop: Header=BB60_10 Depth=1
	s_wait_xcnt 0x0
	s_or_b32 exec_lo, exec_lo, s42
	s_and_saveexec_b32 s42, s37
	s_cbranch_execz .LBB60_39
; %bb.36:                               ;   in Loop: Header=BB60_10 Depth=1
	s_wait_dscnt 0x0
	ds_load_b32 v5, v20 offset:16
	s_and_not1_b32 vcc_lo, exec_lo, s4
	s_cbranch_vccnz .LBB60_54
; %bb.37:                               ;   in Loop: Header=BB60_10 Depth=1
	v_lshl_add_u64 v[30:31], s[18:19], 2, v[16:17]
	s_wait_dscnt 0x0
	global_store_b32 v[30:31], v5, off
	s_cbranch_execnz .LBB60_39
.LBB60_38:                              ;   in Loop: Header=BB60_10 Depth=1
	s_wait_dscnt 0x0
	global_store_b32 v[14:15], v5, off offset:16
.LBB60_39:                              ;   in Loop: Header=BB60_10 Depth=1
	s_wait_xcnt 0x0
	s_or_b32 exec_lo, exec_lo, s42
	s_and_saveexec_b32 s42, s38
	s_cbranch_execz .LBB60_43
; %bb.40:                               ;   in Loop: Header=BB60_10 Depth=1
	s_wait_dscnt 0x0
	ds_load_b32 v5, v20 offset:20
	s_and_not1_b32 vcc_lo, exec_lo, s4
	s_cbranch_vccnz .LBB60_55
; %bb.41:                               ;   in Loop: Header=BB60_10 Depth=1
	v_lshl_add_u64 v[30:31], s[22:23], 2, v[16:17]
	s_wait_dscnt 0x0
	global_store_b32 v[30:31], v5, off
	s_cbranch_execnz .LBB60_43
.LBB60_42:                              ;   in Loop: Header=BB60_10 Depth=1
	s_wait_dscnt 0x0
	global_store_b32 v[14:15], v5, off offset:20
.LBB60_43:                              ;   in Loop: Header=BB60_10 Depth=1
	s_wait_xcnt 0x0
	s_or_b32 exec_lo, exec_lo, s42
	s_and_saveexec_b32 s42, s39
	s_cbranch_execz .LBB60_47
; %bb.44:                               ;   in Loop: Header=BB60_10 Depth=1
	s_wait_dscnt 0x0
	ds_load_b32 v5, v20 offset:24
	s_and_not1_b32 vcc_lo, exec_lo, s4
	s_cbranch_vccnz .LBB60_56
; %bb.45:                               ;   in Loop: Header=BB60_10 Depth=1
	v_lshl_add_u64 v[30:31], s[24:25], 2, v[16:17]
	s_wait_dscnt 0x0
	global_store_b32 v[30:31], v5, off
	s_cbranch_execnz .LBB60_47
.LBB60_46:                              ;   in Loop: Header=BB60_10 Depth=1
	s_wait_dscnt 0x0
	global_store_b32 v[14:15], v5, off offset:24
.LBB60_47:                              ;   in Loop: Header=BB60_10 Depth=1
	s_wait_xcnt 0x0
	s_or_b32 exec_lo, exec_lo, s42
	s_and_saveexec_b32 s42, s41
	s_cbranch_execz .LBB60_8
; %bb.48:                               ;   in Loop: Header=BB60_10 Depth=1
	s_wait_dscnt 0x0
	ds_load_b32 v5, v20 offset:28
	s_and_not1_b32 vcc_lo, exec_lo, s4
	s_cbranch_vccnz .LBB60_57
; %bb.49:                               ;   in Loop: Header=BB60_10 Depth=1
	v_lshl_add_u64 v[16:17], s[26:27], 2, v[16:17]
	s_wait_dscnt 0x0
	global_store_b32 v[16:17], v5, off
	s_cbranch_execnz .LBB60_8
	s_branch .LBB60_58
.LBB60_50:                              ;   in Loop: Header=BB60_10 Depth=1
	s_branch .LBB60_22
.LBB60_51:                              ;   in Loop: Header=BB60_10 Depth=1
	s_branch .LBB60_26
.LBB60_52:                              ;   in Loop: Header=BB60_10 Depth=1
	s_branch .LBB60_30
.LBB60_53:                              ;   in Loop: Header=BB60_10 Depth=1
	s_branch .LBB60_34
.LBB60_54:                              ;   in Loop: Header=BB60_10 Depth=1
	s_branch .LBB60_38
.LBB60_55:                              ;   in Loop: Header=BB60_10 Depth=1
	s_branch .LBB60_42
.LBB60_56:                              ;   in Loop: Header=BB60_10 Depth=1
	s_branch .LBB60_46
.LBB60_57:                              ;   in Loop: Header=BB60_10 Depth=1
.LBB60_58:                              ;   in Loop: Header=BB60_10 Depth=1
	s_wait_dscnt 0x0
	global_store_b32 v[14:15], v5, off offset:28
	s_branch .LBB60_8
.LBB60_59:
	s_endpgm
	.section	.rodata,"a",@progbits
	.p2align	6, 0x0
	.amdhsa_kernel _ZN9rocsparseL44csr2gebsr_wavefront_per_row_multipass_kernelILi256ELi32ELi8ELi32EfEEv20rocsparse_direction_iiiiii21rocsparse_index_base_PKT3_PKiS7_S2_PS3_PiS9_
		.amdhsa_group_segment_fixed_size 8200
		.amdhsa_private_segment_fixed_size 0
		.amdhsa_kernarg_size 88
		.amdhsa_user_sgpr_count 2
		.amdhsa_user_sgpr_dispatch_ptr 0
		.amdhsa_user_sgpr_queue_ptr 0
		.amdhsa_user_sgpr_kernarg_segment_ptr 1
		.amdhsa_user_sgpr_dispatch_id 0
		.amdhsa_user_sgpr_kernarg_preload_length 0
		.amdhsa_user_sgpr_kernarg_preload_offset 0
		.amdhsa_user_sgpr_private_segment_size 0
		.amdhsa_wavefront_size32 1
		.amdhsa_uses_dynamic_stack 0
		.amdhsa_enable_private_segment 0
		.amdhsa_system_sgpr_workgroup_id_x 1
		.amdhsa_system_sgpr_workgroup_id_y 0
		.amdhsa_system_sgpr_workgroup_id_z 0
		.amdhsa_system_sgpr_workgroup_info 0
		.amdhsa_system_vgpr_workitem_id 0
		.amdhsa_next_free_vgpr 35
		.amdhsa_next_free_sgpr 48
		.amdhsa_named_barrier_count 0
		.amdhsa_reserve_vcc 1
		.amdhsa_float_round_mode_32 0
		.amdhsa_float_round_mode_16_64 0
		.amdhsa_float_denorm_mode_32 3
		.amdhsa_float_denorm_mode_16_64 3
		.amdhsa_fp16_overflow 0
		.amdhsa_memory_ordered 1
		.amdhsa_forward_progress 1
		.amdhsa_inst_pref_size 17
		.amdhsa_round_robin_scheduling 0
		.amdhsa_exception_fp_ieee_invalid_op 0
		.amdhsa_exception_fp_denorm_src 0
		.amdhsa_exception_fp_ieee_div_zero 0
		.amdhsa_exception_fp_ieee_overflow 0
		.amdhsa_exception_fp_ieee_underflow 0
		.amdhsa_exception_fp_ieee_inexact 0
		.amdhsa_exception_int_div_zero 0
	.end_amdhsa_kernel
	.section	.text._ZN9rocsparseL44csr2gebsr_wavefront_per_row_multipass_kernelILi256ELi32ELi8ELi32EfEEv20rocsparse_direction_iiiiii21rocsparse_index_base_PKT3_PKiS7_S2_PS3_PiS9_,"axG",@progbits,_ZN9rocsparseL44csr2gebsr_wavefront_per_row_multipass_kernelILi256ELi32ELi8ELi32EfEEv20rocsparse_direction_iiiiii21rocsparse_index_base_PKT3_PKiS7_S2_PS3_PiS9_,comdat
.Lfunc_end60:
	.size	_ZN9rocsparseL44csr2gebsr_wavefront_per_row_multipass_kernelILi256ELi32ELi8ELi32EfEEv20rocsparse_direction_iiiiii21rocsparse_index_base_PKT3_PKiS7_S2_PS3_PiS9_, .Lfunc_end60-_ZN9rocsparseL44csr2gebsr_wavefront_per_row_multipass_kernelILi256ELi32ELi8ELi32EfEEv20rocsparse_direction_iiiiii21rocsparse_index_base_PKT3_PKiS7_S2_PS3_PiS9_
                                        ; -- End function
	.set _ZN9rocsparseL44csr2gebsr_wavefront_per_row_multipass_kernelILi256ELi32ELi8ELi32EfEEv20rocsparse_direction_iiiiii21rocsparse_index_base_PKT3_PKiS7_S2_PS3_PiS9_.num_vgpr, 35
	.set _ZN9rocsparseL44csr2gebsr_wavefront_per_row_multipass_kernelILi256ELi32ELi8ELi32EfEEv20rocsparse_direction_iiiiii21rocsparse_index_base_PKT3_PKiS7_S2_PS3_PiS9_.num_agpr, 0
	.set _ZN9rocsparseL44csr2gebsr_wavefront_per_row_multipass_kernelILi256ELi32ELi8ELi32EfEEv20rocsparse_direction_iiiiii21rocsparse_index_base_PKT3_PKiS7_S2_PS3_PiS9_.numbered_sgpr, 48
	.set _ZN9rocsparseL44csr2gebsr_wavefront_per_row_multipass_kernelILi256ELi32ELi8ELi32EfEEv20rocsparse_direction_iiiiii21rocsparse_index_base_PKT3_PKiS7_S2_PS3_PiS9_.num_named_barrier, 0
	.set _ZN9rocsparseL44csr2gebsr_wavefront_per_row_multipass_kernelILi256ELi32ELi8ELi32EfEEv20rocsparse_direction_iiiiii21rocsparse_index_base_PKT3_PKiS7_S2_PS3_PiS9_.private_seg_size, 0
	.set _ZN9rocsparseL44csr2gebsr_wavefront_per_row_multipass_kernelILi256ELi32ELi8ELi32EfEEv20rocsparse_direction_iiiiii21rocsparse_index_base_PKT3_PKiS7_S2_PS3_PiS9_.uses_vcc, 1
	.set _ZN9rocsparseL44csr2gebsr_wavefront_per_row_multipass_kernelILi256ELi32ELi8ELi32EfEEv20rocsparse_direction_iiiiii21rocsparse_index_base_PKT3_PKiS7_S2_PS3_PiS9_.uses_flat_scratch, 0
	.set _ZN9rocsparseL44csr2gebsr_wavefront_per_row_multipass_kernelILi256ELi32ELi8ELi32EfEEv20rocsparse_direction_iiiiii21rocsparse_index_base_PKT3_PKiS7_S2_PS3_PiS9_.has_dyn_sized_stack, 0
	.set _ZN9rocsparseL44csr2gebsr_wavefront_per_row_multipass_kernelILi256ELi32ELi8ELi32EfEEv20rocsparse_direction_iiiiii21rocsparse_index_base_PKT3_PKiS7_S2_PS3_PiS9_.has_recursion, 0
	.set _ZN9rocsparseL44csr2gebsr_wavefront_per_row_multipass_kernelILi256ELi32ELi8ELi32EfEEv20rocsparse_direction_iiiiii21rocsparse_index_base_PKT3_PKiS7_S2_PS3_PiS9_.has_indirect_call, 0
	.section	.AMDGPU.csdata,"",@progbits
; Kernel info:
; codeLenInByte = 2076
; TotalNumSgprs: 50
; NumVgprs: 35
; ScratchSize: 0
; MemoryBound: 0
; FloatMode: 240
; IeeeMode: 1
; LDSByteSize: 8200 bytes/workgroup (compile time only)
; SGPRBlocks: 0
; VGPRBlocks: 2
; NumSGPRsForWavesPerEU: 50
; NumVGPRsForWavesPerEU: 35
; NamedBarCnt: 0
; Occupancy: 16
; WaveLimiterHint : 0
; COMPUTE_PGM_RSRC2:SCRATCH_EN: 0
; COMPUTE_PGM_RSRC2:USER_SGPR: 2
; COMPUTE_PGM_RSRC2:TRAP_HANDLER: 0
; COMPUTE_PGM_RSRC2:TGID_X_EN: 1
; COMPUTE_PGM_RSRC2:TGID_Y_EN: 0
; COMPUTE_PGM_RSRC2:TGID_Z_EN: 0
; COMPUTE_PGM_RSRC2:TIDIG_COMP_CNT: 0
	.section	.text._ZN9rocsparseL40csr2gebsr_block_per_row_multipass_kernelILj256ELj32ELj16EfEEv20rocsparse_direction_iiiiii21rocsparse_index_base_PKT2_PKiS7_S2_PS3_PiS9_,"axG",@progbits,_ZN9rocsparseL40csr2gebsr_block_per_row_multipass_kernelILj256ELj32ELj16EfEEv20rocsparse_direction_iiiiii21rocsparse_index_base_PKT2_PKiS7_S2_PS3_PiS9_,comdat
	.globl	_ZN9rocsparseL40csr2gebsr_block_per_row_multipass_kernelILj256ELj32ELj16EfEEv20rocsparse_direction_iiiiii21rocsparse_index_base_PKT2_PKiS7_S2_PS3_PiS9_ ; -- Begin function _ZN9rocsparseL40csr2gebsr_block_per_row_multipass_kernelILj256ELj32ELj16EfEEv20rocsparse_direction_iiiiii21rocsparse_index_base_PKT2_PKiS7_S2_PS3_PiS9_
	.p2align	8
	.type	_ZN9rocsparseL40csr2gebsr_block_per_row_multipass_kernelILj256ELj32ELj16EfEEv20rocsparse_direction_iiiiii21rocsparse_index_base_PKT2_PKiS7_S2_PS3_PiS9_,@function
_ZN9rocsparseL40csr2gebsr_block_per_row_multipass_kernelILj256ELj32ELj16EfEEv20rocsparse_direction_iiiiii21rocsparse_index_base_PKT2_PKiS7_S2_PS3_PiS9_: ; @_ZN9rocsparseL40csr2gebsr_block_per_row_multipass_kernelILj256ELj32ELj16EfEEv20rocsparse_direction_iiiiii21rocsparse_index_base_PKT2_PKiS7_S2_PS3_PiS9_
; %bb.0:
	s_clause 0x1
	s_load_b128 s[12:15], s[0:1], 0x10
	s_load_b64 s[30:31], s[0:1], 0x0
	s_bfe_u32 s2, ttmp6, 0x4000c
	s_and_b32 s3, ttmp6, 15
	s_add_co_i32 s2, s2, 1
	s_getreg_b32 s4, hwreg(HW_REG_IB_STS2, 6, 4)
	s_mul_i32 s2, ttmp9, s2
	v_dual_mov_b32 v14, 0 :: v_dual_lshrrev_b32 v1, 3, v0
	s_add_co_i32 s3, s3, s2
	s_cmp_eq_u32 s4, 0
	s_load_b64 s[6:7], s[0:1], 0x28
	s_cselect_b32 s4, ttmp9, s3
	v_mov_b32_e32 v24, 0
	s_wait_kmcnt 0x0
	v_mad_u32 v2, s13, s4, v1
	v_cmp_gt_i32_e32 vcc_lo, s13, v1
	s_delay_alu instid0(VALU_DEP_2) | instskip(SKIP_1) | instid1(SALU_CYCLE_1)
	v_cmp_gt_i32_e64 s2, s31, v2
	s_and_b32 s2, vcc_lo, s2
	s_and_saveexec_b32 s3, s2
	s_cbranch_execnz .LBB61_3
; %bb.1:
	s_or_b32 exec_lo, exec_lo, s3
	s_and_saveexec_b32 s3, s2
	s_cbranch_execnz .LBB61_4
.LBB61_2:
	s_or_b32 exec_lo, exec_lo, s3
	s_cmp_lt_i32 s12, 1
	s_cbranch_scc0 .LBB61_5
	s_branch .LBB61_43
.LBB61_3:
	global_load_b32 v3, v2, s[6:7] scale_offset
	s_wait_loadcnt 0x0
	v_subrev_nc_u32_e32 v24, s15, v3
	s_or_b32 exec_lo, exec_lo, s3
	s_and_saveexec_b32 s3, s2
	s_cbranch_execz .LBB61_2
.LBB61_4:
	global_load_b32 v2, v2, s[6:7] offset:4 scale_offset
	s_wait_loadcnt 0x0
	v_subrev_nc_u32_e32 v14, s15, v2
	s_or_b32 exec_lo, exec_lo, s3
	s_cmp_lt_i32 s12, 1
	s_cbranch_scc1 .LBB61_43
.LBB61_5:
	s_clause 0x3
	s_load_b128 s[16:19], s[0:1], 0x40
	s_load_b64 s[10:11], s[0:1], 0x50
	s_load_b96 s[20:22], s[0:1], 0x30
	s_load_b64 s[24:25], s[0:1], 0x20
	s_ashr_i32 s5, s4, 31
	v_dual_lshlrev_b32 v16, 6, v1 :: v_dual_bitop2_b32 v15, 7, v0 bitop3:0x40
	s_wait_xcnt 0x0
	s_lshl_b64 s[0:1], s[4:5], 2
	v_mbcnt_lo_u32_b32 v4, -1, 0
	v_dual_mov_b32 v3, 0 :: v_dual_lshlrev_b32 v2, 2, v1
	v_lshlrev_b32_e32 v8, 2, v15
	v_mul_lo_u32 v6, s14, v1
	s_delay_alu instid0(VALU_DEP_4) | instskip(NEXT) | instid1(VALU_DEP_4)
	v_xor_b32_e32 v7, 4, v4
	v_dual_mov_b32 v9, v3 :: v_dual_bitop2_b32 v10, 2, v4 bitop3:0x14
	v_dual_mov_b32 v1, v3 :: v_dual_bitop2_b32 v11, 1, v4 bitop3:0x14
	v_dual_mov_b32 v18, 1 :: v_dual_lshlrev_b32 v17, 2, v0
	s_wait_kmcnt 0x0
	s_add_nc_u64 s[0:1], s[18:19], s[0:1]
	v_cmp_gt_u32_e64 s2, 32, v0
	s_load_b32 s9, s[0:1], 0x0
	s_wait_xcnt 0x0
	v_cmp_gt_u32_e64 s0, 0x80, v0
	v_cmp_gt_u32_e64 s1, 64, v0
	;; [unrolled: 1-line block ×6, first 2 shown]
	v_cmp_eq_u32_e64 s7, 0, v0
	v_mul_lo_u32 v0, v15, s13
	v_lshl_or_b32 v19, v4, 2, 28
	s_mov_b32 s26, s13
	v_cmp_gt_u32_e64 s8, s14, v15
	v_dual_mov_b32 v5, v3 :: v_dual_bitop2_b32 v12, 8, v15 bitop3:0x54
	s_mov_b32 s27, 0
	s_mov_b32 s28, s14
	s_wait_kmcnt 0x0
	s_sub_co_i32 s18, s9, s22
	s_cmp_lg_u32 s30, 0
	v_cmp_gt_i32_e64 s9, 32, v7
	s_cselect_b32 s23, -1, 0
	s_abs_i32 s30, s14
	s_ashr_i32 s29, s14, 31
	s_cvt_f32_u32 s19, s30
	v_cndmask_b32_e64 v13, v4, v7, s9
	v_cmp_gt_i32_e64 s9, 32, v10
	v_ashrrev_i32_e32 v7, 31, v6
	v_rcp_iflag_f32_e32 v22, s19
	s_delay_alu instid0(VALU_DEP_2) | instskip(SKIP_2) | instid1(TRANS32_DEP_1)
	v_cndmask_b32_e64 v10, v4, v10, s9
	v_cmp_gt_i32_e64 s9, 32, v11
	v_dual_add_nc_u32 v20, v8, v16 :: v_dual_lshlrev_b32 v21, 2, v13
	v_readfirstlane_b32 s19, v22
	s_delay_alu instid0(VALU_DEP_3) | instskip(SKIP_3) | instid1(VALU_DEP_4)
	v_dual_cndmask_b32 v4, v4, v11, s9 :: v_dual_lshlrev_b32 v22, 2, v10
	v_lshl_add_u64 v[10:11], v[6:7], 2, s[16:17]
	v_cmp_gt_u32_e64 s9, s14, v12
	v_add_nc_u64_e32 v[6:7], s[16:17], v[2:3]
	v_lshlrev_b32_e32 v23, 2, v4
	v_lshl_add_u32 v4, s13, 3, v0
	s_mul_f32 s13, s19, 0x4f7ffffe
	v_add_nc_u64_e32 v[8:9], v[10:11], v[8:9]
	v_mov_b32_e32 v12, 0
	s_mul_u64 s[16:17], s[28:29], s[26:27]
	s_cvt_u32_f32 s19, s13
	s_and_b32 s13, vcc_lo, s8
	s_sub_co_i32 s8, 0, s30
	s_and_b32 s9, vcc_lo, s9
	s_mul_i32 s8, s8, s19
	s_delay_alu instid0(SALU_CYCLE_1) | instskip(NEXT) | instid1(SALU_CYCLE_1)
	s_mul_hi_u32 s8, s19, s8
	s_add_co_i32 s26, s19, s8
	s_branch .LBB61_7
.LBB61_6:                               ;   in Loop: Header=BB61_7 Depth=1
	s_or_b32 exec_lo, exec_lo, s19
	s_wait_dscnt 0x0
	s_barrier_signal -1
	s_barrier_wait -1
	ds_load_b32 v12, v3
	s_add_co_i32 s18, s8, s18
	s_wait_dscnt 0x0
	s_barrier_signal -1
	s_barrier_wait -1
	v_cmp_gt_i32_e32 vcc_lo, s12, v12
	s_cbranch_vccz .LBB61_43
.LBB61_7:                               ; =>This Loop Header: Depth=1
                                        ;     Child Loop BB61_10 Depth 2
	v_dual_mov_b32 v25, s12 :: v_dual_add_nc_u32 v10, v24, v15
	v_mov_b32_e32 v11, v14
	s_mov_b32 s19, exec_lo
	ds_store_b8 v3, v3 offset:2048
	ds_store_2addr_b32 v20, v3, v3 offset1:8
	s_wait_dscnt 0x0
	s_barrier_signal -1
	s_barrier_wait -1
	v_cmpx_lt_i32_e64 v10, v14
	s_cbranch_execz .LBB61_15
; %bb.8:                                ;   in Loop: Header=BB61_7 Depth=1
	v_mul_lo_u32 v13, v12, s14
	v_dual_mov_b32 v25, s12 :: v_dual_mov_b32 v11, v14
	s_mov_b32 s28, 0
	s_branch .LBB61_10
.LBB61_9:                               ;   in Loop: Header=BB61_10 Depth=2
	s_wait_xcnt 0x0
	s_or_b32 exec_lo, exec_lo, s8
	v_add_nc_u32_e32 v10, 8, v10
	s_xor_b32 s31, vcc_lo, -1
	s_delay_alu instid0(VALU_DEP_1) | instskip(SKIP_1) | instid1(SALU_CYCLE_1)
	v_cmp_ge_i32_e64 s8, v10, v14
	s_or_b32 s8, s31, s8
	s_and_b32 s8, exec_lo, s8
	s_delay_alu instid0(SALU_CYCLE_1) | instskip(NEXT) | instid1(SALU_CYCLE_1)
	s_or_b32 s28, s8, s28
	s_and_not1_b32 exec_lo, exec_lo, s28
	s_cbranch_execz .LBB61_14
.LBB61_10:                              ;   Parent Loop BB61_7 Depth=1
                                        ; =>  This Inner Loop Header: Depth=2
	global_load_b32 v2, v10, s[20:21] scale_offset
	s_wait_loadcnt 0x0
	v_subrev_nc_u32_e32 v24, s15, v2
	s_delay_alu instid0(VALU_DEP_1) | instskip(NEXT) | instid1(VALU_DEP_1)
	v_sub_nc_u32_e32 v2, 0, v24
	v_max_i32_e32 v2, v24, v2
	s_delay_alu instid0(VALU_DEP_1) | instskip(NEXT) | instid1(VALU_DEP_1)
	v_mul_u64_e32 v[26:27], s[26:27], v[2:3]
	v_mul_lo_u32 v26, v27, s30
	s_delay_alu instid0(VALU_DEP_1) | instskip(NEXT) | instid1(VALU_DEP_1)
	v_dual_sub_nc_u32 v2, v2, v26 :: v_dual_add_nc_u32 v26, 1, v27
	v_cmp_le_u32_e32 vcc_lo, s30, v2
	s_delay_alu instid0(VALU_DEP_2) | instskip(SKIP_2) | instid1(VALU_DEP_2)
	v_cndmask_b32_e32 v26, v27, v26, vcc_lo
	v_subrev_nc_u32_e32 v28, s30, v2
	v_ashrrev_i32_e32 v27, 31, v24
	v_dual_cndmask_b32 v2, v2, v28, vcc_lo :: v_dual_add_nc_u32 v28, 1, v26
	s_delay_alu instid0(VALU_DEP_1) | instskip(NEXT) | instid1(VALU_DEP_2)
	v_cmp_le_u32_e32 vcc_lo, s30, v2
	v_dual_cndmask_b32 v2, v26, v28, vcc_lo :: v_dual_bitop2_b32 v27, s29, v27 bitop3:0x14
	s_delay_alu instid0(VALU_DEP_1) | instskip(NEXT) | instid1(VALU_DEP_1)
	v_xor_b32_e32 v2, v2, v27
	v_dual_sub_nc_u32 v26, v2, v27 :: v_dual_mov_b32 v2, v11
	s_delay_alu instid0(VALU_DEP_1) | instskip(SKIP_3) | instid1(SALU_CYCLE_1)
	v_cmp_ne_u32_e64 s8, v26, v12
	v_cmp_eq_u32_e32 vcc_lo, v26, v12
	s_wait_xcnt 0x0
	s_and_saveexec_b32 s31, s8
	s_xor_b32 s8, exec_lo, s31
; %bb.11:                               ;   in Loop: Header=BB61_10 Depth=2
	v_min_i32_e32 v25, v26, v25
                                        ; implicit-def: $vgpr24
                                        ; implicit-def: $vgpr2
; %bb.12:                               ;   in Loop: Header=BB61_10 Depth=2
	s_or_saveexec_b32 s8, s8
	v_mov_b32_e32 v11, v10
	s_xor_b32 exec_lo, exec_lo, s8
	s_cbranch_execz .LBB61_9
; %bb.13:                               ;   in Loop: Header=BB61_10 Depth=2
	v_ashrrev_i32_e32 v11, 31, v10
	s_delay_alu instid0(VALU_DEP_1)
	v_lshl_add_u64 v[26:27], v[10:11], 2, s[24:25]
	v_sub_nc_u32_e32 v11, v24, v13
	global_load_b32 v26, v[26:27], off
	v_lshl_add_u32 v24, v11, 2, v16
	v_mov_b32_e32 v11, v2
	ds_store_b8 v3, v18 offset:2048
	s_wait_loadcnt 0x0
	ds_store_b32 v24, v26
	s_branch .LBB61_9
.LBB61_14:                              ;   in Loop: Header=BB61_7 Depth=1
	s_or_b32 exec_lo, exec_lo, s28
.LBB61_15:                              ;   in Loop: Header=BB61_7 Depth=1
	s_delay_alu instid0(SALU_CYCLE_1)
	s_or_b32 exec_lo, exec_lo, s19
	ds_bpermute_b32 v2, v21, v11
	s_wait_dscnt 0x0
	s_barrier_signal -1
	s_barrier_wait -1
	s_mov_b32 s8, 0
	v_min_i32_e32 v2, v2, v11
	ds_load_u8 v11, v3 offset:2048
	ds_bpermute_b32 v10, v22, v2
	s_wait_dscnt 0x0
	v_min_i32_e32 v2, v10, v2
	ds_bpermute_b32 v10, v23, v2
	s_wait_dscnt 0x0
	v_min_i32_e32 v2, v10, v2
	ds_bpermute_b32 v24, v19, v2
	v_and_b32_e32 v2, 1, v11
	s_delay_alu instid0(VALU_DEP_1)
	v_cmp_eq_u32_e32 vcc_lo, 0, v2
	s_cbranch_vccnz .LBB61_25
; %bb.16:                               ;   in Loop: Header=BB61_7 Depth=1
	s_ashr_i32 s19, s18, 31
	v_dual_add_nc_u32 v2, s22, v12 :: v_dual_mov_b32 v26, s18
	s_mul_u64 s[34:35], s[16:17], s[18:19]
	s_delay_alu instid0(SALU_CYCLE_1) | instskip(NEXT) | instid1(SALU_CYCLE_1)
	s_lshl_b64 s[34:35], s[34:35], 2
	v_add_nc_u64_e32 v[12:13], s[34:35], v[6:7]
	v_add_nc_u64_e32 v[10:11], s[34:35], v[8:9]
	global_store_b32 v26, v2, s[10:11] scale_offset
	s_wait_xcnt 0x0
	s_and_saveexec_b32 s8, s13
	s_cbranch_execz .LBB61_20
; %bb.17:                               ;   in Loop: Header=BB61_7 Depth=1
	ds_load_b32 v2, v20
	s_and_b32 vcc_lo, exec_lo, s23
	s_cbranch_vccz .LBB61_41
; %bb.18:                               ;   in Loop: Header=BB61_7 Depth=1
	v_lshl_add_u64 v[26:27], v[0:1], 2, v[12:13]
	s_wait_dscnt 0x0
	global_store_b32 v[26:27], v2, off
	s_cbranch_execnz .LBB61_20
.LBB61_19:                              ;   in Loop: Header=BB61_7 Depth=1
	s_wait_dscnt 0x0
	global_store_b32 v[10:11], v2, off
.LBB61_20:                              ;   in Loop: Header=BB61_7 Depth=1
	s_wait_xcnt 0x0
	s_or_b32 exec_lo, exec_lo, s8
	s_and_saveexec_b32 s8, s9
	s_cbranch_execz .LBB61_24
; %bb.21:                               ;   in Loop: Header=BB61_7 Depth=1
	s_wait_dscnt 0x0
	ds_load_b32 v2, v20 offset:32
	s_and_not1_b32 vcc_lo, exec_lo, s23
	s_cbranch_vccnz .LBB61_42
; %bb.22:                               ;   in Loop: Header=BB61_7 Depth=1
	v_lshl_add_u64 v[12:13], v[4:5], 2, v[12:13]
	s_wait_dscnt 0x0
	global_store_b32 v[12:13], v2, off
	s_cbranch_execnz .LBB61_24
.LBB61_23:                              ;   in Loop: Header=BB61_7 Depth=1
	s_wait_dscnt 0x0
	global_store_b32 v[10:11], v2, off offset:32
.LBB61_24:                              ;   in Loop: Header=BB61_7 Depth=1
	s_wait_xcnt 0x0
	s_or_b32 exec_lo, exec_lo, s8
	s_mov_b32 s8, 1
.LBB61_25:                              ;   in Loop: Header=BB61_7 Depth=1
	s_wait_storecnt_dscnt 0x0
	s_barrier_signal -1
	s_barrier_wait -1
	ds_store_b32 v17, v25
	s_wait_dscnt 0x0
	s_barrier_signal -1
	s_barrier_wait -1
	s_and_saveexec_b32 s19, s0
	s_cbranch_execz .LBB61_27
; %bb.26:                               ;   in Loop: Header=BB61_7 Depth=1
	ds_load_2addr_stride64_b32 v[10:11], v17 offset1:2
	s_wait_dscnt 0x0
	v_min_i32_e32 v2, v11, v10
	ds_store_b32 v17, v2
.LBB61_27:                              ;   in Loop: Header=BB61_7 Depth=1
	s_or_b32 exec_lo, exec_lo, s19
	s_wait_dscnt 0x0
	s_barrier_signal -1
	s_barrier_wait -1
	s_and_saveexec_b32 s19, s1
	s_cbranch_execz .LBB61_29
; %bb.28:                               ;   in Loop: Header=BB61_7 Depth=1
	ds_load_2addr_stride64_b32 v[10:11], v17 offset1:1
	s_wait_dscnt 0x0
	v_min_i32_e32 v2, v11, v10
	ds_store_b32 v17, v2
.LBB61_29:                              ;   in Loop: Header=BB61_7 Depth=1
	s_or_b32 exec_lo, exec_lo, s19
	s_wait_dscnt 0x0
	s_barrier_signal -1
	s_barrier_wait -1
	s_and_saveexec_b32 s19, s2
	s_cbranch_execz .LBB61_31
; %bb.30:                               ;   in Loop: Header=BB61_7 Depth=1
	ds_load_2addr_b32 v[10:11], v17 offset1:32
	s_wait_dscnt 0x0
	v_min_i32_e32 v2, v11, v10
	ds_store_b32 v17, v2
.LBB61_31:                              ;   in Loop: Header=BB61_7 Depth=1
	s_or_b32 exec_lo, exec_lo, s19
	s_wait_dscnt 0x0
	s_barrier_signal -1
	s_barrier_wait -1
	s_and_saveexec_b32 s19, s3
	s_cbranch_execz .LBB61_33
; %bb.32:                               ;   in Loop: Header=BB61_7 Depth=1
	ds_load_2addr_b32 v[10:11], v17 offset1:16
	s_wait_dscnt 0x0
	v_min_i32_e32 v2, v11, v10
	ds_store_b32 v17, v2
.LBB61_33:                              ;   in Loop: Header=BB61_7 Depth=1
	;; [unrolled: 12-line block ×5, first 2 shown]
	s_or_b32 exec_lo, exec_lo, s19
	s_wait_dscnt 0x0
	s_barrier_signal -1
	s_barrier_wait -1
	s_and_saveexec_b32 s19, s7
	s_cbranch_execz .LBB61_6
; %bb.40:                               ;   in Loop: Header=BB61_7 Depth=1
	ds_load_b64 v[10:11], v3
	s_wait_dscnt 0x0
	v_min_i32_e32 v2, v11, v10
	ds_store_b32 v3, v2
	s_branch .LBB61_6
.LBB61_41:                              ;   in Loop: Header=BB61_7 Depth=1
	s_branch .LBB61_19
.LBB61_42:                              ;   in Loop: Header=BB61_7 Depth=1
	s_branch .LBB61_23
.LBB61_43:
	s_endpgm
	.section	.rodata,"a",@progbits
	.p2align	6, 0x0
	.amdhsa_kernel _ZN9rocsparseL40csr2gebsr_block_per_row_multipass_kernelILj256ELj32ELj16EfEEv20rocsparse_direction_iiiiii21rocsparse_index_base_PKT2_PKiS7_S2_PS3_PiS9_
		.amdhsa_group_segment_fixed_size 2052
		.amdhsa_private_segment_fixed_size 0
		.amdhsa_kernarg_size 88
		.amdhsa_user_sgpr_count 2
		.amdhsa_user_sgpr_dispatch_ptr 0
		.amdhsa_user_sgpr_queue_ptr 0
		.amdhsa_user_sgpr_kernarg_segment_ptr 1
		.amdhsa_user_sgpr_dispatch_id 0
		.amdhsa_user_sgpr_kernarg_preload_length 0
		.amdhsa_user_sgpr_kernarg_preload_offset 0
		.amdhsa_user_sgpr_private_segment_size 0
		.amdhsa_wavefront_size32 1
		.amdhsa_uses_dynamic_stack 0
		.amdhsa_enable_private_segment 0
		.amdhsa_system_sgpr_workgroup_id_x 1
		.amdhsa_system_sgpr_workgroup_id_y 0
		.amdhsa_system_sgpr_workgroup_id_z 0
		.amdhsa_system_sgpr_workgroup_info 0
		.amdhsa_system_vgpr_workitem_id 0
		.amdhsa_next_free_vgpr 29
		.amdhsa_next_free_sgpr 36
		.amdhsa_named_barrier_count 0
		.amdhsa_reserve_vcc 1
		.amdhsa_float_round_mode_32 0
		.amdhsa_float_round_mode_16_64 0
		.amdhsa_float_denorm_mode_32 3
		.amdhsa_float_denorm_mode_16_64 3
		.amdhsa_fp16_overflow 0
		.amdhsa_memory_ordered 1
		.amdhsa_forward_progress 1
		.amdhsa_inst_pref_size 15
		.amdhsa_round_robin_scheduling 0
		.amdhsa_exception_fp_ieee_invalid_op 0
		.amdhsa_exception_fp_denorm_src 0
		.amdhsa_exception_fp_ieee_div_zero 0
		.amdhsa_exception_fp_ieee_overflow 0
		.amdhsa_exception_fp_ieee_underflow 0
		.amdhsa_exception_fp_ieee_inexact 0
		.amdhsa_exception_int_div_zero 0
	.end_amdhsa_kernel
	.section	.text._ZN9rocsparseL40csr2gebsr_block_per_row_multipass_kernelILj256ELj32ELj16EfEEv20rocsparse_direction_iiiiii21rocsparse_index_base_PKT2_PKiS7_S2_PS3_PiS9_,"axG",@progbits,_ZN9rocsparseL40csr2gebsr_block_per_row_multipass_kernelILj256ELj32ELj16EfEEv20rocsparse_direction_iiiiii21rocsparse_index_base_PKT2_PKiS7_S2_PS3_PiS9_,comdat
.Lfunc_end61:
	.size	_ZN9rocsparseL40csr2gebsr_block_per_row_multipass_kernelILj256ELj32ELj16EfEEv20rocsparse_direction_iiiiii21rocsparse_index_base_PKT2_PKiS7_S2_PS3_PiS9_, .Lfunc_end61-_ZN9rocsparseL40csr2gebsr_block_per_row_multipass_kernelILj256ELj32ELj16EfEEv20rocsparse_direction_iiiiii21rocsparse_index_base_PKT2_PKiS7_S2_PS3_PiS9_
                                        ; -- End function
	.set _ZN9rocsparseL40csr2gebsr_block_per_row_multipass_kernelILj256ELj32ELj16EfEEv20rocsparse_direction_iiiiii21rocsparse_index_base_PKT2_PKiS7_S2_PS3_PiS9_.num_vgpr, 29
	.set _ZN9rocsparseL40csr2gebsr_block_per_row_multipass_kernelILj256ELj32ELj16EfEEv20rocsparse_direction_iiiiii21rocsparse_index_base_PKT2_PKiS7_S2_PS3_PiS9_.num_agpr, 0
	.set _ZN9rocsparseL40csr2gebsr_block_per_row_multipass_kernelILj256ELj32ELj16EfEEv20rocsparse_direction_iiiiii21rocsparse_index_base_PKT2_PKiS7_S2_PS3_PiS9_.numbered_sgpr, 36
	.set _ZN9rocsparseL40csr2gebsr_block_per_row_multipass_kernelILj256ELj32ELj16EfEEv20rocsparse_direction_iiiiii21rocsparse_index_base_PKT2_PKiS7_S2_PS3_PiS9_.num_named_barrier, 0
	.set _ZN9rocsparseL40csr2gebsr_block_per_row_multipass_kernelILj256ELj32ELj16EfEEv20rocsparse_direction_iiiiii21rocsparse_index_base_PKT2_PKiS7_S2_PS3_PiS9_.private_seg_size, 0
	.set _ZN9rocsparseL40csr2gebsr_block_per_row_multipass_kernelILj256ELj32ELj16EfEEv20rocsparse_direction_iiiiii21rocsparse_index_base_PKT2_PKiS7_S2_PS3_PiS9_.uses_vcc, 1
	.set _ZN9rocsparseL40csr2gebsr_block_per_row_multipass_kernelILj256ELj32ELj16EfEEv20rocsparse_direction_iiiiii21rocsparse_index_base_PKT2_PKiS7_S2_PS3_PiS9_.uses_flat_scratch, 0
	.set _ZN9rocsparseL40csr2gebsr_block_per_row_multipass_kernelILj256ELj32ELj16EfEEv20rocsparse_direction_iiiiii21rocsparse_index_base_PKT2_PKiS7_S2_PS3_PiS9_.has_dyn_sized_stack, 0
	.set _ZN9rocsparseL40csr2gebsr_block_per_row_multipass_kernelILj256ELj32ELj16EfEEv20rocsparse_direction_iiiiii21rocsparse_index_base_PKT2_PKiS7_S2_PS3_PiS9_.has_recursion, 0
	.set _ZN9rocsparseL40csr2gebsr_block_per_row_multipass_kernelILj256ELj32ELj16EfEEv20rocsparse_direction_iiiiii21rocsparse_index_base_PKT2_PKiS7_S2_PS3_PiS9_.has_indirect_call, 0
	.section	.AMDGPU.csdata,"",@progbits
; Kernel info:
; codeLenInByte = 1840
; TotalNumSgprs: 38
; NumVgprs: 29
; ScratchSize: 0
; MemoryBound: 0
; FloatMode: 240
; IeeeMode: 1
; LDSByteSize: 2052 bytes/workgroup (compile time only)
; SGPRBlocks: 0
; VGPRBlocks: 1
; NumSGPRsForWavesPerEU: 38
; NumVGPRsForWavesPerEU: 29
; NamedBarCnt: 0
; Occupancy: 16
; WaveLimiterHint : 0
; COMPUTE_PGM_RSRC2:SCRATCH_EN: 0
; COMPUTE_PGM_RSRC2:USER_SGPR: 2
; COMPUTE_PGM_RSRC2:TRAP_HANDLER: 0
; COMPUTE_PGM_RSRC2:TGID_X_EN: 1
; COMPUTE_PGM_RSRC2:TGID_Y_EN: 0
; COMPUTE_PGM_RSRC2:TGID_Z_EN: 0
; COMPUTE_PGM_RSRC2:TIDIG_COMP_CNT: 0
	.section	.text._ZN9rocsparseL40csr2gebsr_block_per_row_multipass_kernelILj256ELj32ELj32EfEEv20rocsparse_direction_iiiiii21rocsparse_index_base_PKT2_PKiS7_S2_PS3_PiS9_,"axG",@progbits,_ZN9rocsparseL40csr2gebsr_block_per_row_multipass_kernelILj256ELj32ELj32EfEEv20rocsparse_direction_iiiiii21rocsparse_index_base_PKT2_PKiS7_S2_PS3_PiS9_,comdat
	.globl	_ZN9rocsparseL40csr2gebsr_block_per_row_multipass_kernelILj256ELj32ELj32EfEEv20rocsparse_direction_iiiiii21rocsparse_index_base_PKT2_PKiS7_S2_PS3_PiS9_ ; -- Begin function _ZN9rocsparseL40csr2gebsr_block_per_row_multipass_kernelILj256ELj32ELj32EfEEv20rocsparse_direction_iiiiii21rocsparse_index_base_PKT2_PKiS7_S2_PS3_PiS9_
	.p2align	8
	.type	_ZN9rocsparseL40csr2gebsr_block_per_row_multipass_kernelILj256ELj32ELj32EfEEv20rocsparse_direction_iiiiii21rocsparse_index_base_PKT2_PKiS7_S2_PS3_PiS9_,@function
_ZN9rocsparseL40csr2gebsr_block_per_row_multipass_kernelILj256ELj32ELj32EfEEv20rocsparse_direction_iiiiii21rocsparse_index_base_PKT2_PKiS7_S2_PS3_PiS9_: ; @_ZN9rocsparseL40csr2gebsr_block_per_row_multipass_kernelILj256ELj32ELj32EfEEv20rocsparse_direction_iiiiii21rocsparse_index_base_PKT2_PKiS7_S2_PS3_PiS9_
; %bb.0:
	s_clause 0x1
	s_load_b128 s[12:15], s[0:1], 0x10
	s_load_b64 s[28:29], s[0:1], 0x0
	s_bfe_u32 s2, ttmp6, 0x4000c
	s_and_b32 s3, ttmp6, 15
	s_add_co_i32 s2, s2, 1
	s_getreg_b32 s4, hwreg(HW_REG_IB_STS2, 6, 4)
	s_mul_i32 s2, ttmp9, s2
	v_dual_mov_b32 v18, 0 :: v_dual_lshrrev_b32 v1, 3, v0
	s_add_co_i32 s3, s3, s2
	s_cmp_eq_u32 s4, 0
	s_load_b64 s[6:7], s[0:1], 0x28
	s_cselect_b32 s4, ttmp9, s3
	v_mov_b32_e32 v26, 0
	s_wait_kmcnt 0x0
	v_mad_u32 v2, s13, s4, v1
	v_cmp_gt_i32_e32 vcc_lo, s13, v1
	s_delay_alu instid0(VALU_DEP_2) | instskip(SKIP_1) | instid1(SALU_CYCLE_1)
	v_cmp_gt_i32_e64 s2, s29, v2
	s_and_b32 s2, vcc_lo, s2
	s_and_saveexec_b32 s3, s2
	s_cbranch_execnz .LBB62_3
; %bb.1:
	s_or_b32 exec_lo, exec_lo, s3
	s_and_saveexec_b32 s3, s2
	s_cbranch_execnz .LBB62_4
.LBB62_2:
	s_or_b32 exec_lo, exec_lo, s3
	s_cmp_lt_i32 s12, 1
	s_cbranch_scc0 .LBB62_5
	s_branch .LBB62_53
.LBB62_3:
	global_load_b32 v3, v2, s[6:7] scale_offset
	s_wait_loadcnt 0x0
	v_subrev_nc_u32_e32 v26, s15, v3
	s_or_b32 exec_lo, exec_lo, s3
	s_and_saveexec_b32 s3, s2
	s_cbranch_execz .LBB62_2
.LBB62_4:
	global_load_b32 v2, v2, s[6:7] offset:4 scale_offset
	s_wait_loadcnt 0x0
	v_subrev_nc_u32_e32 v18, s15, v2
	s_or_b32 exec_lo, exec_lo, s3
	s_cmp_lt_i32 s12, 1
	s_cbranch_scc1 .LBB62_53
.LBB62_5:
	s_clause 0x3
	s_load_b128 s[8:11], s[0:1], 0x40
	s_load_b64 s[20:21], s[0:1], 0x50
	s_load_b96 s[16:18], s[0:1], 0x30
	s_load_b64 s[22:23], s[0:1], 0x20
	s_ashr_i32 s5, s4, 31
	v_mbcnt_lo_u32_b32 v5, -1, 0
	s_lshl_b64 s[4:5], s[4:5], 2
	v_dual_lshlrev_b32 v20, 7, v1 :: v_dual_bitop2_b32 v19, 7, v0 bitop3:0x40
	v_dual_mov_b32 v3, 0 :: v_dual_lshlrev_b32 v2, 2, v1
	v_mul_lo_u32 v4, s14, v1
	v_dual_lshlrev_b32 v21, 2, v0 :: v_dual_bitop2_b32 v1, 4, v5 bitop3:0x14
	s_delay_alu instid0(VALU_DEP_4) | instskip(SKIP_2) | instid1(VALU_DEP_2)
	v_dual_lshlrev_b32 v14, 2, v19 :: v_dual_bitop2_b32 v6, 2, v5 bitop3:0x14
	s_mov_b32 s25, 0
	s_mov_b32 s24, s13
	v_cmp_gt_i32_e64 s6, 32, v1
	s_mov_b32 s26, s14
	s_wait_kmcnt 0x0
	s_add_nc_u64 s[4:5], s[10:11], s[4:5]
	v_lshl_or_b32 v22, v5, 2, 28
	s_load_b32 s7, s[4:5], 0x0
	v_cndmask_b32_e64 v1, v5, v1, s6
	v_cmp_gt_i32_e64 s6, 32, v6
	v_xor_b32_e32 v7, 1, v5
	v_mul_lo_u32 v8, v19, s13
	v_cmp_gt_u32_e64 s0, 0x80, v0
	s_delay_alu instid0(VALU_DEP_4) | instskip(NEXT) | instid1(VALU_DEP_4)
	v_dual_mov_b32 v15, v3 :: v_dual_cndmask_b32 v6, v5, v6, s6
	v_cmp_gt_i32_e64 s6, 32, v7
	v_cmp_gt_u32_e64 s1, 64, v0
	v_cmp_gt_u32_e64 s2, 32, v0
	;; [unrolled: 1-line block ×3, first 2 shown]
	s_delay_alu instid0(VALU_DEP_4)
	v_dual_lshlrev_b32 v24, 2, v6 :: v_dual_cndmask_b32 v7, v5, v7, s6
	v_dual_ashrrev_i32 v5, 31, v4 :: v_dual_lshlrev_b32 v23, 2, v1
	v_or_b32_e32 v1, 8, v19
	s_wait_xcnt 0x0
	v_cmp_gt_u32_e64 s4, 8, v0
	v_dual_lshlrev_b32 v25, 2, v7 :: v_dual_mov_b32 v9, v3
	s_wait_kmcnt 0x0
	s_sub_co_i32 s10, s7, s18
	s_cmp_lg_u32 s28, 0
	v_lshl_add_u64 v[6:7], v[4:5], 2, s[8:9]
	s_cselect_b32 s19, -1, 0
	s_ashr_i32 s27, s14, 31
	v_add_nc_u64_e32 v[4:5], s[8:9], v[2:3]
	s_mul_u64 s[28:29], s[26:27], s[24:25]
	s_abs_i32 s26, s14
	v_cmp_gt_u32_e64 s9, s14, v1
	s_cvt_f32_u32 s11, s26
	v_cmp_gt_u32_e64 s5, 4, v0
	v_cmp_gt_u32_e64 s8, s14, v19
	;; [unrolled: 1-line block ×3, first 2 shown]
	v_rcp_iflag_f32_e32 v1, s11
	s_lshl_b32 s11, s13, 3
	v_cmp_eq_u32_e64 s7, 0, v0
	v_dual_add_nc_u32 v0, s11, v8 :: v_dual_bitop2_b32 v2, 16, v19 bitop3:0x54
	s_and_b32 s30, vcc_lo, s8
	v_add_nc_u64_e32 v[6:7], v[6:7], v[14:15]
	s_delay_alu instid0(TRANS32_DEP_1)
	v_readfirstlane_b32 s13, v1
	v_mov_b32_e32 v1, v3
	v_cmp_gt_u32_e64 s8, s14, v2
	v_dual_add_nc_u32 v10, s11, v0 :: v_dual_bitop2_b32 v2, 24, v19 bitop3:0x54
	s_mul_f32 s24, s13, 0x4f7ffffe
	v_mov_b32_e32 v11, v3
	s_and_b32 s13, vcc_lo, s8
	s_delay_alu instid0(VALU_DEP_2)
	v_cmp_gt_u32_e64 s8, s14, v2
	s_cvt_u32_f32 s24, s24
	v_add_nc_u32_e32 v12, s11, v10
	s_sub_co_i32 s11, 0, s26
	v_dual_mov_b32 v13, v3 :: v_dual_add_nc_u32 v27, v14, v20
	s_mul_i32 s11, s11, s24
	v_dual_mov_b32 v28, 1 :: v_dual_mov_b32 v16, 0
	s_mul_hi_u32 s11, s24, s11
	s_and_b32 s9, vcc_lo, s9
	s_and_b32 s31, vcc_lo, s8
	s_add_co_i32 s24, s24, s11
	s_branch .LBB62_7
.LBB62_6:                               ;   in Loop: Header=BB62_7 Depth=1
	s_or_b32 exec_lo, exec_lo, s11
	s_wait_dscnt 0x0
	s_barrier_signal -1
	s_barrier_wait -1
	ds_load_b32 v16, v3
	s_add_co_i32 s10, s8, s10
	s_wait_dscnt 0x0
	s_barrier_signal -1
	s_barrier_wait -1
	v_cmp_gt_i32_e32 vcc_lo, s12, v16
	s_cbranch_vccz .LBB62_53
.LBB62_7:                               ; =>This Loop Header: Depth=1
                                        ;     Child Loop BB62_10 Depth 2
	v_dual_mov_b32 v29, s12 :: v_dual_add_nc_u32 v14, v26, v19
	v_mov_b32_e32 v15, v18
	s_mov_b32 s11, exec_lo
	ds_store_b8 v3, v3 offset:4096
	ds_store_2addr_b32 v27, v3, v3 offset1:8
	ds_store_2addr_b32 v27, v3, v3 offset0:16 offset1:24
	s_wait_dscnt 0x0
	s_barrier_signal -1
	s_barrier_wait -1
	v_cmpx_lt_i32_e64 v14, v18
	s_cbranch_execz .LBB62_15
; %bb.8:                                ;   in Loop: Header=BB62_7 Depth=1
	v_mul_lo_u32 v17, v16, s14
	v_dual_mov_b32 v29, s12 :: v_dual_mov_b32 v15, v18
	s_mov_b32 s33, 0
	s_branch .LBB62_10
.LBB62_9:                               ;   in Loop: Header=BB62_10 Depth=2
	s_wait_xcnt 0x0
	s_or_b32 exec_lo, exec_lo, s8
	v_add_nc_u32_e32 v14, 8, v14
	s_xor_b32 s34, vcc_lo, -1
	s_delay_alu instid0(VALU_DEP_1) | instskip(SKIP_1) | instid1(SALU_CYCLE_1)
	v_cmp_ge_i32_e64 s8, v14, v18
	s_or_b32 s8, s34, s8
	s_and_b32 s8, exec_lo, s8
	s_delay_alu instid0(SALU_CYCLE_1) | instskip(NEXT) | instid1(SALU_CYCLE_1)
	s_or_b32 s33, s8, s33
	s_and_not1_b32 exec_lo, exec_lo, s33
	s_cbranch_execz .LBB62_14
.LBB62_10:                              ;   Parent Loop BB62_7 Depth=1
                                        ; =>  This Inner Loop Header: Depth=2
	global_load_b32 v2, v14, s[16:17] scale_offset
	s_wait_loadcnt 0x0
	v_subrev_nc_u32_e32 v26, s15, v2
	s_delay_alu instid0(VALU_DEP_1) | instskip(NEXT) | instid1(VALU_DEP_1)
	v_sub_nc_u32_e32 v2, 0, v26
	v_max_i32_e32 v2, v26, v2
	s_delay_alu instid0(VALU_DEP_1) | instskip(NEXT) | instid1(VALU_DEP_1)
	v_mul_u64_e32 v[30:31], s[24:25], v[2:3]
	v_mul_lo_u32 v30, v31, s26
	s_delay_alu instid0(VALU_DEP_1) | instskip(NEXT) | instid1(VALU_DEP_1)
	v_dual_sub_nc_u32 v2, v2, v30 :: v_dual_add_nc_u32 v30, 1, v31
	v_cmp_le_u32_e32 vcc_lo, s26, v2
	s_delay_alu instid0(VALU_DEP_2) | instskip(SKIP_1) | instid1(VALU_DEP_1)
	v_cndmask_b32_e32 v30, v31, v30, vcc_lo
	v_subrev_nc_u32_e32 v32, s26, v2
	v_dual_cndmask_b32 v2, v2, v32 :: v_dual_ashrrev_i32 v31, 31, v26
	s_delay_alu instid0(VALU_DEP_1) | instskip(NEXT) | instid1(VALU_DEP_2)
	v_dual_add_nc_u32 v32, 1, v30 :: v_dual_bitop2_b32 v31, s27, v31 bitop3:0x14
	v_cmp_le_u32_e32 vcc_lo, s26, v2
	s_delay_alu instid0(VALU_DEP_2) | instskip(NEXT) | instid1(VALU_DEP_1)
	v_cndmask_b32_e32 v2, v30, v32, vcc_lo
	v_xor_b32_e32 v2, v2, v31
	s_delay_alu instid0(VALU_DEP_1) | instskip(NEXT) | instid1(VALU_DEP_1)
	v_dual_sub_nc_u32 v30, v2, v31 :: v_dual_mov_b32 v2, v15
	v_cmp_ne_u32_e64 s8, v30, v16
	v_cmp_eq_u32_e32 vcc_lo, v30, v16
	s_wait_xcnt 0x0
	s_and_saveexec_b32 s34, s8
	s_delay_alu instid0(SALU_CYCLE_1)
	s_xor_b32 s8, exec_lo, s34
; %bb.11:                               ;   in Loop: Header=BB62_10 Depth=2
	v_min_i32_e32 v29, v30, v29
                                        ; implicit-def: $vgpr26
                                        ; implicit-def: $vgpr2
; %bb.12:                               ;   in Loop: Header=BB62_10 Depth=2
	s_or_saveexec_b32 s8, s8
	v_mov_b32_e32 v15, v14
	s_xor_b32 exec_lo, exec_lo, s8
	s_cbranch_execz .LBB62_9
; %bb.13:                               ;   in Loop: Header=BB62_10 Depth=2
	v_ashrrev_i32_e32 v15, 31, v14
	s_delay_alu instid0(VALU_DEP_1)
	v_lshl_add_u64 v[30:31], v[14:15], 2, s[22:23]
	v_sub_nc_u32_e32 v15, v26, v17
	global_load_b32 v30, v[30:31], off
	v_lshl_add_u32 v26, v15, 2, v20
	v_mov_b32_e32 v15, v2
	ds_store_b8 v3, v28 offset:4096
	s_wait_loadcnt 0x0
	ds_store_b32 v26, v30
	s_branch .LBB62_9
.LBB62_14:                              ;   in Loop: Header=BB62_7 Depth=1
	s_or_b32 exec_lo, exec_lo, s33
.LBB62_15:                              ;   in Loop: Header=BB62_7 Depth=1
	s_delay_alu instid0(SALU_CYCLE_1)
	s_or_b32 exec_lo, exec_lo, s11
	ds_bpermute_b32 v2, v23, v15
	s_wait_dscnt 0x0
	s_barrier_signal -1
	s_barrier_wait -1
	s_mov_b32 s8, 0
	v_min_i32_e32 v2, v2, v15
	ds_load_u8 v15, v3 offset:4096
	ds_bpermute_b32 v14, v24, v2
	s_wait_dscnt 0x0
	v_min_i32_e32 v2, v14, v2
	ds_bpermute_b32 v14, v25, v2
	s_wait_dscnt 0x0
	v_min_i32_e32 v2, v14, v2
	ds_bpermute_b32 v26, v22, v2
	v_and_b32_e32 v2, 1, v15
	s_delay_alu instid0(VALU_DEP_1)
	v_cmp_eq_u32_e32 vcc_lo, 0, v2
	s_cbranch_vccnz .LBB62_33
; %bb.16:                               ;   in Loop: Header=BB62_7 Depth=1
	s_ashr_i32 s11, s10, 31
	v_dual_add_nc_u32 v2, s18, v16 :: v_dual_mov_b32 v30, s10
	s_mul_u64 s[34:35], s[28:29], s[10:11]
	s_delay_alu instid0(SALU_CYCLE_1) | instskip(NEXT) | instid1(SALU_CYCLE_1)
	s_lshl_b64 s[34:35], s[34:35], 2
	v_add_nc_u64_e32 v[16:17], s[34:35], v[4:5]
	v_add_nc_u64_e32 v[14:15], s[34:35], v[6:7]
	global_store_b32 v30, v2, s[20:21] scale_offset
	s_wait_xcnt 0x0
	s_and_saveexec_b32 s8, s30
	s_cbranch_execz .LBB62_20
; %bb.17:                               ;   in Loop: Header=BB62_7 Depth=1
	ds_load_b32 v2, v27
	s_and_b32 vcc_lo, exec_lo, s19
	s_cbranch_vccz .LBB62_49
; %bb.18:                               ;   in Loop: Header=BB62_7 Depth=1
	v_lshl_add_u64 v[30:31], v[8:9], 2, v[16:17]
	s_wait_dscnt 0x0
	global_store_b32 v[30:31], v2, off
	s_cbranch_execnz .LBB62_20
.LBB62_19:                              ;   in Loop: Header=BB62_7 Depth=1
	s_wait_dscnt 0x0
	global_store_b32 v[14:15], v2, off
.LBB62_20:                              ;   in Loop: Header=BB62_7 Depth=1
	s_wait_xcnt 0x0
	s_or_b32 exec_lo, exec_lo, s8
	s_and_saveexec_b32 s8, s9
	s_cbranch_execz .LBB62_24
; %bb.21:                               ;   in Loop: Header=BB62_7 Depth=1
	s_wait_dscnt 0x0
	ds_load_b32 v2, v27 offset:32
	s_and_not1_b32 vcc_lo, exec_lo, s19
	s_cbranch_vccnz .LBB62_50
; %bb.22:                               ;   in Loop: Header=BB62_7 Depth=1
	v_lshl_add_u64 v[30:31], v[0:1], 2, v[16:17]
	s_wait_dscnt 0x0
	global_store_b32 v[30:31], v2, off
	s_cbranch_execnz .LBB62_24
.LBB62_23:                              ;   in Loop: Header=BB62_7 Depth=1
	s_wait_dscnt 0x0
	global_store_b32 v[14:15], v2, off offset:32
.LBB62_24:                              ;   in Loop: Header=BB62_7 Depth=1
	s_wait_xcnt 0x0
	s_or_b32 exec_lo, exec_lo, s8
	s_and_saveexec_b32 s8, s13
	s_cbranch_execz .LBB62_28
; %bb.25:                               ;   in Loop: Header=BB62_7 Depth=1
	s_wait_dscnt 0x0
	ds_load_b32 v2, v27 offset:64
	s_and_not1_b32 vcc_lo, exec_lo, s19
	s_cbranch_vccnz .LBB62_51
; %bb.26:                               ;   in Loop: Header=BB62_7 Depth=1
	v_lshl_add_u64 v[30:31], v[10:11], 2, v[16:17]
	s_wait_dscnt 0x0
	global_store_b32 v[30:31], v2, off
	s_cbranch_execnz .LBB62_28
.LBB62_27:                              ;   in Loop: Header=BB62_7 Depth=1
	s_wait_dscnt 0x0
	global_store_b32 v[14:15], v2, off offset:64
.LBB62_28:                              ;   in Loop: Header=BB62_7 Depth=1
	s_wait_xcnt 0x0
	s_or_b32 exec_lo, exec_lo, s8
	s_and_saveexec_b32 s8, s31
	s_cbranch_execz .LBB62_32
; %bb.29:                               ;   in Loop: Header=BB62_7 Depth=1
	s_wait_dscnt 0x0
	ds_load_b32 v2, v27 offset:96
	s_and_not1_b32 vcc_lo, exec_lo, s19
	s_cbranch_vccnz .LBB62_52
; %bb.30:                               ;   in Loop: Header=BB62_7 Depth=1
	v_lshl_add_u64 v[16:17], v[12:13], 2, v[16:17]
	s_wait_dscnt 0x0
	global_store_b32 v[16:17], v2, off
	s_cbranch_execnz .LBB62_32
.LBB62_31:                              ;   in Loop: Header=BB62_7 Depth=1
	s_wait_dscnt 0x0
	global_store_b32 v[14:15], v2, off offset:96
.LBB62_32:                              ;   in Loop: Header=BB62_7 Depth=1
	s_wait_xcnt 0x0
	s_or_b32 exec_lo, exec_lo, s8
	s_mov_b32 s8, 1
.LBB62_33:                              ;   in Loop: Header=BB62_7 Depth=1
	s_wait_storecnt_dscnt 0x0
	s_barrier_signal -1
	s_barrier_wait -1
	ds_store_b32 v21, v29
	s_wait_dscnt 0x0
	s_barrier_signal -1
	s_barrier_wait -1
	s_and_saveexec_b32 s11, s0
	s_cbranch_execz .LBB62_35
; %bb.34:                               ;   in Loop: Header=BB62_7 Depth=1
	ds_load_2addr_stride64_b32 v[14:15], v21 offset1:2
	s_wait_dscnt 0x0
	v_min_i32_e32 v2, v15, v14
	ds_store_b32 v21, v2
.LBB62_35:                              ;   in Loop: Header=BB62_7 Depth=1
	s_or_b32 exec_lo, exec_lo, s11
	s_wait_dscnt 0x0
	s_barrier_signal -1
	s_barrier_wait -1
	s_and_saveexec_b32 s11, s1
	s_cbranch_execz .LBB62_37
; %bb.36:                               ;   in Loop: Header=BB62_7 Depth=1
	ds_load_2addr_stride64_b32 v[14:15], v21 offset1:1
	s_wait_dscnt 0x0
	v_min_i32_e32 v2, v15, v14
	ds_store_b32 v21, v2
.LBB62_37:                              ;   in Loop: Header=BB62_7 Depth=1
	s_or_b32 exec_lo, exec_lo, s11
	s_wait_dscnt 0x0
	s_barrier_signal -1
	s_barrier_wait -1
	s_and_saveexec_b32 s11, s2
	s_cbranch_execz .LBB62_39
; %bb.38:                               ;   in Loop: Header=BB62_7 Depth=1
	ds_load_2addr_b32 v[14:15], v21 offset1:32
	s_wait_dscnt 0x0
	v_min_i32_e32 v2, v15, v14
	ds_store_b32 v21, v2
.LBB62_39:                              ;   in Loop: Header=BB62_7 Depth=1
	s_or_b32 exec_lo, exec_lo, s11
	s_wait_dscnt 0x0
	s_barrier_signal -1
	s_barrier_wait -1
	s_and_saveexec_b32 s11, s3
	s_cbranch_execz .LBB62_41
; %bb.40:                               ;   in Loop: Header=BB62_7 Depth=1
	ds_load_2addr_b32 v[14:15], v21 offset1:16
	s_wait_dscnt 0x0
	v_min_i32_e32 v2, v15, v14
	ds_store_b32 v21, v2
.LBB62_41:                              ;   in Loop: Header=BB62_7 Depth=1
	;; [unrolled: 12-line block ×5, first 2 shown]
	s_or_b32 exec_lo, exec_lo, s11
	s_wait_dscnt 0x0
	s_barrier_signal -1
	s_barrier_wait -1
	s_and_saveexec_b32 s11, s7
	s_cbranch_execz .LBB62_6
; %bb.48:                               ;   in Loop: Header=BB62_7 Depth=1
	ds_load_b64 v[14:15], v3
	s_wait_dscnt 0x0
	v_min_i32_e32 v2, v15, v14
	ds_store_b32 v3, v2
	s_branch .LBB62_6
.LBB62_49:                              ;   in Loop: Header=BB62_7 Depth=1
	s_branch .LBB62_19
.LBB62_50:                              ;   in Loop: Header=BB62_7 Depth=1
	s_branch .LBB62_23
.LBB62_51:                              ;   in Loop: Header=BB62_7 Depth=1
	s_branch .LBB62_27
.LBB62_52:                              ;   in Loop: Header=BB62_7 Depth=1
	s_branch .LBB62_31
.LBB62_53:
	s_endpgm
	.section	.rodata,"a",@progbits
	.p2align	6, 0x0
	.amdhsa_kernel _ZN9rocsparseL40csr2gebsr_block_per_row_multipass_kernelILj256ELj32ELj32EfEEv20rocsparse_direction_iiiiii21rocsparse_index_base_PKT2_PKiS7_S2_PS3_PiS9_
		.amdhsa_group_segment_fixed_size 4100
		.amdhsa_private_segment_fixed_size 0
		.amdhsa_kernarg_size 88
		.amdhsa_user_sgpr_count 2
		.amdhsa_user_sgpr_dispatch_ptr 0
		.amdhsa_user_sgpr_queue_ptr 0
		.amdhsa_user_sgpr_kernarg_segment_ptr 1
		.amdhsa_user_sgpr_dispatch_id 0
		.amdhsa_user_sgpr_kernarg_preload_length 0
		.amdhsa_user_sgpr_kernarg_preload_offset 0
		.amdhsa_user_sgpr_private_segment_size 0
		.amdhsa_wavefront_size32 1
		.amdhsa_uses_dynamic_stack 0
		.amdhsa_enable_private_segment 0
		.amdhsa_system_sgpr_workgroup_id_x 1
		.amdhsa_system_sgpr_workgroup_id_y 0
		.amdhsa_system_sgpr_workgroup_id_z 0
		.amdhsa_system_sgpr_workgroup_info 0
		.amdhsa_system_vgpr_workitem_id 0
		.amdhsa_next_free_vgpr 33
		.amdhsa_next_free_sgpr 36
		.amdhsa_named_barrier_count 0
		.amdhsa_reserve_vcc 1
		.amdhsa_float_round_mode_32 0
		.amdhsa_float_round_mode_16_64 0
		.amdhsa_float_denorm_mode_32 3
		.amdhsa_float_denorm_mode_16_64 3
		.amdhsa_fp16_overflow 0
		.amdhsa_memory_ordered 1
		.amdhsa_forward_progress 1
		.amdhsa_inst_pref_size 17
		.amdhsa_round_robin_scheduling 0
		.amdhsa_exception_fp_ieee_invalid_op 0
		.amdhsa_exception_fp_denorm_src 0
		.amdhsa_exception_fp_ieee_div_zero 0
		.amdhsa_exception_fp_ieee_overflow 0
		.amdhsa_exception_fp_ieee_underflow 0
		.amdhsa_exception_fp_ieee_inexact 0
		.amdhsa_exception_int_div_zero 0
	.end_amdhsa_kernel
	.section	.text._ZN9rocsparseL40csr2gebsr_block_per_row_multipass_kernelILj256ELj32ELj32EfEEv20rocsparse_direction_iiiiii21rocsparse_index_base_PKT2_PKiS7_S2_PS3_PiS9_,"axG",@progbits,_ZN9rocsparseL40csr2gebsr_block_per_row_multipass_kernelILj256ELj32ELj32EfEEv20rocsparse_direction_iiiiii21rocsparse_index_base_PKT2_PKiS7_S2_PS3_PiS9_,comdat
.Lfunc_end62:
	.size	_ZN9rocsparseL40csr2gebsr_block_per_row_multipass_kernelILj256ELj32ELj32EfEEv20rocsparse_direction_iiiiii21rocsparse_index_base_PKT2_PKiS7_S2_PS3_PiS9_, .Lfunc_end62-_ZN9rocsparseL40csr2gebsr_block_per_row_multipass_kernelILj256ELj32ELj32EfEEv20rocsparse_direction_iiiiii21rocsparse_index_base_PKT2_PKiS7_S2_PS3_PiS9_
                                        ; -- End function
	.set _ZN9rocsparseL40csr2gebsr_block_per_row_multipass_kernelILj256ELj32ELj32EfEEv20rocsparse_direction_iiiiii21rocsparse_index_base_PKT2_PKiS7_S2_PS3_PiS9_.num_vgpr, 33
	.set _ZN9rocsparseL40csr2gebsr_block_per_row_multipass_kernelILj256ELj32ELj32EfEEv20rocsparse_direction_iiiiii21rocsparse_index_base_PKT2_PKiS7_S2_PS3_PiS9_.num_agpr, 0
	.set _ZN9rocsparseL40csr2gebsr_block_per_row_multipass_kernelILj256ELj32ELj32EfEEv20rocsparse_direction_iiiiii21rocsparse_index_base_PKT2_PKiS7_S2_PS3_PiS9_.numbered_sgpr, 36
	.set _ZN9rocsparseL40csr2gebsr_block_per_row_multipass_kernelILj256ELj32ELj32EfEEv20rocsparse_direction_iiiiii21rocsparse_index_base_PKT2_PKiS7_S2_PS3_PiS9_.num_named_barrier, 0
	.set _ZN9rocsparseL40csr2gebsr_block_per_row_multipass_kernelILj256ELj32ELj32EfEEv20rocsparse_direction_iiiiii21rocsparse_index_base_PKT2_PKiS7_S2_PS3_PiS9_.private_seg_size, 0
	.set _ZN9rocsparseL40csr2gebsr_block_per_row_multipass_kernelILj256ELj32ELj32EfEEv20rocsparse_direction_iiiiii21rocsparse_index_base_PKT2_PKiS7_S2_PS3_PiS9_.uses_vcc, 1
	.set _ZN9rocsparseL40csr2gebsr_block_per_row_multipass_kernelILj256ELj32ELj32EfEEv20rocsparse_direction_iiiiii21rocsparse_index_base_PKT2_PKiS7_S2_PS3_PiS9_.uses_flat_scratch, 0
	.set _ZN9rocsparseL40csr2gebsr_block_per_row_multipass_kernelILj256ELj32ELj32EfEEv20rocsparse_direction_iiiiii21rocsparse_index_base_PKT2_PKiS7_S2_PS3_PiS9_.has_dyn_sized_stack, 0
	.set _ZN9rocsparseL40csr2gebsr_block_per_row_multipass_kernelILj256ELj32ELj32EfEEv20rocsparse_direction_iiiiii21rocsparse_index_base_PKT2_PKiS7_S2_PS3_PiS9_.has_recursion, 0
	.set _ZN9rocsparseL40csr2gebsr_block_per_row_multipass_kernelILj256ELj32ELj32EfEEv20rocsparse_direction_iiiiii21rocsparse_index_base_PKT2_PKiS7_S2_PS3_PiS9_.has_indirect_call, 0
	.section	.AMDGPU.csdata,"",@progbits
; Kernel info:
; codeLenInByte = 2080
; TotalNumSgprs: 38
; NumVgprs: 33
; ScratchSize: 0
; MemoryBound: 0
; FloatMode: 240
; IeeeMode: 1
; LDSByteSize: 4100 bytes/workgroup (compile time only)
; SGPRBlocks: 0
; VGPRBlocks: 2
; NumSGPRsForWavesPerEU: 38
; NumVGPRsForWavesPerEU: 33
; NamedBarCnt: 0
; Occupancy: 16
; WaveLimiterHint : 0
; COMPUTE_PGM_RSRC2:SCRATCH_EN: 0
; COMPUTE_PGM_RSRC2:USER_SGPR: 2
; COMPUTE_PGM_RSRC2:TRAP_HANDLER: 0
; COMPUTE_PGM_RSRC2:TGID_X_EN: 1
; COMPUTE_PGM_RSRC2:TGID_Y_EN: 0
; COMPUTE_PGM_RSRC2:TGID_Z_EN: 0
; COMPUTE_PGM_RSRC2:TIDIG_COMP_CNT: 0
	.section	.text._ZN9rocsparseL40csr2gebsr_block_per_row_multipass_kernelILj256ELj32ELj64EfEEv20rocsparse_direction_iiiiii21rocsparse_index_base_PKT2_PKiS7_S2_PS3_PiS9_,"axG",@progbits,_ZN9rocsparseL40csr2gebsr_block_per_row_multipass_kernelILj256ELj32ELj64EfEEv20rocsparse_direction_iiiiii21rocsparse_index_base_PKT2_PKiS7_S2_PS3_PiS9_,comdat
	.globl	_ZN9rocsparseL40csr2gebsr_block_per_row_multipass_kernelILj256ELj32ELj64EfEEv20rocsparse_direction_iiiiii21rocsparse_index_base_PKT2_PKiS7_S2_PS3_PiS9_ ; -- Begin function _ZN9rocsparseL40csr2gebsr_block_per_row_multipass_kernelILj256ELj32ELj64EfEEv20rocsparse_direction_iiiiii21rocsparse_index_base_PKT2_PKiS7_S2_PS3_PiS9_
	.p2align	8
	.type	_ZN9rocsparseL40csr2gebsr_block_per_row_multipass_kernelILj256ELj32ELj64EfEEv20rocsparse_direction_iiiiii21rocsparse_index_base_PKT2_PKiS7_S2_PS3_PiS9_,@function
_ZN9rocsparseL40csr2gebsr_block_per_row_multipass_kernelILj256ELj32ELj64EfEEv20rocsparse_direction_iiiiii21rocsparse_index_base_PKT2_PKiS7_S2_PS3_PiS9_: ; @_ZN9rocsparseL40csr2gebsr_block_per_row_multipass_kernelILj256ELj32ELj64EfEEv20rocsparse_direction_iiiiii21rocsparse_index_base_PKT2_PKiS7_S2_PS3_PiS9_
; %bb.0:
	s_clause 0x1
	s_load_b128 s[12:15], s[0:1], 0x10
	s_load_b64 s[28:29], s[0:1], 0x0
	s_bfe_u32 s2, ttmp6, 0x4000c
	s_and_b32 s3, ttmp6, 15
	s_add_co_i32 s2, s2, 1
	s_getreg_b32 s4, hwreg(HW_REG_IB_STS2, 6, 4)
	s_mul_i32 s2, ttmp9, s2
	v_dual_mov_b32 v26, 0 :: v_dual_lshrrev_b32 v1, 3, v0
	s_add_co_i32 s3, s3, s2
	s_cmp_eq_u32 s4, 0
	s_load_b64 s[6:7], s[0:1], 0x28
	s_cselect_b32 s4, ttmp9, s3
	v_mov_b32_e32 v34, 0
	s_wait_kmcnt 0x0
	v_mad_u32 v2, s13, s4, v1
	v_cmp_gt_i32_e32 vcc_lo, s13, v1
	s_delay_alu instid0(VALU_DEP_2) | instskip(SKIP_1) | instid1(SALU_CYCLE_1)
	v_cmp_gt_i32_e64 s2, s29, v2
	s_and_b32 s2, vcc_lo, s2
	s_and_saveexec_b32 s3, s2
	s_cbranch_execnz .LBB63_3
; %bb.1:
	s_or_b32 exec_lo, exec_lo, s3
	s_and_saveexec_b32 s3, s2
	s_cbranch_execnz .LBB63_4
.LBB63_2:
	s_or_b32 exec_lo, exec_lo, s3
	s_cmp_lt_i32 s12, 1
	s_cbranch_scc0 .LBB63_5
	s_branch .LBB63_73
.LBB63_3:
	global_load_b32 v3, v2, s[6:7] scale_offset
	s_wait_loadcnt 0x0
	v_subrev_nc_u32_e32 v34, s15, v3
	s_or_b32 exec_lo, exec_lo, s3
	s_and_saveexec_b32 s3, s2
	s_cbranch_execz .LBB63_2
.LBB63_4:
	global_load_b32 v2, v2, s[6:7] offset:4 scale_offset
	s_wait_loadcnt 0x0
	v_subrev_nc_u32_e32 v26, s15, v2
	s_or_b32 exec_lo, exec_lo, s3
	s_cmp_lt_i32 s12, 1
	s_cbranch_scc1 .LBB63_73
.LBB63_5:
	s_clause 0x3
	s_load_b128 s[8:11], s[0:1], 0x40
	s_load_b64 s[20:21], s[0:1], 0x50
	s_load_b96 s[16:18], s[0:1], 0x30
	s_load_b64 s[22:23], s[0:1], 0x20
	v_mbcnt_lo_u32_b32 v5, -1, 0
	s_ashr_i32 s5, s4, 31
	v_dual_lshlrev_b32 v28, 8, v1 :: v_dual_bitop2_b32 v27, 7, v0 bitop3:0x40
	s_lshl_b64 s[4:5], s[4:5], 2
	v_dual_mov_b32 v3, 0 :: v_dual_lshlrev_b32 v2, 2, v1
	v_mul_lo_u32 v4, s14, v1
	v_dual_lshlrev_b32 v29, 2, v0 :: v_dual_bitop2_b32 v1, 4, v5 bitop3:0x14
	v_dual_lshlrev_b32 v22, 2, v27 :: v_dual_bitop2_b32 v6, 2, v5 bitop3:0x14
	v_mul_lo_u32 v8, v27, s13
	v_lshl_or_b32 v30, v5, 2, 28
	s_delay_alu instid0(VALU_DEP_4)
	v_cmp_gt_i32_e64 s6, 32, v1
	s_wait_xcnt 0x0
	v_cmp_gt_u32_e64 s0, 0x80, v0
	s_wait_kmcnt 0x0
	s_add_nc_u64 s[4:5], s[10:11], s[4:5]
	v_cmp_gt_u32_e64 s1, 64, v0
	s_load_b32 s7, s[4:5], 0x0
	v_cndmask_b32_e64 v1, v5, v1, s6
	v_cmp_gt_i32_e64 s6, 32, v6
	v_xor_b32_e32 v7, 1, v5
	v_cmp_gt_u32_e64 s2, 32, v0
	v_cmp_gt_u32_e64 s3, 16, v0
	s_wait_xcnt 0x0
	v_cmp_gt_u32_e64 s4, 8, v0
	v_cndmask_b32_e64 v6, v5, v6, s6
	v_cmp_gt_i32_e64 s6, 32, v7
	v_cmp_gt_u32_e64 s5, 4, v0
	v_mov_b32_e32 v23, v3
	s_mov_b32 s25, 0
	v_dual_lshlrev_b32 v32, 2, v6 :: v_dual_cndmask_b32 v7, v5, v7, s6
	v_ashrrev_i32_e32 v5, 31, v4
	v_cmp_gt_u32_e64 s6, 2, v0
	v_lshlrev_b32_e32 v31, 2, v1
	s_mov_b32 s24, s13
	v_dual_lshlrev_b32 v33, 2, v7 :: v_dual_mov_b32 v9, v3
	s_wait_kmcnt 0x0
	s_sub_co_i32 s10, s7, s18
	s_cmp_lg_u32 s28, 0
	v_cmp_eq_u32_e64 s7, 0, v0
	v_or_b32_e32 v0, 16, v27
	v_lshl_add_u64 v[6:7], v[4:5], 2, s[8:9]
	v_add_nc_u64_e32 v[4:5], s[8:9], v[2:3]
	s_cselect_b32 s19, -1, 0
	v_cmp_gt_u32_e64 s8, s14, v27
	s_lshl_b32 s11, s13, 3
	v_or_b32_e32 v1, 8, v27
	s_mov_b32 s26, s14
	s_ashr_i32 s27, s14, 31
	v_cmp_gt_u32_e64 s9, s14, v0
	v_add_nc_u32_e32 v0, s11, v8
	s_mul_u64 s[28:29], s[26:27], s[24:25]
	s_and_b32 s26, vcc_lo, s8
	v_cmp_gt_u32_e64 s8, s14, v1
	s_delay_alu instid0(VALU_DEP_2) | instskip(SKIP_3) | instid1(VALU_DEP_2)
	v_dual_add_nc_u32 v10, s11, v0 :: v_dual_bitop2_b32 v1, 24, v27 bitop3:0x54
	s_abs_i32 s33, s14
	v_dual_mov_b32 v11, v3 :: v_dual_bitop2_b32 v2, 32, v27 bitop3:0x54
	s_and_b32 s13, vcc_lo, s8
	v_cmp_gt_u32_e64 s8, s14, v1
	s_cvt_f32_u32 s24, s33
	v_dual_add_nc_u32 v12, s11, v10 :: v_dual_bitop2_b32 v14, 40, v27 bitop3:0x54
	s_and_b32 s30, vcc_lo, s9
	s_and_b32 s31, vcc_lo, s8
	v_cmp_gt_u32_e64 s8, s14, v2
	v_rcp_iflag_f32_e32 v2, s24
	v_mov_b32_e32 v13, v3
	v_cmp_gt_u32_e64 s9, s14, v14
	v_dual_add_nc_u32 v14, s11, v12 :: v_dual_bitop2_b32 v17, 48, v27 bitop3:0x54
	v_mov_b32_e32 v15, v3
	s_and_b32 s34, vcc_lo, s8
	s_delay_alu instid0(TRANS32_DEP_1) | instskip(NEXT) | instid1(VALU_DEP_3)
	v_readfirstlane_b32 s24, v2
	v_add_nc_u32_e32 v16, s11, v14
	v_cmp_gt_u32_e64 s8, s14, v17
	v_dual_mov_b32 v17, v3 :: v_dual_bitop2_b32 v2, 56, v27 bitop3:0x54
	s_mul_f32 s24, s24, 0x4f7ffffe
	v_dual_mov_b32 v19, v3 :: v_dual_add_nc_u32 v18, s11, v16
	v_add_nc_u64_e32 v[6:7], v[6:7], v[22:23]
	s_delay_alu instid0(SALU_CYCLE_1) | instskip(SKIP_1) | instid1(VALU_DEP_2)
	s_cvt_u32_f32 s24, s24
	s_and_b32 s35, vcc_lo, s8
	v_add_nc_u32_e32 v20, s11, v18
	s_sub_co_i32 s11, 0, s33
	v_cmp_gt_u32_e64 s8, s14, v2
	s_mul_i32 s11, s11, s24
	v_dual_mov_b32 v1, v3 :: v_dual_mov_b32 v21, v3
	v_dual_mov_b32 v36, 1 :: v_dual_add_nc_u32 v35, v22, v28
	v_mov_b32_e32 v24, 0
	s_mul_hi_u32 s11, s24, s11
	s_and_b32 s9, vcc_lo, s9
	s_and_b32 s36, vcc_lo, s8
	s_add_co_i32 s24, s24, s11
	s_branch .LBB63_7
.LBB63_6:                               ;   in Loop: Header=BB63_7 Depth=1
	s_or_b32 exec_lo, exec_lo, s11
	s_wait_dscnt 0x0
	s_barrier_signal -1
	s_barrier_wait -1
	ds_load_b32 v24, v3
	s_add_co_i32 s10, s8, s10
	s_wait_dscnt 0x0
	s_barrier_signal -1
	s_barrier_wait -1
	v_cmp_gt_i32_e32 vcc_lo, s12, v24
	s_cbranch_vccz .LBB63_73
.LBB63_7:                               ; =>This Loop Header: Depth=1
                                        ;     Child Loop BB63_10 Depth 2
	v_dual_mov_b32 v37, s12 :: v_dual_add_nc_u32 v22, v34, v27
	v_mov_b32_e32 v23, v26
	s_mov_b32 s11, exec_lo
	ds_store_b8 v3, v3 offset:8192
	ds_store_2addr_b32 v35, v3, v3 offset1:8
	ds_store_2addr_b32 v35, v3, v3 offset0:16 offset1:24
	ds_store_2addr_b32 v35, v3, v3 offset0:32 offset1:40
	ds_store_2addr_b32 v35, v3, v3 offset0:48 offset1:56
	s_wait_dscnt 0x0
	s_barrier_signal -1
	s_barrier_wait -1
	v_cmpx_lt_i32_e64 v22, v26
	s_cbranch_execz .LBB63_15
; %bb.8:                                ;   in Loop: Header=BB63_7 Depth=1
	v_mul_lo_u32 v25, v24, s14
	v_dual_mov_b32 v37, s12 :: v_dual_mov_b32 v23, v26
	s_mov_b32 s37, 0
	s_branch .LBB63_10
.LBB63_9:                               ;   in Loop: Header=BB63_10 Depth=2
	s_wait_xcnt 0x0
	s_or_b32 exec_lo, exec_lo, s8
	v_add_nc_u32_e32 v22, 8, v22
	s_xor_b32 s38, vcc_lo, -1
	s_delay_alu instid0(VALU_DEP_1) | instskip(SKIP_1) | instid1(SALU_CYCLE_1)
	v_cmp_ge_i32_e64 s8, v22, v26
	s_or_b32 s8, s38, s8
	s_and_b32 s8, exec_lo, s8
	s_delay_alu instid0(SALU_CYCLE_1) | instskip(NEXT) | instid1(SALU_CYCLE_1)
	s_or_b32 s37, s8, s37
	s_and_not1_b32 exec_lo, exec_lo, s37
	s_cbranch_execz .LBB63_14
.LBB63_10:                              ;   Parent Loop BB63_7 Depth=1
                                        ; =>  This Inner Loop Header: Depth=2
	global_load_b32 v2, v22, s[16:17] scale_offset
	s_wait_loadcnt 0x0
	v_subrev_nc_u32_e32 v34, s15, v2
	s_delay_alu instid0(VALU_DEP_1) | instskip(NEXT) | instid1(VALU_DEP_1)
	v_sub_nc_u32_e32 v2, 0, v34
	v_max_i32_e32 v2, v34, v2
	s_delay_alu instid0(VALU_DEP_1) | instskip(NEXT) | instid1(VALU_DEP_1)
	v_mul_u64_e32 v[38:39], s[24:25], v[2:3]
	v_mul_lo_u32 v38, v39, s33
	s_delay_alu instid0(VALU_DEP_1) | instskip(NEXT) | instid1(VALU_DEP_1)
	v_dual_sub_nc_u32 v2, v2, v38 :: v_dual_add_nc_u32 v38, 1, v39
	v_cmp_le_u32_e32 vcc_lo, s33, v2
	s_delay_alu instid0(VALU_DEP_2) | instskip(SKIP_1) | instid1(VALU_DEP_1)
	v_cndmask_b32_e32 v38, v39, v38, vcc_lo
	v_subrev_nc_u32_e32 v40, s33, v2
	v_dual_cndmask_b32 v2, v2, v40 :: v_dual_ashrrev_i32 v39, 31, v34
	s_delay_alu instid0(VALU_DEP_1) | instskip(NEXT) | instid1(VALU_DEP_2)
	v_dual_add_nc_u32 v40, 1, v38 :: v_dual_bitop2_b32 v39, s27, v39 bitop3:0x14
	v_cmp_le_u32_e32 vcc_lo, s33, v2
	s_delay_alu instid0(VALU_DEP_2) | instskip(NEXT) | instid1(VALU_DEP_1)
	v_cndmask_b32_e32 v2, v38, v40, vcc_lo
	v_xor_b32_e32 v2, v2, v39
	s_delay_alu instid0(VALU_DEP_1) | instskip(NEXT) | instid1(VALU_DEP_1)
	v_dual_sub_nc_u32 v38, v2, v39 :: v_dual_mov_b32 v2, v23
	v_cmp_ne_u32_e64 s8, v38, v24
	v_cmp_eq_u32_e32 vcc_lo, v38, v24
	s_wait_xcnt 0x0
	s_and_saveexec_b32 s38, s8
	s_delay_alu instid0(SALU_CYCLE_1)
	s_xor_b32 s8, exec_lo, s38
; %bb.11:                               ;   in Loop: Header=BB63_10 Depth=2
	v_min_i32_e32 v37, v38, v37
                                        ; implicit-def: $vgpr34
                                        ; implicit-def: $vgpr2
; %bb.12:                               ;   in Loop: Header=BB63_10 Depth=2
	s_or_saveexec_b32 s8, s8
	v_mov_b32_e32 v23, v22
	s_xor_b32 exec_lo, exec_lo, s8
	s_cbranch_execz .LBB63_9
; %bb.13:                               ;   in Loop: Header=BB63_10 Depth=2
	v_ashrrev_i32_e32 v23, 31, v22
	s_delay_alu instid0(VALU_DEP_1)
	v_lshl_add_u64 v[38:39], v[22:23], 2, s[22:23]
	v_sub_nc_u32_e32 v23, v34, v25
	global_load_b32 v38, v[38:39], off
	v_lshl_add_u32 v34, v23, 2, v28
	v_mov_b32_e32 v23, v2
	ds_store_b8 v3, v36 offset:8192
	s_wait_loadcnt 0x0
	ds_store_b32 v34, v38
	s_branch .LBB63_9
.LBB63_14:                              ;   in Loop: Header=BB63_7 Depth=1
	s_or_b32 exec_lo, exec_lo, s37
.LBB63_15:                              ;   in Loop: Header=BB63_7 Depth=1
	s_delay_alu instid0(SALU_CYCLE_1)
	s_or_b32 exec_lo, exec_lo, s11
	ds_bpermute_b32 v2, v31, v23
	s_wait_dscnt 0x0
	s_barrier_signal -1
	s_barrier_wait -1
	s_mov_b32 s8, 0
	v_min_i32_e32 v2, v2, v23
	ds_load_u8 v23, v3 offset:8192
	ds_bpermute_b32 v22, v32, v2
	s_wait_dscnt 0x0
	v_min_i32_e32 v2, v22, v2
	ds_bpermute_b32 v22, v33, v2
	s_wait_dscnt 0x0
	v_min_i32_e32 v2, v22, v2
	ds_bpermute_b32 v34, v30, v2
	v_and_b32_e32 v2, 1, v23
	s_delay_alu instid0(VALU_DEP_1)
	v_cmp_eq_u32_e32 vcc_lo, 0, v2
	s_cbranch_vccnz .LBB63_49
; %bb.16:                               ;   in Loop: Header=BB63_7 Depth=1
	s_ashr_i32 s11, s10, 31
	v_dual_add_nc_u32 v2, s18, v24 :: v_dual_mov_b32 v38, s10
	s_mul_u64 s[38:39], s[28:29], s[10:11]
	s_delay_alu instid0(SALU_CYCLE_1) | instskip(NEXT) | instid1(SALU_CYCLE_1)
	s_lshl_b64 s[38:39], s[38:39], 2
	v_add_nc_u64_e32 v[24:25], s[38:39], v[4:5]
	v_add_nc_u64_e32 v[22:23], s[38:39], v[6:7]
	global_store_b32 v38, v2, s[20:21] scale_offset
	s_wait_xcnt 0x0
	s_and_saveexec_b32 s8, s26
	s_cbranch_execz .LBB63_20
; %bb.17:                               ;   in Loop: Header=BB63_7 Depth=1
	ds_load_b32 v2, v35
	s_and_b32 vcc_lo, exec_lo, s19
	s_cbranch_vccz .LBB63_65
; %bb.18:                               ;   in Loop: Header=BB63_7 Depth=1
	v_lshl_add_u64 v[38:39], v[8:9], 2, v[24:25]
	s_wait_dscnt 0x0
	global_store_b32 v[38:39], v2, off
	s_cbranch_execnz .LBB63_20
.LBB63_19:                              ;   in Loop: Header=BB63_7 Depth=1
	s_wait_dscnt 0x0
	global_store_b32 v[22:23], v2, off
.LBB63_20:                              ;   in Loop: Header=BB63_7 Depth=1
	s_wait_xcnt 0x0
	s_or_b32 exec_lo, exec_lo, s8
	s_and_saveexec_b32 s8, s13
	s_cbranch_execz .LBB63_24
; %bb.21:                               ;   in Loop: Header=BB63_7 Depth=1
	s_wait_dscnt 0x0
	ds_load_b32 v2, v35 offset:32
	s_and_not1_b32 vcc_lo, exec_lo, s19
	s_cbranch_vccnz .LBB63_66
; %bb.22:                               ;   in Loop: Header=BB63_7 Depth=1
	v_lshl_add_u64 v[38:39], v[0:1], 2, v[24:25]
	s_wait_dscnt 0x0
	global_store_b32 v[38:39], v2, off
	s_cbranch_execnz .LBB63_24
.LBB63_23:                              ;   in Loop: Header=BB63_7 Depth=1
	s_wait_dscnt 0x0
	global_store_b32 v[22:23], v2, off offset:32
.LBB63_24:                              ;   in Loop: Header=BB63_7 Depth=1
	s_wait_xcnt 0x0
	s_or_b32 exec_lo, exec_lo, s8
	s_and_saveexec_b32 s8, s30
	s_cbranch_execz .LBB63_28
; %bb.25:                               ;   in Loop: Header=BB63_7 Depth=1
	s_wait_dscnt 0x0
	ds_load_b32 v2, v35 offset:64
	s_and_not1_b32 vcc_lo, exec_lo, s19
	s_cbranch_vccnz .LBB63_67
; %bb.26:                               ;   in Loop: Header=BB63_7 Depth=1
	v_lshl_add_u64 v[38:39], v[10:11], 2, v[24:25]
	s_wait_dscnt 0x0
	global_store_b32 v[38:39], v2, off
	s_cbranch_execnz .LBB63_28
.LBB63_27:                              ;   in Loop: Header=BB63_7 Depth=1
	s_wait_dscnt 0x0
	global_store_b32 v[22:23], v2, off offset:64
.LBB63_28:                              ;   in Loop: Header=BB63_7 Depth=1
	s_wait_xcnt 0x0
	s_or_b32 exec_lo, exec_lo, s8
	s_and_saveexec_b32 s8, s31
	s_cbranch_execz .LBB63_32
; %bb.29:                               ;   in Loop: Header=BB63_7 Depth=1
	s_wait_dscnt 0x0
	ds_load_b32 v2, v35 offset:96
	s_and_not1_b32 vcc_lo, exec_lo, s19
	s_cbranch_vccnz .LBB63_68
; %bb.30:                               ;   in Loop: Header=BB63_7 Depth=1
	v_lshl_add_u64 v[38:39], v[12:13], 2, v[24:25]
	s_wait_dscnt 0x0
	global_store_b32 v[38:39], v2, off
	s_cbranch_execnz .LBB63_32
.LBB63_31:                              ;   in Loop: Header=BB63_7 Depth=1
	s_wait_dscnt 0x0
	global_store_b32 v[22:23], v2, off offset:96
.LBB63_32:                              ;   in Loop: Header=BB63_7 Depth=1
	s_wait_xcnt 0x0
	s_or_b32 exec_lo, exec_lo, s8
	s_and_saveexec_b32 s8, s34
	s_cbranch_execz .LBB63_36
; %bb.33:                               ;   in Loop: Header=BB63_7 Depth=1
	s_wait_dscnt 0x0
	ds_load_b32 v2, v35 offset:128
	s_and_not1_b32 vcc_lo, exec_lo, s19
	s_cbranch_vccnz .LBB63_69
; %bb.34:                               ;   in Loop: Header=BB63_7 Depth=1
	v_lshl_add_u64 v[38:39], v[14:15], 2, v[24:25]
	s_wait_dscnt 0x0
	global_store_b32 v[38:39], v2, off
	s_cbranch_execnz .LBB63_36
.LBB63_35:                              ;   in Loop: Header=BB63_7 Depth=1
	s_wait_dscnt 0x0
	global_store_b32 v[22:23], v2, off offset:128
.LBB63_36:                              ;   in Loop: Header=BB63_7 Depth=1
	s_wait_xcnt 0x0
	s_or_b32 exec_lo, exec_lo, s8
	s_and_saveexec_b32 s8, s9
	s_cbranch_execz .LBB63_40
; %bb.37:                               ;   in Loop: Header=BB63_7 Depth=1
	s_wait_dscnt 0x0
	ds_load_b32 v2, v35 offset:160
	s_and_not1_b32 vcc_lo, exec_lo, s19
	s_cbranch_vccnz .LBB63_70
; %bb.38:                               ;   in Loop: Header=BB63_7 Depth=1
	v_lshl_add_u64 v[38:39], v[16:17], 2, v[24:25]
	s_wait_dscnt 0x0
	global_store_b32 v[38:39], v2, off
	s_cbranch_execnz .LBB63_40
.LBB63_39:                              ;   in Loop: Header=BB63_7 Depth=1
	s_wait_dscnt 0x0
	global_store_b32 v[22:23], v2, off offset:160
.LBB63_40:                              ;   in Loop: Header=BB63_7 Depth=1
	s_wait_xcnt 0x0
	s_or_b32 exec_lo, exec_lo, s8
	s_and_saveexec_b32 s8, s35
	s_cbranch_execz .LBB63_44
; %bb.41:                               ;   in Loop: Header=BB63_7 Depth=1
	s_wait_dscnt 0x0
	ds_load_b32 v2, v35 offset:192
	s_and_not1_b32 vcc_lo, exec_lo, s19
	s_cbranch_vccnz .LBB63_71
; %bb.42:                               ;   in Loop: Header=BB63_7 Depth=1
	v_lshl_add_u64 v[38:39], v[18:19], 2, v[24:25]
	s_wait_dscnt 0x0
	global_store_b32 v[38:39], v2, off
	s_cbranch_execnz .LBB63_44
.LBB63_43:                              ;   in Loop: Header=BB63_7 Depth=1
	s_wait_dscnt 0x0
	global_store_b32 v[22:23], v2, off offset:192
.LBB63_44:                              ;   in Loop: Header=BB63_7 Depth=1
	s_wait_xcnt 0x0
	s_or_b32 exec_lo, exec_lo, s8
	s_and_saveexec_b32 s8, s36
	s_cbranch_execz .LBB63_48
; %bb.45:                               ;   in Loop: Header=BB63_7 Depth=1
	s_wait_dscnt 0x0
	ds_load_b32 v2, v35 offset:224
	s_and_not1_b32 vcc_lo, exec_lo, s19
	s_cbranch_vccnz .LBB63_72
; %bb.46:                               ;   in Loop: Header=BB63_7 Depth=1
	v_lshl_add_u64 v[24:25], v[20:21], 2, v[24:25]
	s_wait_dscnt 0x0
	global_store_b32 v[24:25], v2, off
	s_cbranch_execnz .LBB63_48
.LBB63_47:                              ;   in Loop: Header=BB63_7 Depth=1
	s_wait_dscnt 0x0
	global_store_b32 v[22:23], v2, off offset:224
.LBB63_48:                              ;   in Loop: Header=BB63_7 Depth=1
	s_wait_xcnt 0x0
	s_or_b32 exec_lo, exec_lo, s8
	s_mov_b32 s8, 1
.LBB63_49:                              ;   in Loop: Header=BB63_7 Depth=1
	s_wait_storecnt_dscnt 0x0
	s_barrier_signal -1
	s_barrier_wait -1
	ds_store_b32 v29, v37
	s_wait_dscnt 0x0
	s_barrier_signal -1
	s_barrier_wait -1
	s_and_saveexec_b32 s11, s0
	s_cbranch_execz .LBB63_51
; %bb.50:                               ;   in Loop: Header=BB63_7 Depth=1
	ds_load_2addr_stride64_b32 v[22:23], v29 offset1:2
	s_wait_dscnt 0x0
	v_min_i32_e32 v2, v23, v22
	ds_store_b32 v29, v2
.LBB63_51:                              ;   in Loop: Header=BB63_7 Depth=1
	s_or_b32 exec_lo, exec_lo, s11
	s_wait_dscnt 0x0
	s_barrier_signal -1
	s_barrier_wait -1
	s_and_saveexec_b32 s11, s1
	s_cbranch_execz .LBB63_53
; %bb.52:                               ;   in Loop: Header=BB63_7 Depth=1
	ds_load_2addr_stride64_b32 v[22:23], v29 offset1:1
	s_wait_dscnt 0x0
	v_min_i32_e32 v2, v23, v22
	ds_store_b32 v29, v2
.LBB63_53:                              ;   in Loop: Header=BB63_7 Depth=1
	s_or_b32 exec_lo, exec_lo, s11
	s_wait_dscnt 0x0
	s_barrier_signal -1
	s_barrier_wait -1
	s_and_saveexec_b32 s11, s2
	s_cbranch_execz .LBB63_55
; %bb.54:                               ;   in Loop: Header=BB63_7 Depth=1
	ds_load_2addr_b32 v[22:23], v29 offset1:32
	s_wait_dscnt 0x0
	v_min_i32_e32 v2, v23, v22
	ds_store_b32 v29, v2
.LBB63_55:                              ;   in Loop: Header=BB63_7 Depth=1
	s_or_b32 exec_lo, exec_lo, s11
	s_wait_dscnt 0x0
	s_barrier_signal -1
	s_barrier_wait -1
	s_and_saveexec_b32 s11, s3
	s_cbranch_execz .LBB63_57
; %bb.56:                               ;   in Loop: Header=BB63_7 Depth=1
	ds_load_2addr_b32 v[22:23], v29 offset1:16
	s_wait_dscnt 0x0
	v_min_i32_e32 v2, v23, v22
	ds_store_b32 v29, v2
.LBB63_57:                              ;   in Loop: Header=BB63_7 Depth=1
	;; [unrolled: 12-line block ×5, first 2 shown]
	s_or_b32 exec_lo, exec_lo, s11
	s_wait_dscnt 0x0
	s_barrier_signal -1
	s_barrier_wait -1
	s_and_saveexec_b32 s11, s7
	s_cbranch_execz .LBB63_6
; %bb.64:                               ;   in Loop: Header=BB63_7 Depth=1
	ds_load_b64 v[22:23], v3
	s_wait_dscnt 0x0
	v_min_i32_e32 v2, v23, v22
	ds_store_b32 v3, v2
	s_branch .LBB63_6
.LBB63_65:                              ;   in Loop: Header=BB63_7 Depth=1
	s_branch .LBB63_19
.LBB63_66:                              ;   in Loop: Header=BB63_7 Depth=1
	s_branch .LBB63_23
.LBB63_67:                              ;   in Loop: Header=BB63_7 Depth=1
	s_branch .LBB63_27
.LBB63_68:                              ;   in Loop: Header=BB63_7 Depth=1
	s_branch .LBB63_31
.LBB63_69:                              ;   in Loop: Header=BB63_7 Depth=1
	s_branch .LBB63_35
.LBB63_70:                              ;   in Loop: Header=BB63_7 Depth=1
	s_branch .LBB63_39
.LBB63_71:                              ;   in Loop: Header=BB63_7 Depth=1
	s_branch .LBB63_43
.LBB63_72:                              ;   in Loop: Header=BB63_7 Depth=1
	s_branch .LBB63_47
.LBB63_73:
	s_endpgm
	.section	.rodata,"a",@progbits
	.p2align	6, 0x0
	.amdhsa_kernel _ZN9rocsparseL40csr2gebsr_block_per_row_multipass_kernelILj256ELj32ELj64EfEEv20rocsparse_direction_iiiiii21rocsparse_index_base_PKT2_PKiS7_S2_PS3_PiS9_
		.amdhsa_group_segment_fixed_size 8196
		.amdhsa_private_segment_fixed_size 0
		.amdhsa_kernarg_size 88
		.amdhsa_user_sgpr_count 2
		.amdhsa_user_sgpr_dispatch_ptr 0
		.amdhsa_user_sgpr_queue_ptr 0
		.amdhsa_user_sgpr_kernarg_segment_ptr 1
		.amdhsa_user_sgpr_dispatch_id 0
		.amdhsa_user_sgpr_kernarg_preload_length 0
		.amdhsa_user_sgpr_kernarg_preload_offset 0
		.amdhsa_user_sgpr_private_segment_size 0
		.amdhsa_wavefront_size32 1
		.amdhsa_uses_dynamic_stack 0
		.amdhsa_enable_private_segment 0
		.amdhsa_system_sgpr_workgroup_id_x 1
		.amdhsa_system_sgpr_workgroup_id_y 0
		.amdhsa_system_sgpr_workgroup_id_z 0
		.amdhsa_system_sgpr_workgroup_info 0
		.amdhsa_system_vgpr_workitem_id 0
		.amdhsa_next_free_vgpr 41
		.amdhsa_next_free_sgpr 40
		.amdhsa_named_barrier_count 0
		.amdhsa_reserve_vcc 1
		.amdhsa_float_round_mode_32 0
		.amdhsa_float_round_mode_16_64 0
		.amdhsa_float_denorm_mode_32 3
		.amdhsa_float_denorm_mode_16_64 3
		.amdhsa_fp16_overflow 0
		.amdhsa_memory_ordered 1
		.amdhsa_forward_progress 1
		.amdhsa_inst_pref_size 20
		.amdhsa_round_robin_scheduling 0
		.amdhsa_exception_fp_ieee_invalid_op 0
		.amdhsa_exception_fp_denorm_src 0
		.amdhsa_exception_fp_ieee_div_zero 0
		.amdhsa_exception_fp_ieee_overflow 0
		.amdhsa_exception_fp_ieee_underflow 0
		.amdhsa_exception_fp_ieee_inexact 0
		.amdhsa_exception_int_div_zero 0
	.end_amdhsa_kernel
	.section	.text._ZN9rocsparseL40csr2gebsr_block_per_row_multipass_kernelILj256ELj32ELj64EfEEv20rocsparse_direction_iiiiii21rocsparse_index_base_PKT2_PKiS7_S2_PS3_PiS9_,"axG",@progbits,_ZN9rocsparseL40csr2gebsr_block_per_row_multipass_kernelILj256ELj32ELj64EfEEv20rocsparse_direction_iiiiii21rocsparse_index_base_PKT2_PKiS7_S2_PS3_PiS9_,comdat
.Lfunc_end63:
	.size	_ZN9rocsparseL40csr2gebsr_block_per_row_multipass_kernelILj256ELj32ELj64EfEEv20rocsparse_direction_iiiiii21rocsparse_index_base_PKT2_PKiS7_S2_PS3_PiS9_, .Lfunc_end63-_ZN9rocsparseL40csr2gebsr_block_per_row_multipass_kernelILj256ELj32ELj64EfEEv20rocsparse_direction_iiiiii21rocsparse_index_base_PKT2_PKiS7_S2_PS3_PiS9_
                                        ; -- End function
	.set _ZN9rocsparseL40csr2gebsr_block_per_row_multipass_kernelILj256ELj32ELj64EfEEv20rocsparse_direction_iiiiii21rocsparse_index_base_PKT2_PKiS7_S2_PS3_PiS9_.num_vgpr, 41
	.set _ZN9rocsparseL40csr2gebsr_block_per_row_multipass_kernelILj256ELj32ELj64EfEEv20rocsparse_direction_iiiiii21rocsparse_index_base_PKT2_PKiS7_S2_PS3_PiS9_.num_agpr, 0
	.set _ZN9rocsparseL40csr2gebsr_block_per_row_multipass_kernelILj256ELj32ELj64EfEEv20rocsparse_direction_iiiiii21rocsparse_index_base_PKT2_PKiS7_S2_PS3_PiS9_.numbered_sgpr, 40
	.set _ZN9rocsparseL40csr2gebsr_block_per_row_multipass_kernelILj256ELj32ELj64EfEEv20rocsparse_direction_iiiiii21rocsparse_index_base_PKT2_PKiS7_S2_PS3_PiS9_.num_named_barrier, 0
	.set _ZN9rocsparseL40csr2gebsr_block_per_row_multipass_kernelILj256ELj32ELj64EfEEv20rocsparse_direction_iiiiii21rocsparse_index_base_PKT2_PKiS7_S2_PS3_PiS9_.private_seg_size, 0
	.set _ZN9rocsparseL40csr2gebsr_block_per_row_multipass_kernelILj256ELj32ELj64EfEEv20rocsparse_direction_iiiiii21rocsparse_index_base_PKT2_PKiS7_S2_PS3_PiS9_.uses_vcc, 1
	.set _ZN9rocsparseL40csr2gebsr_block_per_row_multipass_kernelILj256ELj32ELj64EfEEv20rocsparse_direction_iiiiii21rocsparse_index_base_PKT2_PKiS7_S2_PS3_PiS9_.uses_flat_scratch, 0
	.set _ZN9rocsparseL40csr2gebsr_block_per_row_multipass_kernelILj256ELj32ELj64EfEEv20rocsparse_direction_iiiiii21rocsparse_index_base_PKT2_PKiS7_S2_PS3_PiS9_.has_dyn_sized_stack, 0
	.set _ZN9rocsparseL40csr2gebsr_block_per_row_multipass_kernelILj256ELj32ELj64EfEEv20rocsparse_direction_iiiiii21rocsparse_index_base_PKT2_PKiS7_S2_PS3_PiS9_.has_recursion, 0
	.set _ZN9rocsparseL40csr2gebsr_block_per_row_multipass_kernelILj256ELj32ELj64EfEEv20rocsparse_direction_iiiiii21rocsparse_index_base_PKT2_PKiS7_S2_PS3_PiS9_.has_indirect_call, 0
	.section	.AMDGPU.csdata,"",@progbits
; Kernel info:
; codeLenInByte = 2532
; TotalNumSgprs: 42
; NumVgprs: 41
; ScratchSize: 0
; MemoryBound: 0
; FloatMode: 240
; IeeeMode: 1
; LDSByteSize: 8196 bytes/workgroup (compile time only)
; SGPRBlocks: 0
; VGPRBlocks: 2
; NumSGPRsForWavesPerEU: 42
; NumVGPRsForWavesPerEU: 41
; NamedBarCnt: 0
; Occupancy: 16
; WaveLimiterHint : 0
; COMPUTE_PGM_RSRC2:SCRATCH_EN: 0
; COMPUTE_PGM_RSRC2:USER_SGPR: 2
; COMPUTE_PGM_RSRC2:TRAP_HANDLER: 0
; COMPUTE_PGM_RSRC2:TGID_X_EN: 1
; COMPUTE_PGM_RSRC2:TGID_Y_EN: 0
; COMPUTE_PGM_RSRC2:TGID_Z_EN: 0
; COMPUTE_PGM_RSRC2:TIDIG_COMP_CNT: 0
	.section	.text._ZN9rocsparseL40csr2gebsr_block_per_row_multipass_kernelILj128ELj64ELj2EfEEv20rocsparse_direction_iiiiii21rocsparse_index_base_PKT2_PKiS7_S2_PS3_PiS9_,"axG",@progbits,_ZN9rocsparseL40csr2gebsr_block_per_row_multipass_kernelILj128ELj64ELj2EfEEv20rocsparse_direction_iiiiii21rocsparse_index_base_PKT2_PKiS7_S2_PS3_PiS9_,comdat
	.globl	_ZN9rocsparseL40csr2gebsr_block_per_row_multipass_kernelILj128ELj64ELj2EfEEv20rocsparse_direction_iiiiii21rocsparse_index_base_PKT2_PKiS7_S2_PS3_PiS9_ ; -- Begin function _ZN9rocsparseL40csr2gebsr_block_per_row_multipass_kernelILj128ELj64ELj2EfEEv20rocsparse_direction_iiiiii21rocsparse_index_base_PKT2_PKiS7_S2_PS3_PiS9_
	.p2align	8
	.type	_ZN9rocsparseL40csr2gebsr_block_per_row_multipass_kernelILj128ELj64ELj2EfEEv20rocsparse_direction_iiiiii21rocsparse_index_base_PKT2_PKiS7_S2_PS3_PiS9_,@function
_ZN9rocsparseL40csr2gebsr_block_per_row_multipass_kernelILj128ELj64ELj2EfEEv20rocsparse_direction_iiiiii21rocsparse_index_base_PKT2_PKiS7_S2_PS3_PiS9_: ; @_ZN9rocsparseL40csr2gebsr_block_per_row_multipass_kernelILj128ELj64ELj2EfEEv20rocsparse_direction_iiiiii21rocsparse_index_base_PKT2_PKiS7_S2_PS3_PiS9_
; %bb.0:
	s_clause 0x1
	s_load_b128 s[8:11], s[0:1], 0x10
	s_load_b64 s[4:5], s[0:1], 0x0
	s_bfe_u32 s2, ttmp6, 0x4000c
	s_and_b32 s3, ttmp6, 15
	s_add_co_i32 s2, s2, 1
	s_getreg_b32 s6, hwreg(HW_REG_IB_STS2, 6, 4)
	s_mul_i32 s2, ttmp9, s2
	v_dual_mov_b32 v8, 0 :: v_dual_lshrrev_b32 v1, 1, v0
	s_add_co_i32 s3, s3, s2
	s_cmp_eq_u32 s6, 0
	s_load_b64 s[12:13], s[0:1], 0x28
	s_cselect_b32 s6, ttmp9, s3
	v_mov_b32_e32 v6, 0
	s_wait_kmcnt 0x0
	v_mad_u32 v2, s9, s6, v1
	v_cmp_gt_i32_e32 vcc_lo, s9, v1
	s_delay_alu instid0(VALU_DEP_2) | instskip(SKIP_1) | instid1(SALU_CYCLE_1)
	v_cmp_gt_i32_e64 s2, s5, v2
	s_and_b32 s2, vcc_lo, s2
	s_and_saveexec_b32 s3, s2
	s_cbranch_execnz .LBB64_3
; %bb.1:
	s_or_b32 exec_lo, exec_lo, s3
	s_and_saveexec_b32 s3, s2
	s_cbranch_execnz .LBB64_4
.LBB64_2:
	s_or_b32 exec_lo, exec_lo, s3
	s_cmp_lt_i32 s8, 1
	s_cbranch_scc0 .LBB64_5
	s_branch .LBB64_36
.LBB64_3:
	global_load_b32 v3, v2, s[12:13] scale_offset
	s_wait_loadcnt 0x0
	v_subrev_nc_u32_e32 v6, s11, v3
	s_or_b32 exec_lo, exec_lo, s3
	s_and_saveexec_b32 s3, s2
	s_cbranch_execz .LBB64_2
.LBB64_4:
	global_load_b32 v2, v2, s[12:13] offset:4 scale_offset
	s_wait_loadcnt 0x0
	v_subrev_nc_u32_e32 v8, s11, v2
	s_or_b32 exec_lo, exec_lo, s3
	s_cmp_lt_i32 s8, 1
	s_cbranch_scc1 .LBB64_36
.LBB64_5:
	s_load_b128 s[12:15], s[0:1], 0x40
	s_ashr_i32 s7, s6, 31
	v_dual_lshlrev_b32 v10, 2, v0 :: v_dual_bitop2_b32 v9, 1, v0 bitop3:0x40
	s_lshl_b64 s[2:3], s[6:7], 2
	s_mov_b32 s22, s9
	v_mul_lo_u32 v4, s10, v1
	s_delay_alu instid0(VALU_DEP_2)
	v_mul_lo_u32 v2, s9, v9
	v_mbcnt_lo_u32_b32 v14, -1, 0
	v_and_b32_e32 v7, 0x7e, v0
	v_mov_b32_e32 v3, 0
	v_cmp_eq_u32_e64 s6, 0, v0
	s_mov_b32 s23, 0
	s_mov_b32 s24, s10
	v_dual_mov_b32 v16, 0 :: v_dual_ashrrev_i32 v5, 31, v4
	s_wait_kmcnt 0x0
	s_add_nc_u64 s[2:3], s[14:15], s[2:3]
	s_load_b96 s[16:18], s[0:1], 0x30
	s_load_b32 s5, s[2:3], 0x0
	s_clause 0x1
	s_load_b64 s[14:15], s[0:1], 0x50
	s_load_b64 s[20:21], s[0:1], 0x20
	s_wait_xcnt 0x0
	v_cmp_gt_u32_e64 s1, s10, v9
	v_cmp_gt_u32_e64 s0, 64, v0
	;; [unrolled: 1-line block ×4, first 2 shown]
	s_and_b32 s19, vcc_lo, s1
	v_cmp_gt_u32_e64 s1, 32, v0
	s_wait_kmcnt 0x0
	s_sub_co_i32 s26, s5, s18
	s_cmp_lg_u32 s4, 0
	v_cmp_gt_u32_e64 s4, 4, v0
	s_cselect_b32 s9, -1, 0
	s_abs_i32 s30, s10
	s_ashr_i32 s25, s10, 31
	s_cvt_f32_u32 s5, s30
	s_delay_alu instid0(SALU_CYCLE_3)
	v_rcp_iflag_f32_e32 v11, s5
	v_cmp_gt_u32_e64 s5, 2, v0
	v_xor_b32_e32 v0, 1, v14
	v_lshl_add_u64 v[12:13], v[2:3], 2, s[12:13]
	v_lshlrev_b32_e32 v2, 2, v1
	v_lshl_add_u64 v[4:5], v[4:5], 2, s[12:13]
	s_sub_co_i32 s12, 0, s30
	v_readfirstlane_b32 s7, v11
	v_cmp_gt_i32_e32 vcc_lo, 32, v0
	v_lshlrev_b32_e32 v11, 2, v7
	s_mul_f32 s7, s7, 0x4f7ffffe
	v_cndmask_b32_e32 v15, v14, v0, vcc_lo
	v_add_nc_u64_e32 v[0:1], v[12:13], v[2:3]
	v_lshlrev_b32_e32 v2, 2, v9
	s_cvt_u32_f32 s7, s7
	v_lshl_or_b32 v12, v14, 2, 4
	v_dual_mov_b32 v14, 1 :: v_dual_lshlrev_b32 v13, 2, v15
	s_delay_alu instid0(VALU_DEP_3) | instskip(SKIP_1) | instid1(SALU_CYCLE_1)
	v_add_nc_u64_e32 v[4:5], v[4:5], v[2:3]
	s_mul_i32 s12, s12, s7
	s_mul_hi_u32 s27, s7, s12
	s_mul_u64 s[12:13], s[24:25], s[22:23]
	s_add_co_i32 s22, s7, s27
	s_branch .LBB64_7
.LBB64_6:                               ;   in Loop: Header=BB64_7 Depth=1
	s_or_b32 exec_lo, exec_lo, s24
	s_wait_dscnt 0x0
	s_barrier_signal -1
	s_barrier_wait -1
	ds_load_b32 v16, v3
	s_add_co_i32 s26, s7, s26
	s_wait_dscnt 0x0
	s_barrier_signal -1
	s_barrier_wait -1
	v_cmp_gt_i32_e32 vcc_lo, s8, v16
	s_cbranch_vccz .LBB64_36
.LBB64_7:                               ; =>This Loop Header: Depth=1
                                        ;     Child Loop BB64_10 Depth 2
	v_dual_mov_b32 v15, s8 :: v_dual_add_nc_u32 v6, v6, v9
	v_mov_b32_e32 v7, v8
	s_mov_b32 s24, exec_lo
	ds_store_b8 v3, v3 offset:512
	ds_store_b32 v10, v3
	s_wait_dscnt 0x0
	s_barrier_signal -1
	s_barrier_wait -1
	v_cmpx_lt_i32_e64 v6, v8
	s_cbranch_execz .LBB64_15
; %bb.8:                                ;   in Loop: Header=BB64_7 Depth=1
	v_mul_lo_u32 v17, v16, s10
	v_dual_mov_b32 v15, s8 :: v_dual_mov_b32 v7, v8
	s_mov_b32 s27, 0
	s_branch .LBB64_10
.LBB64_9:                               ;   in Loop: Header=BB64_10 Depth=2
	s_wait_xcnt 0x0
	s_or_b32 exec_lo, exec_lo, s7
	v_add_nc_u32_e32 v6, 2, v6
	s_xor_b32 s28, vcc_lo, -1
	s_delay_alu instid0(VALU_DEP_1) | instskip(SKIP_1) | instid1(SALU_CYCLE_1)
	v_cmp_ge_i32_e64 s7, v6, v8
	s_or_b32 s7, s28, s7
	s_and_b32 s7, exec_lo, s7
	s_delay_alu instid0(SALU_CYCLE_1) | instskip(NEXT) | instid1(SALU_CYCLE_1)
	s_or_b32 s27, s7, s27
	s_and_not1_b32 exec_lo, exec_lo, s27
	s_cbranch_execz .LBB64_14
.LBB64_10:                              ;   Parent Loop BB64_7 Depth=1
                                        ; =>  This Inner Loop Header: Depth=2
	global_load_b32 v2, v6, s[16:17] scale_offset
	s_wait_loadcnt 0x0
	v_subrev_nc_u32_e32 v18, s11, v2
	s_delay_alu instid0(VALU_DEP_1) | instskip(NEXT) | instid1(VALU_DEP_1)
	v_sub_nc_u32_e32 v2, 0, v18
	v_max_i32_e32 v2, v18, v2
	s_delay_alu instid0(VALU_DEP_1) | instskip(NEXT) | instid1(VALU_DEP_1)
	v_mul_u64_e32 v[20:21], s[22:23], v[2:3]
	v_mul_lo_u32 v19, v21, s30
	s_delay_alu instid0(VALU_DEP_1) | instskip(NEXT) | instid1(VALU_DEP_1)
	v_dual_sub_nc_u32 v2, v2, v19 :: v_dual_add_nc_u32 v19, 1, v21
	v_cmp_le_u32_e32 vcc_lo, s30, v2
	s_delay_alu instid0(VALU_DEP_2) | instskip(SKIP_1) | instid1(VALU_DEP_1)
	v_dual_cndmask_b32 v19, v21, v19, vcc_lo :: v_dual_ashrrev_i32 v21, 31, v18
	v_subrev_nc_u32_e32 v20, s30, v2
	v_dual_cndmask_b32 v2, v2, v20, vcc_lo :: v_dual_add_nc_u32 v20, 1, v19
	s_delay_alu instid0(VALU_DEP_1) | instskip(NEXT) | instid1(VALU_DEP_2)
	v_cmp_le_u32_e32 vcc_lo, s30, v2
	v_dual_cndmask_b32 v2, v19, v20, vcc_lo :: v_dual_bitop2_b32 v21, s25, v21 bitop3:0x14
	s_delay_alu instid0(VALU_DEP_1) | instskip(NEXT) | instid1(VALU_DEP_1)
	v_xor_b32_e32 v2, v2, v21
	v_dual_mov_b32 v2, v7 :: v_dual_sub_nc_u32 v19, v2, v21
	s_delay_alu instid0(VALU_DEP_1) | instskip(SKIP_3) | instid1(SALU_CYCLE_1)
	v_cmp_ne_u32_e64 s7, v19, v16
	v_cmp_eq_u32_e32 vcc_lo, v19, v16
	s_wait_xcnt 0x0
	s_and_saveexec_b32 s28, s7
	s_xor_b32 s7, exec_lo, s28
; %bb.11:                               ;   in Loop: Header=BB64_10 Depth=2
	v_min_i32_e32 v15, v19, v15
                                        ; implicit-def: $vgpr18
                                        ; implicit-def: $vgpr2
; %bb.12:                               ;   in Loop: Header=BB64_10 Depth=2
	s_or_saveexec_b32 s7, s7
	v_mov_b32_e32 v7, v6
	s_xor_b32 exec_lo, exec_lo, s7
	s_cbranch_execz .LBB64_9
; %bb.13:                               ;   in Loop: Header=BB64_10 Depth=2
	v_ashrrev_i32_e32 v7, 31, v6
	s_delay_alu instid0(VALU_DEP_1)
	v_lshl_add_u64 v[20:21], v[6:7], 2, s[20:21]
	v_sub_nc_u32_e32 v7, v18, v17
	global_load_b32 v19, v[20:21], off
	v_lshl_add_u32 v18, v7, 2, v11
	v_mov_b32_e32 v7, v2
	ds_store_b8 v3, v14 offset:512
	s_wait_loadcnt 0x0
	ds_store_b32 v18, v19
	s_branch .LBB64_9
.LBB64_14:                              ;   in Loop: Header=BB64_7 Depth=1
	s_or_b32 exec_lo, exec_lo, s27
.LBB64_15:                              ;   in Loop: Header=BB64_7 Depth=1
	s_delay_alu instid0(SALU_CYCLE_1)
	s_or_b32 exec_lo, exec_lo, s24
	ds_bpermute_b32 v2, v13, v7
	s_wait_dscnt 0x0
	s_barrier_signal -1
	s_barrier_wait -1
	ds_load_u8 v17, v3 offset:512
	s_mov_b32 s7, 0
	v_min_i32_e32 v2, v2, v7
	ds_bpermute_b32 v6, v12, v2
	s_wait_dscnt 0x1
	v_and_b32_e32 v2, 1, v17
	s_delay_alu instid0(VALU_DEP_1)
	v_cmp_eq_u32_e32 vcc_lo, 0, v2
	s_cbranch_vccnz .LBB64_21
; %bb.16:                               ;   in Loop: Header=BB64_7 Depth=1
	v_dual_mov_b32 v7, s26 :: v_dual_add_nc_u32 v2, s18, v16
	global_store_b32 v7, v2, s[14:15] scale_offset
	s_wait_xcnt 0x0
	s_and_saveexec_b32 s7, s19
	s_cbranch_execz .LBB64_20
; %bb.17:                               ;   in Loop: Header=BB64_7 Depth=1
	ds_load_b32 v2, v10
	s_ashr_i32 s27, s26, 31
	s_and_b32 vcc_lo, exec_lo, s9
	s_mul_u64 s[28:29], s[12:13], s[26:27]
	s_cbranch_vccz .LBB64_35
; %bb.18:                               ;   in Loop: Header=BB64_7 Depth=1
	v_lshl_add_u64 v[16:17], s[28:29], 2, v[0:1]
	s_wait_dscnt 0x0
	global_store_b32 v[16:17], v2, off
	s_cbranch_execnz .LBB64_20
.LBB64_19:                              ;   in Loop: Header=BB64_7 Depth=1
	s_wait_xcnt 0x0
	v_lshl_add_u64 v[16:17], s[28:29], 2, v[4:5]
	s_wait_dscnt 0x0
	global_store_b32 v[16:17], v2, off
.LBB64_20:                              ;   in Loop: Header=BB64_7 Depth=1
	s_wait_xcnt 0x0
	s_or_b32 exec_lo, exec_lo, s7
	s_mov_b32 s7, 1
.LBB64_21:                              ;   in Loop: Header=BB64_7 Depth=1
	s_wait_storecnt_dscnt 0x0
	s_barrier_signal -1
	s_barrier_wait -1
	ds_store_b32 v10, v15
	s_wait_dscnt 0x0
	s_barrier_signal -1
	s_barrier_wait -1
	s_and_saveexec_b32 s24, s0
	s_cbranch_execz .LBB64_23
; %bb.22:                               ;   in Loop: Header=BB64_7 Depth=1
	ds_load_2addr_stride64_b32 v[16:17], v10 offset1:1
	s_wait_dscnt 0x0
	v_min_i32_e32 v2, v17, v16
	ds_store_b32 v10, v2
.LBB64_23:                              ;   in Loop: Header=BB64_7 Depth=1
	s_or_b32 exec_lo, exec_lo, s24
	s_wait_dscnt 0x0
	s_barrier_signal -1
	s_barrier_wait -1
	s_and_saveexec_b32 s24, s1
	s_cbranch_execz .LBB64_25
; %bb.24:                               ;   in Loop: Header=BB64_7 Depth=1
	ds_load_2addr_b32 v[16:17], v10 offset1:32
	s_wait_dscnt 0x0
	v_min_i32_e32 v2, v17, v16
	ds_store_b32 v10, v2
.LBB64_25:                              ;   in Loop: Header=BB64_7 Depth=1
	s_or_b32 exec_lo, exec_lo, s24
	s_wait_dscnt 0x0
	s_barrier_signal -1
	s_barrier_wait -1
	s_and_saveexec_b32 s24, s2
	s_cbranch_execz .LBB64_27
; %bb.26:                               ;   in Loop: Header=BB64_7 Depth=1
	ds_load_2addr_b32 v[16:17], v10 offset1:16
	s_wait_dscnt 0x0
	v_min_i32_e32 v2, v17, v16
	ds_store_b32 v10, v2
.LBB64_27:                              ;   in Loop: Header=BB64_7 Depth=1
	;; [unrolled: 12-line block ×5, first 2 shown]
	s_or_b32 exec_lo, exec_lo, s24
	s_wait_dscnt 0x0
	s_barrier_signal -1
	s_barrier_wait -1
	s_and_saveexec_b32 s24, s6
	s_cbranch_execz .LBB64_6
; %bb.34:                               ;   in Loop: Header=BB64_7 Depth=1
	ds_load_b64 v[16:17], v3
	s_wait_dscnt 0x0
	v_min_i32_e32 v2, v17, v16
	ds_store_b32 v3, v2
	s_branch .LBB64_6
.LBB64_35:                              ;   in Loop: Header=BB64_7 Depth=1
	s_branch .LBB64_19
.LBB64_36:
	s_endpgm
	.section	.rodata,"a",@progbits
	.p2align	6, 0x0
	.amdhsa_kernel _ZN9rocsparseL40csr2gebsr_block_per_row_multipass_kernelILj128ELj64ELj2EfEEv20rocsparse_direction_iiiiii21rocsparse_index_base_PKT2_PKiS7_S2_PS3_PiS9_
		.amdhsa_group_segment_fixed_size 516
		.amdhsa_private_segment_fixed_size 0
		.amdhsa_kernarg_size 88
		.amdhsa_user_sgpr_count 2
		.amdhsa_user_sgpr_dispatch_ptr 0
		.amdhsa_user_sgpr_queue_ptr 0
		.amdhsa_user_sgpr_kernarg_segment_ptr 1
		.amdhsa_user_sgpr_dispatch_id 0
		.amdhsa_user_sgpr_kernarg_preload_length 0
		.amdhsa_user_sgpr_kernarg_preload_offset 0
		.amdhsa_user_sgpr_private_segment_size 0
		.amdhsa_wavefront_size32 1
		.amdhsa_uses_dynamic_stack 0
		.amdhsa_enable_private_segment 0
		.amdhsa_system_sgpr_workgroup_id_x 1
		.amdhsa_system_sgpr_workgroup_id_y 0
		.amdhsa_system_sgpr_workgroup_id_z 0
		.amdhsa_system_sgpr_workgroup_info 0
		.amdhsa_system_vgpr_workitem_id 0
		.amdhsa_next_free_vgpr 22
		.amdhsa_next_free_sgpr 31
		.amdhsa_named_barrier_count 0
		.amdhsa_reserve_vcc 1
		.amdhsa_float_round_mode_32 0
		.amdhsa_float_round_mode_16_64 0
		.amdhsa_float_denorm_mode_32 3
		.amdhsa_float_denorm_mode_16_64 3
		.amdhsa_fp16_overflow 0
		.amdhsa_memory_ordered 1
		.amdhsa_forward_progress 1
		.amdhsa_inst_pref_size 13
		.amdhsa_round_robin_scheduling 0
		.amdhsa_exception_fp_ieee_invalid_op 0
		.amdhsa_exception_fp_denorm_src 0
		.amdhsa_exception_fp_ieee_div_zero 0
		.amdhsa_exception_fp_ieee_overflow 0
		.amdhsa_exception_fp_ieee_underflow 0
		.amdhsa_exception_fp_ieee_inexact 0
		.amdhsa_exception_int_div_zero 0
	.end_amdhsa_kernel
	.section	.text._ZN9rocsparseL40csr2gebsr_block_per_row_multipass_kernelILj128ELj64ELj2EfEEv20rocsparse_direction_iiiiii21rocsparse_index_base_PKT2_PKiS7_S2_PS3_PiS9_,"axG",@progbits,_ZN9rocsparseL40csr2gebsr_block_per_row_multipass_kernelILj128ELj64ELj2EfEEv20rocsparse_direction_iiiiii21rocsparse_index_base_PKT2_PKiS7_S2_PS3_PiS9_,comdat
.Lfunc_end64:
	.size	_ZN9rocsparseL40csr2gebsr_block_per_row_multipass_kernelILj128ELj64ELj2EfEEv20rocsparse_direction_iiiiii21rocsparse_index_base_PKT2_PKiS7_S2_PS3_PiS9_, .Lfunc_end64-_ZN9rocsparseL40csr2gebsr_block_per_row_multipass_kernelILj128ELj64ELj2EfEEv20rocsparse_direction_iiiiii21rocsparse_index_base_PKT2_PKiS7_S2_PS3_PiS9_
                                        ; -- End function
	.set _ZN9rocsparseL40csr2gebsr_block_per_row_multipass_kernelILj128ELj64ELj2EfEEv20rocsparse_direction_iiiiii21rocsparse_index_base_PKT2_PKiS7_S2_PS3_PiS9_.num_vgpr, 22
	.set _ZN9rocsparseL40csr2gebsr_block_per_row_multipass_kernelILj128ELj64ELj2EfEEv20rocsparse_direction_iiiiii21rocsparse_index_base_PKT2_PKiS7_S2_PS3_PiS9_.num_agpr, 0
	.set _ZN9rocsparseL40csr2gebsr_block_per_row_multipass_kernelILj128ELj64ELj2EfEEv20rocsparse_direction_iiiiii21rocsparse_index_base_PKT2_PKiS7_S2_PS3_PiS9_.numbered_sgpr, 31
	.set _ZN9rocsparseL40csr2gebsr_block_per_row_multipass_kernelILj128ELj64ELj2EfEEv20rocsparse_direction_iiiiii21rocsparse_index_base_PKT2_PKiS7_S2_PS3_PiS9_.num_named_barrier, 0
	.set _ZN9rocsparseL40csr2gebsr_block_per_row_multipass_kernelILj128ELj64ELj2EfEEv20rocsparse_direction_iiiiii21rocsparse_index_base_PKT2_PKiS7_S2_PS3_PiS9_.private_seg_size, 0
	.set _ZN9rocsparseL40csr2gebsr_block_per_row_multipass_kernelILj128ELj64ELj2EfEEv20rocsparse_direction_iiiiii21rocsparse_index_base_PKT2_PKiS7_S2_PS3_PiS9_.uses_vcc, 1
	.set _ZN9rocsparseL40csr2gebsr_block_per_row_multipass_kernelILj128ELj64ELj2EfEEv20rocsparse_direction_iiiiii21rocsparse_index_base_PKT2_PKiS7_S2_PS3_PiS9_.uses_flat_scratch, 0
	.set _ZN9rocsparseL40csr2gebsr_block_per_row_multipass_kernelILj128ELj64ELj2EfEEv20rocsparse_direction_iiiiii21rocsparse_index_base_PKT2_PKiS7_S2_PS3_PiS9_.has_dyn_sized_stack, 0
	.set _ZN9rocsparseL40csr2gebsr_block_per_row_multipass_kernelILj128ELj64ELj2EfEEv20rocsparse_direction_iiiiii21rocsparse_index_base_PKT2_PKiS7_S2_PS3_PiS9_.has_recursion, 0
	.set _ZN9rocsparseL40csr2gebsr_block_per_row_multipass_kernelILj128ELj64ELj2EfEEv20rocsparse_direction_iiiiii21rocsparse_index_base_PKT2_PKiS7_S2_PS3_PiS9_.has_indirect_call, 0
	.section	.AMDGPU.csdata,"",@progbits
; Kernel info:
; codeLenInByte = 1556
; TotalNumSgprs: 33
; NumVgprs: 22
; ScratchSize: 0
; MemoryBound: 0
; FloatMode: 240
; IeeeMode: 1
; LDSByteSize: 516 bytes/workgroup (compile time only)
; SGPRBlocks: 0
; VGPRBlocks: 1
; NumSGPRsForWavesPerEU: 33
; NumVGPRsForWavesPerEU: 22
; NamedBarCnt: 0
; Occupancy: 16
; WaveLimiterHint : 0
; COMPUTE_PGM_RSRC2:SCRATCH_EN: 0
; COMPUTE_PGM_RSRC2:USER_SGPR: 2
; COMPUTE_PGM_RSRC2:TRAP_HANDLER: 0
; COMPUTE_PGM_RSRC2:TGID_X_EN: 1
; COMPUTE_PGM_RSRC2:TGID_Y_EN: 0
; COMPUTE_PGM_RSRC2:TGID_Z_EN: 0
; COMPUTE_PGM_RSRC2:TIDIG_COMP_CNT: 0
	.section	.text._ZN9rocsparseL40csr2gebsr_block_per_row_multipass_kernelILj256ELj64ELj4EfEEv20rocsparse_direction_iiiiii21rocsparse_index_base_PKT2_PKiS7_S2_PS3_PiS9_,"axG",@progbits,_ZN9rocsparseL40csr2gebsr_block_per_row_multipass_kernelILj256ELj64ELj4EfEEv20rocsparse_direction_iiiiii21rocsparse_index_base_PKT2_PKiS7_S2_PS3_PiS9_,comdat
	.globl	_ZN9rocsparseL40csr2gebsr_block_per_row_multipass_kernelILj256ELj64ELj4EfEEv20rocsparse_direction_iiiiii21rocsparse_index_base_PKT2_PKiS7_S2_PS3_PiS9_ ; -- Begin function _ZN9rocsparseL40csr2gebsr_block_per_row_multipass_kernelILj256ELj64ELj4EfEEv20rocsparse_direction_iiiiii21rocsparse_index_base_PKT2_PKiS7_S2_PS3_PiS9_
	.p2align	8
	.type	_ZN9rocsparseL40csr2gebsr_block_per_row_multipass_kernelILj256ELj64ELj4EfEEv20rocsparse_direction_iiiiii21rocsparse_index_base_PKT2_PKiS7_S2_PS3_PiS9_,@function
_ZN9rocsparseL40csr2gebsr_block_per_row_multipass_kernelILj256ELj64ELj4EfEEv20rocsparse_direction_iiiiii21rocsparse_index_base_PKT2_PKiS7_S2_PS3_PiS9_: ; @_ZN9rocsparseL40csr2gebsr_block_per_row_multipass_kernelILj256ELj64ELj4EfEEv20rocsparse_direction_iiiiii21rocsparse_index_base_PKT2_PKiS7_S2_PS3_PiS9_
; %bb.0:
	s_clause 0x1
	s_load_b128 s[12:15], s[0:1], 0x10
	s_load_b64 s[28:29], s[0:1], 0x0
	s_bfe_u32 s2, ttmp6, 0x4000c
	s_and_b32 s3, ttmp6, 15
	s_add_co_i32 s2, s2, 1
	s_getreg_b32 s4, hwreg(HW_REG_IB_STS2, 6, 4)
	s_mul_i32 s2, ttmp9, s2
	v_dual_mov_b32 v8, 0 :: v_dual_lshrrev_b32 v1, 2, v0
	s_add_co_i32 s3, s3, s2
	s_cmp_eq_u32 s4, 0
	s_load_b64 s[6:7], s[0:1], 0x28
	s_cselect_b32 s4, ttmp9, s3
	v_mov_b32_e32 v6, 0
	s_wait_kmcnt 0x0
	v_mad_u32 v2, s13, s4, v1
	v_cmp_gt_i32_e32 vcc_lo, s13, v1
	s_delay_alu instid0(VALU_DEP_2) | instskip(SKIP_1) | instid1(SALU_CYCLE_1)
	v_cmp_gt_i32_e64 s2, s29, v2
	s_and_b32 s2, vcc_lo, s2
	s_and_saveexec_b32 s3, s2
	s_cbranch_execnz .LBB65_3
; %bb.1:
	s_or_b32 exec_lo, exec_lo, s3
	s_and_saveexec_b32 s3, s2
	s_cbranch_execnz .LBB65_4
.LBB65_2:
	s_or_b32 exec_lo, exec_lo, s3
	s_cmp_lt_i32 s12, 1
	s_cbranch_scc0 .LBB65_5
	s_branch .LBB65_38
.LBB65_3:
	global_load_b32 v3, v2, s[6:7] scale_offset
	s_wait_loadcnt 0x0
	v_subrev_nc_u32_e32 v6, s15, v3
	s_or_b32 exec_lo, exec_lo, s3
	s_and_saveexec_b32 s3, s2
	s_cbranch_execz .LBB65_2
.LBB65_4:
	global_load_b32 v2, v2, s[6:7] offset:4 scale_offset
	s_wait_loadcnt 0x0
	v_subrev_nc_u32_e32 v8, s15, v2
	s_or_b32 exec_lo, exec_lo, s3
	s_cmp_lt_i32 s12, 1
	s_cbranch_scc1 .LBB65_38
.LBB65_5:
	s_load_b128 s[8:11], s[0:1], 0x40
	s_ashr_i32 s5, s4, 31
	v_dual_lshlrev_b32 v10, 2, v0 :: v_dual_bitop2_b32 v9, 3, v0 bitop3:0x40
	s_lshl_b64 s[2:3], s[4:5], 2
	v_mbcnt_lo_u32_b32 v7, -1, 0
	s_mov_b32 s22, s13
	s_delay_alu instid0(VALU_DEP_2)
	v_cmp_gt_u32_e64 s6, s14, v9
	v_mul_lo_u32 v2, s13, v9
	v_mul_lo_u32 v4, s14, v1
	v_and_b32_e32 v5, 0xfc, v0
	v_dual_mov_b32 v3, 0 :: v_dual_bitop2_b32 v12, 2, v7 bitop3:0x14
	s_and_b32 s19, vcc_lo, s6
	v_cmp_gt_u32_e64 s4, 8, v0
	v_cmp_gt_u32_e64 s5, 4, v0
	;; [unrolled: 1-line block ×3, first 2 shown]
	v_dual_lshlrev_b32 v11, 2, v5 :: v_dual_bitop2_b32 v14, 1, v7 bitop3:0x14
	v_cmp_gt_i32_e32 vcc_lo, 32, v12
	s_wait_kmcnt 0x0
	s_add_nc_u64 s[2:3], s[10:11], s[2:3]
	s_load_b96 s[16:18], s[0:1], 0x30
	s_load_b32 s7, s[2:3], 0x0
	s_clause 0x1
	s_load_b64 s[10:11], s[0:1], 0x50
	s_load_b64 s[20:21], s[0:1], 0x20
	s_wait_xcnt 0x0
	v_cmp_gt_u32_e64 s0, 0x80, v0
	v_cmp_gt_u32_e64 s1, 64, v0
	;; [unrolled: 1-line block ×4, first 2 shown]
	v_cndmask_b32_e32 v15, v7, v12, vcc_lo
	v_cmp_gt_i32_e32 vcc_lo, 32, v14
	v_ashrrev_i32_e32 v5, 31, v4
	v_lshl_add_u64 v[12:13], v[2:3], 2, s[8:9]
	v_dual_mov_b32 v17, 0 :: v_dual_lshlrev_b32 v2, 2, v1
	v_cndmask_b32_e32 v14, v7, v14, vcc_lo
	s_delay_alu instid0(VALU_DEP_4) | instskip(SKIP_2) | instid1(VALU_DEP_2)
	v_lshl_add_u64 v[4:5], v[4:5], 2, s[8:9]
	s_mov_b32 s23, 0
	s_mov_b32 s24, s14
	v_lshlrev_b32_e32 v14, 2, v14
	s_wait_kmcnt 0x0
	s_sub_co_i32 s26, s7, s18
	s_cmp_lg_u32 s28, 0
	v_cmp_eq_u32_e64 s7, 0, v0
	s_cselect_b32 s13, -1, 0
	s_abs_i32 s30, s14
	s_delay_alu instid0(SALU_CYCLE_1) | instskip(SKIP_1) | instid1(SALU_CYCLE_2)
	s_cvt_f32_u32 s25, s30
	s_sub_co_i32 s9, 0, s30
	v_rcp_iflag_f32_e32 v0, s25
	v_nop
	s_delay_alu instid0(TRANS32_DEP_1)
	v_readfirstlane_b32 s25, v0
	v_add_nc_u64_e32 v[0:1], v[12:13], v[2:3]
	v_dual_lshlrev_b32 v2, 2, v9 :: v_dual_lshlrev_b32 v13, 2, v15
	v_lshl_or_b32 v12, v7, 2, 12
	s_mul_f32 s8, s25, 0x4f7ffffe
	v_mov_b32_e32 v15, 1
	s_delay_alu instid0(VALU_DEP_3) | instskip(SKIP_3) | instid1(SALU_CYCLE_2)
	v_add_nc_u64_e32 v[4:5], v[4:5], v[2:3]
	s_ashr_i32 s25, s14, 31
	s_cvt_u32_f32 s8, s8
	s_mul_u64 s[28:29], s[24:25], s[22:23]
	s_mul_i32 s9, s9, s8
	s_delay_alu instid0(SALU_CYCLE_1) | instskip(NEXT) | instid1(SALU_CYCLE_1)
	s_mul_hi_u32 s9, s8, s9
	s_add_co_i32 s22, s8, s9
	s_branch .LBB65_7
.LBB65_6:                               ;   in Loop: Header=BB65_7 Depth=1
	s_or_b32 exec_lo, exec_lo, s9
	s_wait_dscnt 0x0
	s_barrier_signal -1
	s_barrier_wait -1
	ds_load_b32 v17, v3
	s_add_co_i32 s26, s8, s26
	s_wait_dscnt 0x0
	s_barrier_signal -1
	s_barrier_wait -1
	v_cmp_gt_i32_e32 vcc_lo, s12, v17
	s_cbranch_vccz .LBB65_38
.LBB65_7:                               ; =>This Loop Header: Depth=1
                                        ;     Child Loop BB65_10 Depth 2
	v_dual_add_nc_u32 v6, v6, v9 :: v_dual_mov_b32 v16, s12
	v_mov_b32_e32 v7, v8
	s_mov_b32 s9, exec_lo
	ds_store_b8 v3, v3 offset:1024
	ds_store_b32 v10, v3
	s_wait_dscnt 0x0
	s_barrier_signal -1
	s_barrier_wait -1
	v_cmpx_lt_i32_e64 v6, v8
	s_cbranch_execz .LBB65_15
; %bb.8:                                ;   in Loop: Header=BB65_7 Depth=1
	v_mul_lo_u32 v18, v17, s14
	v_dual_mov_b32 v16, s12 :: v_dual_mov_b32 v7, v8
	s_mov_b32 s24, 0
	s_branch .LBB65_10
.LBB65_9:                               ;   in Loop: Header=BB65_10 Depth=2
	s_wait_xcnt 0x0
	s_or_b32 exec_lo, exec_lo, s8
	v_add_nc_u32_e32 v6, 4, v6
	s_xor_b32 s27, vcc_lo, -1
	s_delay_alu instid0(VALU_DEP_1) | instskip(SKIP_1) | instid1(SALU_CYCLE_1)
	v_cmp_ge_i32_e64 s8, v6, v8
	s_or_b32 s8, s27, s8
	s_and_b32 s8, exec_lo, s8
	s_delay_alu instid0(SALU_CYCLE_1) | instskip(NEXT) | instid1(SALU_CYCLE_1)
	s_or_b32 s24, s8, s24
	s_and_not1_b32 exec_lo, exec_lo, s24
	s_cbranch_execz .LBB65_14
.LBB65_10:                              ;   Parent Loop BB65_7 Depth=1
                                        ; =>  This Inner Loop Header: Depth=2
	global_load_b32 v2, v6, s[16:17] scale_offset
	s_wait_loadcnt 0x0
	v_subrev_nc_u32_e32 v19, s15, v2
	s_delay_alu instid0(VALU_DEP_1) | instskip(NEXT) | instid1(VALU_DEP_1)
	v_sub_nc_u32_e32 v2, 0, v19
	v_max_i32_e32 v2, v19, v2
	s_delay_alu instid0(VALU_DEP_1) | instskip(NEXT) | instid1(VALU_DEP_1)
	v_mul_u64_e32 v[20:21], s[22:23], v[2:3]
	v_mul_lo_u32 v20, v21, s30
	s_delay_alu instid0(VALU_DEP_1) | instskip(NEXT) | instid1(VALU_DEP_1)
	v_dual_sub_nc_u32 v2, v2, v20 :: v_dual_add_nc_u32 v20, 1, v21
	v_cmp_le_u32_e32 vcc_lo, s30, v2
	s_delay_alu instid0(VALU_DEP_2) | instskip(SKIP_1) | instid1(VALU_DEP_1)
	v_dual_cndmask_b32 v20, v21, v20 :: v_dual_ashrrev_i32 v21, 31, v19
	v_subrev_nc_u32_e32 v22, s30, v2
	v_dual_cndmask_b32 v2, v2, v22, vcc_lo :: v_dual_add_nc_u32 v22, 1, v20
	s_delay_alu instid0(VALU_DEP_1) | instskip(NEXT) | instid1(VALU_DEP_2)
	v_cmp_le_u32_e32 vcc_lo, s30, v2
	v_dual_cndmask_b32 v2, v20, v22, vcc_lo :: v_dual_bitop2_b32 v21, s25, v21 bitop3:0x14
	s_delay_alu instid0(VALU_DEP_1) | instskip(NEXT) | instid1(VALU_DEP_1)
	v_xor_b32_e32 v2, v2, v21
	v_dual_sub_nc_u32 v20, v2, v21 :: v_dual_mov_b32 v2, v7
	s_delay_alu instid0(VALU_DEP_1) | instskip(SKIP_3) | instid1(SALU_CYCLE_1)
	v_cmp_ne_u32_e64 s8, v20, v17
	v_cmp_eq_u32_e32 vcc_lo, v20, v17
	s_wait_xcnt 0x0
	s_and_saveexec_b32 s27, s8
	s_xor_b32 s8, exec_lo, s27
; %bb.11:                               ;   in Loop: Header=BB65_10 Depth=2
	v_min_i32_e32 v16, v20, v16
                                        ; implicit-def: $vgpr19
                                        ; implicit-def: $vgpr2
; %bb.12:                               ;   in Loop: Header=BB65_10 Depth=2
	s_or_saveexec_b32 s8, s8
	v_mov_b32_e32 v7, v6
	s_xor_b32 exec_lo, exec_lo, s8
	s_cbranch_execz .LBB65_9
; %bb.13:                               ;   in Loop: Header=BB65_10 Depth=2
	v_ashrrev_i32_e32 v7, 31, v6
	s_delay_alu instid0(VALU_DEP_1)
	v_lshl_add_u64 v[20:21], v[6:7], 2, s[20:21]
	v_sub_nc_u32_e32 v7, v19, v18
	global_load_b32 v20, v[20:21], off
	v_lshl_add_u32 v19, v7, 2, v11
	v_mov_b32_e32 v7, v2
	ds_store_b8 v3, v15 offset:1024
	s_wait_loadcnt 0x0
	ds_store_b32 v19, v20
	s_branch .LBB65_9
.LBB65_14:                              ;   in Loop: Header=BB65_7 Depth=1
	s_or_b32 exec_lo, exec_lo, s24
.LBB65_15:                              ;   in Loop: Header=BB65_7 Depth=1
	s_delay_alu instid0(SALU_CYCLE_1)
	s_or_b32 exec_lo, exec_lo, s9
	ds_bpermute_b32 v2, v13, v7
	s_wait_dscnt 0x0
	s_barrier_signal -1
	s_barrier_wait -1
	s_mov_b32 s8, 0
	v_min_i32_e32 v2, v2, v7
	ds_load_u8 v7, v3 offset:1024
	ds_bpermute_b32 v6, v14, v2
	s_wait_dscnt 0x0
	v_min_i32_e32 v2, v6, v2
	ds_bpermute_b32 v6, v12, v2
	v_and_b32_e32 v2, 1, v7
	s_delay_alu instid0(VALU_DEP_1)
	v_cmp_eq_u32_e32 vcc_lo, 0, v2
	s_cbranch_vccnz .LBB65_21
; %bb.16:                               ;   in Loop: Header=BB65_7 Depth=1
	v_dual_mov_b32 v7, s26 :: v_dual_add_nc_u32 v2, s18, v17
	global_store_b32 v7, v2, s[10:11] scale_offset
	s_wait_xcnt 0x0
	s_and_saveexec_b32 s24, s19
	s_cbranch_execz .LBB65_20
; %bb.17:                               ;   in Loop: Header=BB65_7 Depth=1
	ds_load_b32 v2, v10
	s_ashr_i32 s27, s26, 31
	s_and_b32 vcc_lo, exec_lo, s13
	s_mul_u64 s[8:9], s[28:29], s[26:27]
	s_cbranch_vccz .LBB65_37
; %bb.18:                               ;   in Loop: Header=BB65_7 Depth=1
	v_lshl_add_u64 v[18:19], s[8:9], 2, v[0:1]
	s_wait_dscnt 0x0
	global_store_b32 v[18:19], v2, off
	s_cbranch_execnz .LBB65_20
.LBB65_19:                              ;   in Loop: Header=BB65_7 Depth=1
	s_wait_xcnt 0x0
	v_lshl_add_u64 v[18:19], s[8:9], 2, v[4:5]
	s_wait_dscnt 0x0
	global_store_b32 v[18:19], v2, off
.LBB65_20:                              ;   in Loop: Header=BB65_7 Depth=1
	s_wait_xcnt 0x0
	s_or_b32 exec_lo, exec_lo, s24
	s_mov_b32 s8, 1
.LBB65_21:                              ;   in Loop: Header=BB65_7 Depth=1
	s_wait_storecnt_dscnt 0x0
	s_barrier_signal -1
	s_barrier_wait -1
	ds_store_b32 v10, v16
	s_wait_dscnt 0x0
	s_barrier_signal -1
	s_barrier_wait -1
	s_and_saveexec_b32 s9, s0
	s_cbranch_execz .LBB65_23
; %bb.22:                               ;   in Loop: Header=BB65_7 Depth=1
	ds_load_2addr_stride64_b32 v[16:17], v10 offset1:2
	s_wait_dscnt 0x0
	v_min_i32_e32 v2, v17, v16
	ds_store_b32 v10, v2
.LBB65_23:                              ;   in Loop: Header=BB65_7 Depth=1
	s_or_b32 exec_lo, exec_lo, s9
	s_wait_dscnt 0x0
	s_barrier_signal -1
	s_barrier_wait -1
	s_and_saveexec_b32 s9, s1
	s_cbranch_execz .LBB65_25
; %bb.24:                               ;   in Loop: Header=BB65_7 Depth=1
	ds_load_2addr_stride64_b32 v[16:17], v10 offset1:1
	s_wait_dscnt 0x0
	v_min_i32_e32 v2, v17, v16
	ds_store_b32 v10, v2
.LBB65_25:                              ;   in Loop: Header=BB65_7 Depth=1
	s_or_b32 exec_lo, exec_lo, s9
	s_wait_dscnt 0x0
	s_barrier_signal -1
	s_barrier_wait -1
	s_and_saveexec_b32 s9, s2
	s_cbranch_execz .LBB65_27
; %bb.26:                               ;   in Loop: Header=BB65_7 Depth=1
	ds_load_2addr_b32 v[16:17], v10 offset1:32
	s_wait_dscnt 0x0
	v_min_i32_e32 v2, v17, v16
	ds_store_b32 v10, v2
.LBB65_27:                              ;   in Loop: Header=BB65_7 Depth=1
	s_or_b32 exec_lo, exec_lo, s9
	s_wait_dscnt 0x0
	s_barrier_signal -1
	s_barrier_wait -1
	s_and_saveexec_b32 s9, s3
	s_cbranch_execz .LBB65_29
; %bb.28:                               ;   in Loop: Header=BB65_7 Depth=1
	ds_load_2addr_b32 v[16:17], v10 offset1:16
	s_wait_dscnt 0x0
	v_min_i32_e32 v2, v17, v16
	ds_store_b32 v10, v2
.LBB65_29:                              ;   in Loop: Header=BB65_7 Depth=1
	;; [unrolled: 12-line block ×5, first 2 shown]
	s_or_b32 exec_lo, exec_lo, s9
	s_wait_dscnt 0x0
	s_barrier_signal -1
	s_barrier_wait -1
	s_and_saveexec_b32 s9, s7
	s_cbranch_execz .LBB65_6
; %bb.36:                               ;   in Loop: Header=BB65_7 Depth=1
	ds_load_b64 v[16:17], v3
	s_wait_dscnt 0x0
	v_min_i32_e32 v2, v17, v16
	ds_store_b32 v3, v2
	s_branch .LBB65_6
.LBB65_37:                              ;   in Loop: Header=BB65_7 Depth=1
	s_branch .LBB65_19
.LBB65_38:
	s_endpgm
	.section	.rodata,"a",@progbits
	.p2align	6, 0x0
	.amdhsa_kernel _ZN9rocsparseL40csr2gebsr_block_per_row_multipass_kernelILj256ELj64ELj4EfEEv20rocsparse_direction_iiiiii21rocsparse_index_base_PKT2_PKiS7_S2_PS3_PiS9_
		.amdhsa_group_segment_fixed_size 1028
		.amdhsa_private_segment_fixed_size 0
		.amdhsa_kernarg_size 88
		.amdhsa_user_sgpr_count 2
		.amdhsa_user_sgpr_dispatch_ptr 0
		.amdhsa_user_sgpr_queue_ptr 0
		.amdhsa_user_sgpr_kernarg_segment_ptr 1
		.amdhsa_user_sgpr_dispatch_id 0
		.amdhsa_user_sgpr_kernarg_preload_length 0
		.amdhsa_user_sgpr_kernarg_preload_offset 0
		.amdhsa_user_sgpr_private_segment_size 0
		.amdhsa_wavefront_size32 1
		.amdhsa_uses_dynamic_stack 0
		.amdhsa_enable_private_segment 0
		.amdhsa_system_sgpr_workgroup_id_x 1
		.amdhsa_system_sgpr_workgroup_id_y 0
		.amdhsa_system_sgpr_workgroup_id_z 0
		.amdhsa_system_sgpr_workgroup_info 0
		.amdhsa_system_vgpr_workitem_id 0
		.amdhsa_next_free_vgpr 23
		.amdhsa_next_free_sgpr 31
		.amdhsa_named_barrier_count 0
		.amdhsa_reserve_vcc 1
		.amdhsa_float_round_mode_32 0
		.amdhsa_float_round_mode_16_64 0
		.amdhsa_float_denorm_mode_32 3
		.amdhsa_float_denorm_mode_16_64 3
		.amdhsa_fp16_overflow 0
		.amdhsa_memory_ordered 1
		.amdhsa_forward_progress 1
		.amdhsa_inst_pref_size 14
		.amdhsa_round_robin_scheduling 0
		.amdhsa_exception_fp_ieee_invalid_op 0
		.amdhsa_exception_fp_denorm_src 0
		.amdhsa_exception_fp_ieee_div_zero 0
		.amdhsa_exception_fp_ieee_overflow 0
		.amdhsa_exception_fp_ieee_underflow 0
		.amdhsa_exception_fp_ieee_inexact 0
		.amdhsa_exception_int_div_zero 0
	.end_amdhsa_kernel
	.section	.text._ZN9rocsparseL40csr2gebsr_block_per_row_multipass_kernelILj256ELj64ELj4EfEEv20rocsparse_direction_iiiiii21rocsparse_index_base_PKT2_PKiS7_S2_PS3_PiS9_,"axG",@progbits,_ZN9rocsparseL40csr2gebsr_block_per_row_multipass_kernelILj256ELj64ELj4EfEEv20rocsparse_direction_iiiiii21rocsparse_index_base_PKT2_PKiS7_S2_PS3_PiS9_,comdat
.Lfunc_end65:
	.size	_ZN9rocsparseL40csr2gebsr_block_per_row_multipass_kernelILj256ELj64ELj4EfEEv20rocsparse_direction_iiiiii21rocsparse_index_base_PKT2_PKiS7_S2_PS3_PiS9_, .Lfunc_end65-_ZN9rocsparseL40csr2gebsr_block_per_row_multipass_kernelILj256ELj64ELj4EfEEv20rocsparse_direction_iiiiii21rocsparse_index_base_PKT2_PKiS7_S2_PS3_PiS9_
                                        ; -- End function
	.set _ZN9rocsparseL40csr2gebsr_block_per_row_multipass_kernelILj256ELj64ELj4EfEEv20rocsparse_direction_iiiiii21rocsparse_index_base_PKT2_PKiS7_S2_PS3_PiS9_.num_vgpr, 23
	.set _ZN9rocsparseL40csr2gebsr_block_per_row_multipass_kernelILj256ELj64ELj4EfEEv20rocsparse_direction_iiiiii21rocsparse_index_base_PKT2_PKiS7_S2_PS3_PiS9_.num_agpr, 0
	.set _ZN9rocsparseL40csr2gebsr_block_per_row_multipass_kernelILj256ELj64ELj4EfEEv20rocsparse_direction_iiiiii21rocsparse_index_base_PKT2_PKiS7_S2_PS3_PiS9_.numbered_sgpr, 31
	.set _ZN9rocsparseL40csr2gebsr_block_per_row_multipass_kernelILj256ELj64ELj4EfEEv20rocsparse_direction_iiiiii21rocsparse_index_base_PKT2_PKiS7_S2_PS3_PiS9_.num_named_barrier, 0
	.set _ZN9rocsparseL40csr2gebsr_block_per_row_multipass_kernelILj256ELj64ELj4EfEEv20rocsparse_direction_iiiiii21rocsparse_index_base_PKT2_PKiS7_S2_PS3_PiS9_.private_seg_size, 0
	.set _ZN9rocsparseL40csr2gebsr_block_per_row_multipass_kernelILj256ELj64ELj4EfEEv20rocsparse_direction_iiiiii21rocsparse_index_base_PKT2_PKiS7_S2_PS3_PiS9_.uses_vcc, 1
	.set _ZN9rocsparseL40csr2gebsr_block_per_row_multipass_kernelILj256ELj64ELj4EfEEv20rocsparse_direction_iiiiii21rocsparse_index_base_PKT2_PKiS7_S2_PS3_PiS9_.uses_flat_scratch, 0
	.set _ZN9rocsparseL40csr2gebsr_block_per_row_multipass_kernelILj256ELj64ELj4EfEEv20rocsparse_direction_iiiiii21rocsparse_index_base_PKT2_PKiS7_S2_PS3_PiS9_.has_dyn_sized_stack, 0
	.set _ZN9rocsparseL40csr2gebsr_block_per_row_multipass_kernelILj256ELj64ELj4EfEEv20rocsparse_direction_iiiiii21rocsparse_index_base_PKT2_PKiS7_S2_PS3_PiS9_.has_recursion, 0
	.set _ZN9rocsparseL40csr2gebsr_block_per_row_multipass_kernelILj256ELj64ELj4EfEEv20rocsparse_direction_iiiiii21rocsparse_index_base_PKT2_PKiS7_S2_PS3_PiS9_.has_indirect_call, 0
	.section	.AMDGPU.csdata,"",@progbits
; Kernel info:
; codeLenInByte = 1672
; TotalNumSgprs: 33
; NumVgprs: 23
; ScratchSize: 0
; MemoryBound: 0
; FloatMode: 240
; IeeeMode: 1
; LDSByteSize: 1028 bytes/workgroup (compile time only)
; SGPRBlocks: 0
; VGPRBlocks: 1
; NumSGPRsForWavesPerEU: 33
; NumVGPRsForWavesPerEU: 23
; NamedBarCnt: 0
; Occupancy: 16
; WaveLimiterHint : 0
; COMPUTE_PGM_RSRC2:SCRATCH_EN: 0
; COMPUTE_PGM_RSRC2:USER_SGPR: 2
; COMPUTE_PGM_RSRC2:TRAP_HANDLER: 0
; COMPUTE_PGM_RSRC2:TGID_X_EN: 1
; COMPUTE_PGM_RSRC2:TGID_Y_EN: 0
; COMPUTE_PGM_RSRC2:TGID_Z_EN: 0
; COMPUTE_PGM_RSRC2:TIDIG_COMP_CNT: 0
	.section	.text._ZN9rocsparseL40csr2gebsr_block_per_row_multipass_kernelILj256ELj64ELj8EfEEv20rocsparse_direction_iiiiii21rocsparse_index_base_PKT2_PKiS7_S2_PS3_PiS9_,"axG",@progbits,_ZN9rocsparseL40csr2gebsr_block_per_row_multipass_kernelILj256ELj64ELj8EfEEv20rocsparse_direction_iiiiii21rocsparse_index_base_PKT2_PKiS7_S2_PS3_PiS9_,comdat
	.globl	_ZN9rocsparseL40csr2gebsr_block_per_row_multipass_kernelILj256ELj64ELj8EfEEv20rocsparse_direction_iiiiii21rocsparse_index_base_PKT2_PKiS7_S2_PS3_PiS9_ ; -- Begin function _ZN9rocsparseL40csr2gebsr_block_per_row_multipass_kernelILj256ELj64ELj8EfEEv20rocsparse_direction_iiiiii21rocsparse_index_base_PKT2_PKiS7_S2_PS3_PiS9_
	.p2align	8
	.type	_ZN9rocsparseL40csr2gebsr_block_per_row_multipass_kernelILj256ELj64ELj8EfEEv20rocsparse_direction_iiiiii21rocsparse_index_base_PKT2_PKiS7_S2_PS3_PiS9_,@function
_ZN9rocsparseL40csr2gebsr_block_per_row_multipass_kernelILj256ELj64ELj8EfEEv20rocsparse_direction_iiiiii21rocsparse_index_base_PKT2_PKiS7_S2_PS3_PiS9_: ; @_ZN9rocsparseL40csr2gebsr_block_per_row_multipass_kernelILj256ELj64ELj8EfEEv20rocsparse_direction_iiiiii21rocsparse_index_base_PKT2_PKiS7_S2_PS3_PiS9_
; %bb.0:
	s_clause 0x1
	s_load_b128 s[12:15], s[0:1], 0x10
	s_load_b64 s[8:9], s[0:1], 0x0
	s_bfe_u32 s2, ttmp6, 0x4000c
	s_and_b32 s3, ttmp6, 15
	s_add_co_i32 s2, s2, 1
	s_getreg_b32 s4, hwreg(HW_REG_IB_STS2, 6, 4)
	s_mul_i32 s2, ttmp9, s2
	v_dual_mov_b32 v14, 0 :: v_dual_lshrrev_b32 v1, 2, v0
	s_add_co_i32 s3, s3, s2
	s_cmp_eq_u32 s4, 0
	s_load_b64 s[6:7], s[0:1], 0x28
	s_cselect_b32 s4, ttmp9, s3
	v_mov_b32_e32 v23, 0
	s_wait_kmcnt 0x0
	v_mad_u32 v2, s13, s4, v1
	v_cmp_gt_i32_e32 vcc_lo, s13, v1
	s_delay_alu instid0(VALU_DEP_2) | instskip(SKIP_1) | instid1(SALU_CYCLE_1)
	v_cmp_gt_i32_e64 s2, s9, v2
	s_and_b32 s2, vcc_lo, s2
	s_and_saveexec_b32 s3, s2
	s_cbranch_execnz .LBB66_3
; %bb.1:
	s_or_b32 exec_lo, exec_lo, s3
	s_and_saveexec_b32 s3, s2
	s_cbranch_execnz .LBB66_4
.LBB66_2:
	s_or_b32 exec_lo, exec_lo, s3
	s_cmp_lt_i32 s12, 1
	s_cbranch_scc0 .LBB66_5
	s_branch .LBB66_43
.LBB66_3:
	global_load_b32 v3, v2, s[6:7] scale_offset
	s_wait_loadcnt 0x0
	v_subrev_nc_u32_e32 v23, s15, v3
	s_or_b32 exec_lo, exec_lo, s3
	s_and_saveexec_b32 s3, s2
	s_cbranch_execz .LBB66_2
.LBB66_4:
	global_load_b32 v2, v2, s[6:7] offset:4 scale_offset
	s_wait_loadcnt 0x0
	v_subrev_nc_u32_e32 v14, s15, v2
	s_or_b32 exec_lo, exec_lo, s3
	s_cmp_lt_i32 s12, 1
	s_cbranch_scc1 .LBB66_43
.LBB66_5:
	s_clause 0x3
	s_load_b128 s[16:19], s[0:1], 0x40
	s_load_b64 s[10:11], s[0:1], 0x50
	s_load_b96 s[20:22], s[0:1], 0x30
	s_load_b64 s[24:25], s[0:1], 0x20
	s_ashr_i32 s5, s4, 31
	v_dual_lshlrev_b32 v16, 5, v1 :: v_dual_bitop2_b32 v15, 3, v0 bitop3:0x40
	s_wait_xcnt 0x0
	s_lshl_b64 s[0:1], s[4:5], 2
	v_mbcnt_lo_u32_b32 v4, -1, 0
	v_dual_mov_b32 v3, 0 :: v_dual_lshlrev_b32 v2, 2, v1
	v_lshlrev_b32_e32 v8, 2, v15
	v_mul_lo_u32 v6, s14, v1
	s_delay_alu instid0(VALU_DEP_4) | instskip(NEXT) | instid1(VALU_DEP_4)
	v_xor_b32_e32 v7, 2, v4
	v_dual_mov_b32 v9, v3 :: v_dual_bitop2_b32 v10, 1, v4 bitop3:0x14
	v_dual_mov_b32 v18, 1 :: v_dual_lshlrev_b32 v17, 2, v0
	v_cmp_gt_u32_e64 s2, 32, v0
	v_cmp_gt_u32_e64 s3, 16, v0
	s_wait_kmcnt 0x0
	s_add_nc_u64 s[0:1], s[18:19], s[0:1]
	v_cmp_gt_u32_e64 s4, 8, v0
	s_load_b32 s9, s[0:1], 0x0
	s_wait_xcnt 0x0
	v_cmp_gt_u32_e64 s0, 0x80, v0
	v_cmp_gt_u32_e64 s1, 64, v0
	;; [unrolled: 1-line block ×4, first 2 shown]
	v_cmp_eq_u32_e64 s7, 0, v0
	v_mul_lo_u32 v0, v15, s13
	v_lshl_or_b32 v19, v4, 2, 12
	v_dual_mov_b32 v1, v3 :: v_dual_bitop2_b32 v11, 4, v15 bitop3:0x54
	s_mov_b32 s26, s13
	s_mov_b32 s27, 0
	;; [unrolled: 1-line block ×3, first 2 shown]
	v_add_nc_u32_e32 v20, v8, v16
	s_wait_kmcnt 0x0
	s_sub_co_i32 s28, s9, s22
	s_cmp_lg_u32 s8, 0
	v_cmp_gt_u32_e64 s8, s14, v15
	s_cselect_b32 s23, -1, 0
	s_abs_i32 s30, s14
	s_delay_alu instid0(SALU_CYCLE_1) | instskip(NEXT) | instid1(SALU_CYCLE_3)
	s_cvt_f32_u32 s9, s30
	v_rcp_iflag_f32_e32 v12, s9
	v_cmp_gt_i32_e64 s9, 32, v7
	s_delay_alu instid0(VALU_DEP_1) | instskip(SKIP_1) | instid1(TRANS32_DEP_1)
	v_dual_mov_b32 v5, v3 :: v_dual_cndmask_b32 v13, v4, v7, s9
	v_cmp_gt_i32_e64 s9, 32, v10
	v_readfirstlane_b32 s19, v12
	v_dual_mov_b32 v12, 0 :: v_dual_ashrrev_i32 v7, 31, v6
	s_delay_alu instid0(VALU_DEP_3) | instskip(SKIP_1) | instid1(VALU_DEP_3)
	v_dual_lshlrev_b32 v21, 2, v13 :: v_dual_cndmask_b32 v4, v4, v10, s9
	v_cmp_gt_u32_e64 s9, s14, v11
	v_lshl_add_u64 v[10:11], v[6:7], 2, s[16:17]
	v_add_nc_u64_e32 v[6:7], s[16:17], v[2:3]
	s_delay_alu instid0(VALU_DEP_4)
	v_lshlrev_b32_e32 v22, 2, v4
	v_lshl_add_u32 v4, s13, 2, v0
	s_mul_f32 s13, s19, 0x4f7ffffe
	v_add_nc_u64_e32 v[8:9], v[10:11], v[8:9]
	s_ashr_i32 s19, s14, 31
	s_and_b32 s9, vcc_lo, s9
	s_cvt_u32_f32 s29, s13
	s_and_b32 s13, vcc_lo, s8
	s_sub_co_i32 s8, 0, s30
	s_mul_u64 s[16:17], s[18:19], s[26:27]
	s_mul_i32 s8, s8, s29
	s_delay_alu instid0(SALU_CYCLE_1) | instskip(NEXT) | instid1(SALU_CYCLE_1)
	s_mul_hi_u32 s8, s29, s8
	s_add_co_i32 s26, s29, s8
	s_branch .LBB66_7
.LBB66_6:                               ;   in Loop: Header=BB66_7 Depth=1
	s_or_b32 exec_lo, exec_lo, s18
	s_wait_dscnt 0x0
	s_barrier_signal -1
	s_barrier_wait -1
	ds_load_b32 v12, v3
	s_add_co_i32 s28, s8, s28
	s_wait_dscnt 0x0
	s_barrier_signal -1
	s_barrier_wait -1
	v_cmp_gt_i32_e32 vcc_lo, s12, v12
	s_cbranch_vccz .LBB66_43
.LBB66_7:                               ; =>This Loop Header: Depth=1
                                        ;     Child Loop BB66_10 Depth 2
	v_dual_add_nc_u32 v10, v23, v15 :: v_dual_mov_b32 v24, s12
	v_mov_b32_e32 v11, v14
	s_mov_b32 s18, exec_lo
	ds_store_b8 v3, v3 offset:2048
	ds_store_2addr_b32 v20, v3, v3 offset1:4
	s_wait_dscnt 0x0
	s_barrier_signal -1
	s_barrier_wait -1
	v_cmpx_lt_i32_e64 v10, v14
	s_cbranch_execz .LBB66_15
; %bb.8:                                ;   in Loop: Header=BB66_7 Depth=1
	v_mul_lo_u32 v13, v12, s14
	v_dual_mov_b32 v24, s12 :: v_dual_mov_b32 v11, v14
	s_mov_b32 s29, 0
	s_branch .LBB66_10
.LBB66_9:                               ;   in Loop: Header=BB66_10 Depth=2
	s_wait_xcnt 0x0
	s_or_b32 exec_lo, exec_lo, s8
	v_add_nc_u32_e32 v10, 4, v10
	s_xor_b32 s31, vcc_lo, -1
	s_delay_alu instid0(VALU_DEP_1) | instskip(SKIP_1) | instid1(SALU_CYCLE_1)
	v_cmp_ge_i32_e64 s8, v10, v14
	s_or_b32 s8, s31, s8
	s_and_b32 s8, exec_lo, s8
	s_delay_alu instid0(SALU_CYCLE_1) | instskip(NEXT) | instid1(SALU_CYCLE_1)
	s_or_b32 s29, s8, s29
	s_and_not1_b32 exec_lo, exec_lo, s29
	s_cbranch_execz .LBB66_14
.LBB66_10:                              ;   Parent Loop BB66_7 Depth=1
                                        ; =>  This Inner Loop Header: Depth=2
	global_load_b32 v2, v10, s[20:21] scale_offset
	s_wait_loadcnt 0x0
	v_subrev_nc_u32_e32 v23, s15, v2
	s_delay_alu instid0(VALU_DEP_1) | instskip(NEXT) | instid1(VALU_DEP_1)
	v_sub_nc_u32_e32 v2, 0, v23
	v_max_i32_e32 v2, v23, v2
	s_delay_alu instid0(VALU_DEP_1) | instskip(NEXT) | instid1(VALU_DEP_1)
	v_mul_u64_e32 v[26:27], s[26:27], v[2:3]
	v_mul_lo_u32 v25, v27, s30
	s_delay_alu instid0(VALU_DEP_1) | instskip(NEXT) | instid1(VALU_DEP_1)
	v_dual_sub_nc_u32 v2, v2, v25 :: v_dual_add_nc_u32 v25, 1, v27
	v_cmp_le_u32_e32 vcc_lo, s30, v2
	s_delay_alu instid0(VALU_DEP_2) | instskip(SKIP_1) | instid1(VALU_DEP_1)
	v_dual_cndmask_b32 v25, v27, v25, vcc_lo :: v_dual_ashrrev_i32 v27, 31, v23
	v_subrev_nc_u32_e32 v26, s30, v2
	v_dual_cndmask_b32 v2, v2, v26, vcc_lo :: v_dual_add_nc_u32 v26, 1, v25
	s_delay_alu instid0(VALU_DEP_1) | instskip(NEXT) | instid1(VALU_DEP_2)
	v_cmp_le_u32_e32 vcc_lo, s30, v2
	v_dual_cndmask_b32 v2, v25, v26, vcc_lo :: v_dual_bitop2_b32 v27, s19, v27 bitop3:0x14
	s_delay_alu instid0(VALU_DEP_1) | instskip(NEXT) | instid1(VALU_DEP_1)
	v_xor_b32_e32 v2, v2, v27
	v_dual_mov_b32 v2, v11 :: v_dual_sub_nc_u32 v25, v2, v27
	s_delay_alu instid0(VALU_DEP_1) | instskip(SKIP_3) | instid1(SALU_CYCLE_1)
	v_cmp_ne_u32_e64 s8, v25, v12
	v_cmp_eq_u32_e32 vcc_lo, v25, v12
	s_wait_xcnt 0x0
	s_and_saveexec_b32 s31, s8
	s_xor_b32 s8, exec_lo, s31
; %bb.11:                               ;   in Loop: Header=BB66_10 Depth=2
	v_min_i32_e32 v24, v25, v24
                                        ; implicit-def: $vgpr23
                                        ; implicit-def: $vgpr2
; %bb.12:                               ;   in Loop: Header=BB66_10 Depth=2
	s_or_saveexec_b32 s8, s8
	v_mov_b32_e32 v11, v10
	s_xor_b32 exec_lo, exec_lo, s8
	s_cbranch_execz .LBB66_9
; %bb.13:                               ;   in Loop: Header=BB66_10 Depth=2
	v_ashrrev_i32_e32 v11, 31, v10
	s_delay_alu instid0(VALU_DEP_1)
	v_lshl_add_u64 v[26:27], v[10:11], 2, s[24:25]
	v_sub_nc_u32_e32 v11, v23, v13
	global_load_b32 v25, v[26:27], off
	v_lshl_add_u32 v23, v11, 2, v16
	v_mov_b32_e32 v11, v2
	ds_store_b8 v3, v18 offset:2048
	s_wait_loadcnt 0x0
	ds_store_b32 v23, v25
	s_branch .LBB66_9
.LBB66_14:                              ;   in Loop: Header=BB66_7 Depth=1
	s_or_b32 exec_lo, exec_lo, s29
.LBB66_15:                              ;   in Loop: Header=BB66_7 Depth=1
	s_delay_alu instid0(SALU_CYCLE_1)
	s_or_b32 exec_lo, exec_lo, s18
	ds_bpermute_b32 v2, v21, v11
	s_wait_dscnt 0x0
	s_barrier_signal -1
	s_barrier_wait -1
	s_mov_b32 s8, 0
	v_min_i32_e32 v2, v2, v11
	ds_load_u8 v11, v3 offset:2048
	ds_bpermute_b32 v10, v22, v2
	s_wait_dscnt 0x0
	v_min_i32_e32 v2, v10, v2
	ds_bpermute_b32 v23, v19, v2
	v_and_b32_e32 v2, 1, v11
	s_delay_alu instid0(VALU_DEP_1)
	v_cmp_eq_u32_e32 vcc_lo, 0, v2
	s_cbranch_vccnz .LBB66_25
; %bb.16:                               ;   in Loop: Header=BB66_7 Depth=1
	s_ashr_i32 s29, s28, 31
	v_dual_mov_b32 v25, s28 :: v_dual_add_nc_u32 v2, s22, v12
	s_mul_u64 s[34:35], s[16:17], s[28:29]
	s_delay_alu instid0(SALU_CYCLE_1) | instskip(NEXT) | instid1(SALU_CYCLE_1)
	s_lshl_b64 s[34:35], s[34:35], 2
	v_add_nc_u64_e32 v[12:13], s[34:35], v[6:7]
	v_add_nc_u64_e32 v[10:11], s[34:35], v[8:9]
	global_store_b32 v25, v2, s[10:11] scale_offset
	s_wait_xcnt 0x0
	s_and_saveexec_b32 s8, s13
	s_cbranch_execz .LBB66_20
; %bb.17:                               ;   in Loop: Header=BB66_7 Depth=1
	ds_load_b32 v2, v20
	s_and_b32 vcc_lo, exec_lo, s23
	s_cbranch_vccz .LBB66_41
; %bb.18:                               ;   in Loop: Header=BB66_7 Depth=1
	v_lshl_add_u64 v[26:27], v[0:1], 2, v[12:13]
	s_wait_dscnt 0x0
	global_store_b32 v[26:27], v2, off
	s_cbranch_execnz .LBB66_20
.LBB66_19:                              ;   in Loop: Header=BB66_7 Depth=1
	s_wait_dscnt 0x0
	global_store_b32 v[10:11], v2, off
.LBB66_20:                              ;   in Loop: Header=BB66_7 Depth=1
	s_wait_xcnt 0x0
	s_or_b32 exec_lo, exec_lo, s8
	s_and_saveexec_b32 s8, s9
	s_cbranch_execz .LBB66_24
; %bb.21:                               ;   in Loop: Header=BB66_7 Depth=1
	s_wait_dscnt 0x0
	ds_load_b32 v2, v20 offset:16
	s_and_not1_b32 vcc_lo, exec_lo, s23
	s_cbranch_vccnz .LBB66_42
; %bb.22:                               ;   in Loop: Header=BB66_7 Depth=1
	v_lshl_add_u64 v[12:13], v[4:5], 2, v[12:13]
	s_wait_dscnt 0x0
	global_store_b32 v[12:13], v2, off
	s_cbranch_execnz .LBB66_24
.LBB66_23:                              ;   in Loop: Header=BB66_7 Depth=1
	s_wait_dscnt 0x0
	global_store_b32 v[10:11], v2, off offset:16
.LBB66_24:                              ;   in Loop: Header=BB66_7 Depth=1
	s_wait_xcnt 0x0
	s_or_b32 exec_lo, exec_lo, s8
	s_mov_b32 s8, 1
.LBB66_25:                              ;   in Loop: Header=BB66_7 Depth=1
	s_wait_storecnt_dscnt 0x0
	s_barrier_signal -1
	s_barrier_wait -1
	ds_store_b32 v17, v24
	s_wait_dscnt 0x0
	s_barrier_signal -1
	s_barrier_wait -1
	s_and_saveexec_b32 s18, s0
	s_cbranch_execz .LBB66_27
; %bb.26:                               ;   in Loop: Header=BB66_7 Depth=1
	ds_load_2addr_stride64_b32 v[10:11], v17 offset1:2
	s_wait_dscnt 0x0
	v_min_i32_e32 v2, v11, v10
	ds_store_b32 v17, v2
.LBB66_27:                              ;   in Loop: Header=BB66_7 Depth=1
	s_or_b32 exec_lo, exec_lo, s18
	s_wait_dscnt 0x0
	s_barrier_signal -1
	s_barrier_wait -1
	s_and_saveexec_b32 s18, s1
	s_cbranch_execz .LBB66_29
; %bb.28:                               ;   in Loop: Header=BB66_7 Depth=1
	ds_load_2addr_stride64_b32 v[10:11], v17 offset1:1
	s_wait_dscnt 0x0
	v_min_i32_e32 v2, v11, v10
	ds_store_b32 v17, v2
.LBB66_29:                              ;   in Loop: Header=BB66_7 Depth=1
	s_or_b32 exec_lo, exec_lo, s18
	s_wait_dscnt 0x0
	s_barrier_signal -1
	s_barrier_wait -1
	s_and_saveexec_b32 s18, s2
	s_cbranch_execz .LBB66_31
; %bb.30:                               ;   in Loop: Header=BB66_7 Depth=1
	ds_load_2addr_b32 v[10:11], v17 offset1:32
	s_wait_dscnt 0x0
	v_min_i32_e32 v2, v11, v10
	ds_store_b32 v17, v2
.LBB66_31:                              ;   in Loop: Header=BB66_7 Depth=1
	s_or_b32 exec_lo, exec_lo, s18
	s_wait_dscnt 0x0
	s_barrier_signal -1
	s_barrier_wait -1
	s_and_saveexec_b32 s18, s3
	s_cbranch_execz .LBB66_33
; %bb.32:                               ;   in Loop: Header=BB66_7 Depth=1
	ds_load_2addr_b32 v[10:11], v17 offset1:16
	s_wait_dscnt 0x0
	v_min_i32_e32 v2, v11, v10
	ds_store_b32 v17, v2
.LBB66_33:                              ;   in Loop: Header=BB66_7 Depth=1
	;; [unrolled: 12-line block ×5, first 2 shown]
	s_or_b32 exec_lo, exec_lo, s18
	s_wait_dscnt 0x0
	s_barrier_signal -1
	s_barrier_wait -1
	s_and_saveexec_b32 s18, s7
	s_cbranch_execz .LBB66_6
; %bb.40:                               ;   in Loop: Header=BB66_7 Depth=1
	ds_load_b64 v[10:11], v3
	s_wait_dscnt 0x0
	v_min_i32_e32 v2, v11, v10
	ds_store_b32 v3, v2
	s_branch .LBB66_6
.LBB66_41:                              ;   in Loop: Header=BB66_7 Depth=1
	s_branch .LBB66_19
.LBB66_42:                              ;   in Loop: Header=BB66_7 Depth=1
	s_branch .LBB66_23
.LBB66_43:
	s_endpgm
	.section	.rodata,"a",@progbits
	.p2align	6, 0x0
	.amdhsa_kernel _ZN9rocsparseL40csr2gebsr_block_per_row_multipass_kernelILj256ELj64ELj8EfEEv20rocsparse_direction_iiiiii21rocsparse_index_base_PKT2_PKiS7_S2_PS3_PiS9_
		.amdhsa_group_segment_fixed_size 2052
		.amdhsa_private_segment_fixed_size 0
		.amdhsa_kernarg_size 88
		.amdhsa_user_sgpr_count 2
		.amdhsa_user_sgpr_dispatch_ptr 0
		.amdhsa_user_sgpr_queue_ptr 0
		.amdhsa_user_sgpr_kernarg_segment_ptr 1
		.amdhsa_user_sgpr_dispatch_id 0
		.amdhsa_user_sgpr_kernarg_preload_length 0
		.amdhsa_user_sgpr_kernarg_preload_offset 0
		.amdhsa_user_sgpr_private_segment_size 0
		.amdhsa_wavefront_size32 1
		.amdhsa_uses_dynamic_stack 0
		.amdhsa_enable_private_segment 0
		.amdhsa_system_sgpr_workgroup_id_x 1
		.amdhsa_system_sgpr_workgroup_id_y 0
		.amdhsa_system_sgpr_workgroup_id_z 0
		.amdhsa_system_sgpr_workgroup_info 0
		.amdhsa_system_vgpr_workitem_id 0
		.amdhsa_next_free_vgpr 28
		.amdhsa_next_free_sgpr 36
		.amdhsa_named_barrier_count 0
		.amdhsa_reserve_vcc 1
		.amdhsa_float_round_mode_32 0
		.amdhsa_float_round_mode_16_64 0
		.amdhsa_float_denorm_mode_32 3
		.amdhsa_float_denorm_mode_16_64 3
		.amdhsa_fp16_overflow 0
		.amdhsa_memory_ordered 1
		.amdhsa_forward_progress 1
		.amdhsa_inst_pref_size 15
		.amdhsa_round_robin_scheduling 0
		.amdhsa_exception_fp_ieee_invalid_op 0
		.amdhsa_exception_fp_denorm_src 0
		.amdhsa_exception_fp_ieee_div_zero 0
		.amdhsa_exception_fp_ieee_overflow 0
		.amdhsa_exception_fp_ieee_underflow 0
		.amdhsa_exception_fp_ieee_inexact 0
		.amdhsa_exception_int_div_zero 0
	.end_amdhsa_kernel
	.section	.text._ZN9rocsparseL40csr2gebsr_block_per_row_multipass_kernelILj256ELj64ELj8EfEEv20rocsparse_direction_iiiiii21rocsparse_index_base_PKT2_PKiS7_S2_PS3_PiS9_,"axG",@progbits,_ZN9rocsparseL40csr2gebsr_block_per_row_multipass_kernelILj256ELj64ELj8EfEEv20rocsparse_direction_iiiiii21rocsparse_index_base_PKT2_PKiS7_S2_PS3_PiS9_,comdat
.Lfunc_end66:
	.size	_ZN9rocsparseL40csr2gebsr_block_per_row_multipass_kernelILj256ELj64ELj8EfEEv20rocsparse_direction_iiiiii21rocsparse_index_base_PKT2_PKiS7_S2_PS3_PiS9_, .Lfunc_end66-_ZN9rocsparseL40csr2gebsr_block_per_row_multipass_kernelILj256ELj64ELj8EfEEv20rocsparse_direction_iiiiii21rocsparse_index_base_PKT2_PKiS7_S2_PS3_PiS9_
                                        ; -- End function
	.set _ZN9rocsparseL40csr2gebsr_block_per_row_multipass_kernelILj256ELj64ELj8EfEEv20rocsparse_direction_iiiiii21rocsparse_index_base_PKT2_PKiS7_S2_PS3_PiS9_.num_vgpr, 28
	.set _ZN9rocsparseL40csr2gebsr_block_per_row_multipass_kernelILj256ELj64ELj8EfEEv20rocsparse_direction_iiiiii21rocsparse_index_base_PKT2_PKiS7_S2_PS3_PiS9_.num_agpr, 0
	.set _ZN9rocsparseL40csr2gebsr_block_per_row_multipass_kernelILj256ELj64ELj8EfEEv20rocsparse_direction_iiiiii21rocsparse_index_base_PKT2_PKiS7_S2_PS3_PiS9_.numbered_sgpr, 36
	.set _ZN9rocsparseL40csr2gebsr_block_per_row_multipass_kernelILj256ELj64ELj8EfEEv20rocsparse_direction_iiiiii21rocsparse_index_base_PKT2_PKiS7_S2_PS3_PiS9_.num_named_barrier, 0
	.set _ZN9rocsparseL40csr2gebsr_block_per_row_multipass_kernelILj256ELj64ELj8EfEEv20rocsparse_direction_iiiiii21rocsparse_index_base_PKT2_PKiS7_S2_PS3_PiS9_.private_seg_size, 0
	.set _ZN9rocsparseL40csr2gebsr_block_per_row_multipass_kernelILj256ELj64ELj8EfEEv20rocsparse_direction_iiiiii21rocsparse_index_base_PKT2_PKiS7_S2_PS3_PiS9_.uses_vcc, 1
	.set _ZN9rocsparseL40csr2gebsr_block_per_row_multipass_kernelILj256ELj64ELj8EfEEv20rocsparse_direction_iiiiii21rocsparse_index_base_PKT2_PKiS7_S2_PS3_PiS9_.uses_flat_scratch, 0
	.set _ZN9rocsparseL40csr2gebsr_block_per_row_multipass_kernelILj256ELj64ELj8EfEEv20rocsparse_direction_iiiiii21rocsparse_index_base_PKT2_PKiS7_S2_PS3_PiS9_.has_dyn_sized_stack, 0
	.set _ZN9rocsparseL40csr2gebsr_block_per_row_multipass_kernelILj256ELj64ELj8EfEEv20rocsparse_direction_iiiiii21rocsparse_index_base_PKT2_PKiS7_S2_PS3_PiS9_.has_recursion, 0
	.set _ZN9rocsparseL40csr2gebsr_block_per_row_multipass_kernelILj256ELj64ELj8EfEEv20rocsparse_direction_iiiiii21rocsparse_index_base_PKT2_PKiS7_S2_PS3_PiS9_.has_indirect_call, 0
	.section	.AMDGPU.csdata,"",@progbits
; Kernel info:
; codeLenInByte = 1796
; TotalNumSgprs: 38
; NumVgprs: 28
; ScratchSize: 0
; MemoryBound: 0
; FloatMode: 240
; IeeeMode: 1
; LDSByteSize: 2052 bytes/workgroup (compile time only)
; SGPRBlocks: 0
; VGPRBlocks: 1
; NumSGPRsForWavesPerEU: 38
; NumVGPRsForWavesPerEU: 28
; NamedBarCnt: 0
; Occupancy: 16
; WaveLimiterHint : 0
; COMPUTE_PGM_RSRC2:SCRATCH_EN: 0
; COMPUTE_PGM_RSRC2:USER_SGPR: 2
; COMPUTE_PGM_RSRC2:TRAP_HANDLER: 0
; COMPUTE_PGM_RSRC2:TGID_X_EN: 1
; COMPUTE_PGM_RSRC2:TGID_Y_EN: 0
; COMPUTE_PGM_RSRC2:TGID_Z_EN: 0
; COMPUTE_PGM_RSRC2:TIDIG_COMP_CNT: 0
	.section	.text._ZN9rocsparseL40csr2gebsr_block_per_row_multipass_kernelILj256ELj64ELj16EfEEv20rocsparse_direction_iiiiii21rocsparse_index_base_PKT2_PKiS7_S2_PS3_PiS9_,"axG",@progbits,_ZN9rocsparseL40csr2gebsr_block_per_row_multipass_kernelILj256ELj64ELj16EfEEv20rocsparse_direction_iiiiii21rocsparse_index_base_PKT2_PKiS7_S2_PS3_PiS9_,comdat
	.globl	_ZN9rocsparseL40csr2gebsr_block_per_row_multipass_kernelILj256ELj64ELj16EfEEv20rocsparse_direction_iiiiii21rocsparse_index_base_PKT2_PKiS7_S2_PS3_PiS9_ ; -- Begin function _ZN9rocsparseL40csr2gebsr_block_per_row_multipass_kernelILj256ELj64ELj16EfEEv20rocsparse_direction_iiiiii21rocsparse_index_base_PKT2_PKiS7_S2_PS3_PiS9_
	.p2align	8
	.type	_ZN9rocsparseL40csr2gebsr_block_per_row_multipass_kernelILj256ELj64ELj16EfEEv20rocsparse_direction_iiiiii21rocsparse_index_base_PKT2_PKiS7_S2_PS3_PiS9_,@function
_ZN9rocsparseL40csr2gebsr_block_per_row_multipass_kernelILj256ELj64ELj16EfEEv20rocsparse_direction_iiiiii21rocsparse_index_base_PKT2_PKiS7_S2_PS3_PiS9_: ; @_ZN9rocsparseL40csr2gebsr_block_per_row_multipass_kernelILj256ELj64ELj16EfEEv20rocsparse_direction_iiiiii21rocsparse_index_base_PKT2_PKiS7_S2_PS3_PiS9_
; %bb.0:
	s_clause 0x1
	s_load_b128 s[12:15], s[0:1], 0x10
	s_load_b64 s[30:31], s[0:1], 0x0
	s_bfe_u32 s2, ttmp6, 0x4000c
	s_and_b32 s3, ttmp6, 15
	s_add_co_i32 s2, s2, 1
	s_getreg_b32 s4, hwreg(HW_REG_IB_STS2, 6, 4)
	s_mul_i32 s2, ttmp9, s2
	v_dual_mov_b32 v18, 0 :: v_dual_lshrrev_b32 v1, 2, v0
	s_add_co_i32 s3, s3, s2
	s_cmp_eq_u32 s4, 0
	s_load_b64 s[6:7], s[0:1], 0x28
	s_cselect_b32 s4, ttmp9, s3
	v_mov_b32_e32 v25, 0
	s_wait_kmcnt 0x0
	v_mad_u32 v2, s13, s4, v1
	v_cmp_gt_i32_e32 vcc_lo, s13, v1
	s_delay_alu instid0(VALU_DEP_2) | instskip(SKIP_1) | instid1(SALU_CYCLE_1)
	v_cmp_gt_i32_e64 s2, s31, v2
	s_and_b32 s2, vcc_lo, s2
	s_and_saveexec_b32 s3, s2
	s_cbranch_execnz .LBB67_3
; %bb.1:
	s_or_b32 exec_lo, exec_lo, s3
	s_and_saveexec_b32 s3, s2
	s_cbranch_execnz .LBB67_4
.LBB67_2:
	s_or_b32 exec_lo, exec_lo, s3
	s_cmp_lt_i32 s12, 1
	s_cbranch_scc0 .LBB67_5
	s_branch .LBB67_53
.LBB67_3:
	global_load_b32 v3, v2, s[6:7] scale_offset
	s_wait_loadcnt 0x0
	v_subrev_nc_u32_e32 v25, s15, v3
	s_or_b32 exec_lo, exec_lo, s3
	s_and_saveexec_b32 s3, s2
	s_cbranch_execz .LBB67_2
.LBB67_4:
	global_load_b32 v2, v2, s[6:7] offset:4 scale_offset
	s_wait_loadcnt 0x0
	v_subrev_nc_u32_e32 v18, s15, v2
	s_or_b32 exec_lo, exec_lo, s3
	s_cmp_lt_i32 s12, 1
	s_cbranch_scc1 .LBB67_53
.LBB67_5:
	s_clause 0x3
	s_load_b128 s[16:19], s[0:1], 0x40
	s_load_b64 s[10:11], s[0:1], 0x50
	s_load_b96 s[20:22], s[0:1], 0x30
	s_load_b64 s[24:25], s[0:1], 0x20
	s_ashr_i32 s5, s4, 31
	v_mbcnt_lo_u32_b32 v4, -1, 0
	s_lshl_b64 s[4:5], s[4:5], 2
	v_mul_lo_u32 v6, s14, v1
	v_dual_lshlrev_b32 v20, 6, v1 :: v_dual_bitop2_b32 v19, 3, v0 bitop3:0x40
	v_dual_mov_b32 v3, 0 :: v_dual_lshlrev_b32 v2, 2, v1
	v_xor_b32_e32 v1, 2, v4
	v_lshl_or_b32 v22, v4, 2, 12
	s_mov_b32 s26, s13
	v_dual_lshlrev_b32 v21, 2, v0 :: v_dual_lshlrev_b32 v14, 2, v19
	v_mov_b32_e32 v15, v3
	v_cmp_gt_i32_e64 s6, 32, v1
	v_xor_b32_e32 v5, 1, v4
	s_wait_kmcnt 0x0
	s_add_nc_u64 s[4:5], s[18:19], s[4:5]
	v_cmp_gt_u32_e64 s0, 0x80, v0
	s_load_b32 s7, s[4:5], 0x0
	v_cndmask_b32_e64 v1, v4, v1, s6
	v_cmp_gt_i32_e64 s6, 32, v5
	v_dual_ashrrev_i32 v7, 31, v6 :: v_dual_bitop2_b32 v10, 4, v19 bitop3:0x54
	v_cmp_gt_u32_e64 s1, 64, v0
	s_delay_alu instid0(VALU_DEP_4) | instskip(NEXT) | instid1(VALU_DEP_4)
	v_lshlrev_b32_e32 v23, 2, v1
	v_cndmask_b32_e64 v5, v4, v5, s6
	s_delay_alu instid0(VALU_DEP_4)
	v_lshl_add_u64 v[8:9], v[6:7], 2, s[16:17]
	v_add_nc_u64_e32 v[6:7], s[16:17], v[2:3]
	v_mul_lo_u32 v4, v19, s13
	v_cmp_gt_u32_e64 s2, 32, v0
	v_cmp_gt_u32_e64 s3, 16, v0
	s_wait_xcnt 0x0
	v_cmp_gt_u32_e64 s4, 8, v0
	v_cmp_gt_u32_e64 s5, 4, v0
	;; [unrolled: 1-line block ×4, first 2 shown]
	s_mov_b32 s27, 0
	s_mov_b32 s28, s14
	v_cmp_gt_u32_e64 s9, s14, v10
	s_wait_kmcnt 0x0
	s_sub_co_i32 s16, s7, s22
	s_cmp_lg_u32 s30, 0
	v_cmp_eq_u32_e64 s7, 0, v0
	s_cselect_b32 s23, -1, 0
	s_abs_i32 s30, s14
	s_ashr_i32 s29, s14, 31
	s_cvt_f32_u32 s17, s30
	s_mul_u64 s[18:19], s[28:29], s[26:27]
	s_and_b32 s28, vcc_lo, s8
	v_add_nc_u64_e32 v[8:9], v[8:9], v[14:15]
	v_rcp_iflag_f32_e32 v1, s17
	s_lshl_b32 s17, s13, 2
	s_delay_alu instid0(SALU_CYCLE_1) | instskip(SKIP_2) | instid1(TRANS32_DEP_1)
	v_dual_add_nc_u32 v0, s17, v4 :: v_dual_bitop2_b32 v2, 8, v19 bitop3:0x54
	v_dual_mov_b32 v5, v3 :: v_dual_lshlrev_b32 v24, 2, v5
	v_mov_b32_e32 v11, v3
	v_readfirstlane_b32 s13, v1
	s_delay_alu instid0(VALU_DEP_4)
	v_add_nc_u32_e32 v10, s17, v0
	v_cmp_gt_u32_e64 s8, s14, v2
	v_dual_mov_b32 v1, v3 :: v_dual_bitop2_b32 v2, 12, v19 bitop3:0x54
	s_mul_f32 s26, s13, 0x4f7ffffe
	v_dual_mov_b32 v13, v3 :: v_dual_add_nc_u32 v12, s17, v10
	s_sub_co_i32 s17, 0, s30
	s_delay_alu instid0(SALU_CYCLE_1)
	s_cvt_u32_f32 s26, s26
	s_and_b32 s13, vcc_lo, s8
	v_cmp_gt_u32_e64 s8, s14, v2
	v_dual_mov_b32 v27, 1 :: v_dual_add_nc_u32 v26, v14, v20
	s_mul_i32 s17, s17, s26
	v_mov_b32_e32 v16, 0
	s_mul_hi_u32 s17, s26, s17
	s_and_b32 s9, vcc_lo, s9
	s_and_b32 s31, vcc_lo, s8
	s_add_co_i32 s26, s26, s17
	s_branch .LBB67_7
.LBB67_6:                               ;   in Loop: Header=BB67_7 Depth=1
	s_or_b32 exec_lo, exec_lo, s17
	s_wait_dscnt 0x0
	s_barrier_signal -1
	s_barrier_wait -1
	ds_load_b32 v16, v3
	s_add_co_i32 s16, s8, s16
	s_wait_dscnt 0x0
	s_barrier_signal -1
	s_barrier_wait -1
	v_cmp_gt_i32_e32 vcc_lo, s12, v16
	s_cbranch_vccz .LBB67_53
.LBB67_7:                               ; =>This Loop Header: Depth=1
                                        ;     Child Loop BB67_10 Depth 2
	v_dual_add_nc_u32 v14, v25, v19 :: v_dual_mov_b32 v28, s12
	v_mov_b32_e32 v15, v18
	s_mov_b32 s17, exec_lo
	ds_store_b8 v3, v3 offset:4096
	ds_store_2addr_b32 v26, v3, v3 offset1:4
	ds_store_2addr_b32 v26, v3, v3 offset0:8 offset1:12
	s_wait_dscnt 0x0
	s_barrier_signal -1
	s_barrier_wait -1
	v_cmpx_lt_i32_e64 v14, v18
	s_cbranch_execz .LBB67_15
; %bb.8:                                ;   in Loop: Header=BB67_7 Depth=1
	v_mul_lo_u32 v17, v16, s14
	v_dual_mov_b32 v28, s12 :: v_dual_mov_b32 v15, v18
	s_mov_b32 s33, 0
	s_branch .LBB67_10
.LBB67_9:                               ;   in Loop: Header=BB67_10 Depth=2
	s_wait_xcnt 0x0
	s_or_b32 exec_lo, exec_lo, s8
	v_add_nc_u32_e32 v14, 4, v14
	s_xor_b32 s34, vcc_lo, -1
	s_delay_alu instid0(VALU_DEP_1) | instskip(SKIP_1) | instid1(SALU_CYCLE_1)
	v_cmp_ge_i32_e64 s8, v14, v18
	s_or_b32 s8, s34, s8
	s_and_b32 s8, exec_lo, s8
	s_delay_alu instid0(SALU_CYCLE_1) | instskip(NEXT) | instid1(SALU_CYCLE_1)
	s_or_b32 s33, s8, s33
	s_and_not1_b32 exec_lo, exec_lo, s33
	s_cbranch_execz .LBB67_14
.LBB67_10:                              ;   Parent Loop BB67_7 Depth=1
                                        ; =>  This Inner Loop Header: Depth=2
	global_load_b32 v2, v14, s[20:21] scale_offset
	s_wait_loadcnt 0x0
	v_subrev_nc_u32_e32 v25, s15, v2
	s_delay_alu instid0(VALU_DEP_1) | instskip(NEXT) | instid1(VALU_DEP_1)
	v_sub_nc_u32_e32 v2, 0, v25
	v_max_i32_e32 v2, v25, v2
	s_delay_alu instid0(VALU_DEP_1) | instskip(NEXT) | instid1(VALU_DEP_1)
	v_mul_u64_e32 v[30:31], s[26:27], v[2:3]
	v_mul_lo_u32 v29, v31, s30
	s_delay_alu instid0(VALU_DEP_1) | instskip(NEXT) | instid1(VALU_DEP_1)
	v_dual_sub_nc_u32 v2, v2, v29 :: v_dual_add_nc_u32 v29, 1, v31
	v_subrev_nc_u32_e32 v30, s30, v2
	v_cmp_le_u32_e32 vcc_lo, s30, v2
	s_delay_alu instid0(VALU_DEP_3) | instskip(NEXT) | instid1(VALU_DEP_3)
	v_cndmask_b32_e32 v29, v31, v29, vcc_lo
	v_dual_cndmask_b32 v2, v2, v30 :: v_dual_ashrrev_i32 v31, 31, v25
	s_delay_alu instid0(VALU_DEP_2) | instskip(NEXT) | instid1(VALU_DEP_2)
	v_add_nc_u32_e32 v30, 1, v29
	v_cmp_le_u32_e32 vcc_lo, s30, v2
	s_delay_alu instid0(VALU_DEP_2) | instskip(NEXT) | instid1(VALU_DEP_1)
	v_dual_cndmask_b32 v2, v29, v30, vcc_lo :: v_dual_bitop2_b32 v31, s29, v31 bitop3:0x14
	v_xor_b32_e32 v2, v2, v31
	s_delay_alu instid0(VALU_DEP_1) | instskip(NEXT) | instid1(VALU_DEP_1)
	v_dual_mov_b32 v2, v15 :: v_dual_sub_nc_u32 v29, v2, v31
	v_cmp_ne_u32_e64 s8, v29, v16
	v_cmp_eq_u32_e32 vcc_lo, v29, v16
	s_wait_xcnt 0x0
	s_and_saveexec_b32 s34, s8
	s_delay_alu instid0(SALU_CYCLE_1)
	s_xor_b32 s8, exec_lo, s34
; %bb.11:                               ;   in Loop: Header=BB67_10 Depth=2
	v_min_i32_e32 v28, v29, v28
                                        ; implicit-def: $vgpr25
                                        ; implicit-def: $vgpr2
; %bb.12:                               ;   in Loop: Header=BB67_10 Depth=2
	s_or_saveexec_b32 s8, s8
	v_mov_b32_e32 v15, v14
	s_xor_b32 exec_lo, exec_lo, s8
	s_cbranch_execz .LBB67_9
; %bb.13:                               ;   in Loop: Header=BB67_10 Depth=2
	v_ashrrev_i32_e32 v15, 31, v14
	s_delay_alu instid0(VALU_DEP_1)
	v_lshl_add_u64 v[30:31], v[14:15], 2, s[24:25]
	v_sub_nc_u32_e32 v15, v25, v17
	global_load_b32 v29, v[30:31], off
	v_lshl_add_u32 v25, v15, 2, v20
	v_mov_b32_e32 v15, v2
	ds_store_b8 v3, v27 offset:4096
	s_wait_loadcnt 0x0
	ds_store_b32 v25, v29
	s_branch .LBB67_9
.LBB67_14:                              ;   in Loop: Header=BB67_7 Depth=1
	s_or_b32 exec_lo, exec_lo, s33
.LBB67_15:                              ;   in Loop: Header=BB67_7 Depth=1
	s_delay_alu instid0(SALU_CYCLE_1)
	s_or_b32 exec_lo, exec_lo, s17
	ds_bpermute_b32 v2, v23, v15
	s_wait_dscnt 0x0
	s_barrier_signal -1
	s_barrier_wait -1
	s_mov_b32 s8, 0
	v_min_i32_e32 v2, v2, v15
	ds_load_u8 v15, v3 offset:4096
	ds_bpermute_b32 v14, v24, v2
	s_wait_dscnt 0x0
	v_min_i32_e32 v2, v14, v2
	ds_bpermute_b32 v25, v22, v2
	v_and_b32_e32 v2, 1, v15
	s_delay_alu instid0(VALU_DEP_1)
	v_cmp_eq_u32_e32 vcc_lo, 0, v2
	s_cbranch_vccnz .LBB67_33
; %bb.16:                               ;   in Loop: Header=BB67_7 Depth=1
	s_ashr_i32 s17, s16, 31
	v_dual_mov_b32 v29, s16 :: v_dual_add_nc_u32 v2, s22, v16
	s_mul_u64 s[34:35], s[18:19], s[16:17]
	s_delay_alu instid0(SALU_CYCLE_1) | instskip(NEXT) | instid1(SALU_CYCLE_1)
	s_lshl_b64 s[34:35], s[34:35], 2
	v_add_nc_u64_e32 v[16:17], s[34:35], v[6:7]
	v_add_nc_u64_e32 v[14:15], s[34:35], v[8:9]
	global_store_b32 v29, v2, s[10:11] scale_offset
	s_wait_xcnt 0x0
	s_and_saveexec_b32 s8, s28
	s_cbranch_execz .LBB67_20
; %bb.17:                               ;   in Loop: Header=BB67_7 Depth=1
	ds_load_b32 v2, v26
	s_and_b32 vcc_lo, exec_lo, s23
	s_cbranch_vccz .LBB67_49
; %bb.18:                               ;   in Loop: Header=BB67_7 Depth=1
	v_lshl_add_u64 v[30:31], v[4:5], 2, v[16:17]
	s_wait_dscnt 0x0
	global_store_b32 v[30:31], v2, off
	s_cbranch_execnz .LBB67_20
.LBB67_19:                              ;   in Loop: Header=BB67_7 Depth=1
	s_wait_dscnt 0x0
	global_store_b32 v[14:15], v2, off
.LBB67_20:                              ;   in Loop: Header=BB67_7 Depth=1
	s_wait_xcnt 0x0
	s_or_b32 exec_lo, exec_lo, s8
	s_and_saveexec_b32 s8, s9
	s_cbranch_execz .LBB67_24
; %bb.21:                               ;   in Loop: Header=BB67_7 Depth=1
	s_wait_dscnt 0x0
	ds_load_b32 v2, v26 offset:16
	s_and_not1_b32 vcc_lo, exec_lo, s23
	s_cbranch_vccnz .LBB67_50
; %bb.22:                               ;   in Loop: Header=BB67_7 Depth=1
	v_lshl_add_u64 v[30:31], v[0:1], 2, v[16:17]
	s_wait_dscnt 0x0
	global_store_b32 v[30:31], v2, off
	s_cbranch_execnz .LBB67_24
.LBB67_23:                              ;   in Loop: Header=BB67_7 Depth=1
	s_wait_dscnt 0x0
	global_store_b32 v[14:15], v2, off offset:16
.LBB67_24:                              ;   in Loop: Header=BB67_7 Depth=1
	s_wait_xcnt 0x0
	s_or_b32 exec_lo, exec_lo, s8
	s_and_saveexec_b32 s8, s13
	s_cbranch_execz .LBB67_28
; %bb.25:                               ;   in Loop: Header=BB67_7 Depth=1
	s_wait_dscnt 0x0
	ds_load_b32 v2, v26 offset:32
	s_and_not1_b32 vcc_lo, exec_lo, s23
	s_cbranch_vccnz .LBB67_51
; %bb.26:                               ;   in Loop: Header=BB67_7 Depth=1
	v_lshl_add_u64 v[30:31], v[10:11], 2, v[16:17]
	s_wait_dscnt 0x0
	global_store_b32 v[30:31], v2, off
	s_cbranch_execnz .LBB67_28
.LBB67_27:                              ;   in Loop: Header=BB67_7 Depth=1
	s_wait_dscnt 0x0
	global_store_b32 v[14:15], v2, off offset:32
.LBB67_28:                              ;   in Loop: Header=BB67_7 Depth=1
	s_wait_xcnt 0x0
	s_or_b32 exec_lo, exec_lo, s8
	s_and_saveexec_b32 s8, s31
	s_cbranch_execz .LBB67_32
; %bb.29:                               ;   in Loop: Header=BB67_7 Depth=1
	s_wait_dscnt 0x0
	ds_load_b32 v2, v26 offset:48
	s_and_not1_b32 vcc_lo, exec_lo, s23
	s_cbranch_vccnz .LBB67_52
; %bb.30:                               ;   in Loop: Header=BB67_7 Depth=1
	v_lshl_add_u64 v[16:17], v[12:13], 2, v[16:17]
	s_wait_dscnt 0x0
	global_store_b32 v[16:17], v2, off
	s_cbranch_execnz .LBB67_32
.LBB67_31:                              ;   in Loop: Header=BB67_7 Depth=1
	s_wait_dscnt 0x0
	global_store_b32 v[14:15], v2, off offset:48
.LBB67_32:                              ;   in Loop: Header=BB67_7 Depth=1
	s_wait_xcnt 0x0
	s_or_b32 exec_lo, exec_lo, s8
	s_mov_b32 s8, 1
.LBB67_33:                              ;   in Loop: Header=BB67_7 Depth=1
	s_wait_storecnt_dscnt 0x0
	s_barrier_signal -1
	s_barrier_wait -1
	ds_store_b32 v21, v28
	s_wait_dscnt 0x0
	s_barrier_signal -1
	s_barrier_wait -1
	s_and_saveexec_b32 s17, s0
	s_cbranch_execz .LBB67_35
; %bb.34:                               ;   in Loop: Header=BB67_7 Depth=1
	ds_load_2addr_stride64_b32 v[14:15], v21 offset1:2
	s_wait_dscnt 0x0
	v_min_i32_e32 v2, v15, v14
	ds_store_b32 v21, v2
.LBB67_35:                              ;   in Loop: Header=BB67_7 Depth=1
	s_or_b32 exec_lo, exec_lo, s17
	s_wait_dscnt 0x0
	s_barrier_signal -1
	s_barrier_wait -1
	s_and_saveexec_b32 s17, s1
	s_cbranch_execz .LBB67_37
; %bb.36:                               ;   in Loop: Header=BB67_7 Depth=1
	ds_load_2addr_stride64_b32 v[14:15], v21 offset1:1
	s_wait_dscnt 0x0
	v_min_i32_e32 v2, v15, v14
	ds_store_b32 v21, v2
.LBB67_37:                              ;   in Loop: Header=BB67_7 Depth=1
	s_or_b32 exec_lo, exec_lo, s17
	s_wait_dscnt 0x0
	s_barrier_signal -1
	s_barrier_wait -1
	s_and_saveexec_b32 s17, s2
	s_cbranch_execz .LBB67_39
; %bb.38:                               ;   in Loop: Header=BB67_7 Depth=1
	ds_load_2addr_b32 v[14:15], v21 offset1:32
	s_wait_dscnt 0x0
	v_min_i32_e32 v2, v15, v14
	ds_store_b32 v21, v2
.LBB67_39:                              ;   in Loop: Header=BB67_7 Depth=1
	s_or_b32 exec_lo, exec_lo, s17
	s_wait_dscnt 0x0
	s_barrier_signal -1
	s_barrier_wait -1
	s_and_saveexec_b32 s17, s3
	s_cbranch_execz .LBB67_41
; %bb.40:                               ;   in Loop: Header=BB67_7 Depth=1
	ds_load_2addr_b32 v[14:15], v21 offset1:16
	s_wait_dscnt 0x0
	v_min_i32_e32 v2, v15, v14
	ds_store_b32 v21, v2
.LBB67_41:                              ;   in Loop: Header=BB67_7 Depth=1
	;; [unrolled: 12-line block ×5, first 2 shown]
	s_or_b32 exec_lo, exec_lo, s17
	s_wait_dscnt 0x0
	s_barrier_signal -1
	s_barrier_wait -1
	s_and_saveexec_b32 s17, s7
	s_cbranch_execz .LBB67_6
; %bb.48:                               ;   in Loop: Header=BB67_7 Depth=1
	ds_load_b64 v[14:15], v3
	s_wait_dscnt 0x0
	v_min_i32_e32 v2, v15, v14
	ds_store_b32 v3, v2
	s_branch .LBB67_6
.LBB67_49:                              ;   in Loop: Header=BB67_7 Depth=1
	s_branch .LBB67_19
.LBB67_50:                              ;   in Loop: Header=BB67_7 Depth=1
	s_branch .LBB67_23
.LBB67_51:                              ;   in Loop: Header=BB67_7 Depth=1
	s_branch .LBB67_27
.LBB67_52:                              ;   in Loop: Header=BB67_7 Depth=1
	s_branch .LBB67_31
.LBB67_53:
	s_endpgm
	.section	.rodata,"a",@progbits
	.p2align	6, 0x0
	.amdhsa_kernel _ZN9rocsparseL40csr2gebsr_block_per_row_multipass_kernelILj256ELj64ELj16EfEEv20rocsparse_direction_iiiiii21rocsparse_index_base_PKT2_PKiS7_S2_PS3_PiS9_
		.amdhsa_group_segment_fixed_size 4100
		.amdhsa_private_segment_fixed_size 0
		.amdhsa_kernarg_size 88
		.amdhsa_user_sgpr_count 2
		.amdhsa_user_sgpr_dispatch_ptr 0
		.amdhsa_user_sgpr_queue_ptr 0
		.amdhsa_user_sgpr_kernarg_segment_ptr 1
		.amdhsa_user_sgpr_dispatch_id 0
		.amdhsa_user_sgpr_kernarg_preload_length 0
		.amdhsa_user_sgpr_kernarg_preload_offset 0
		.amdhsa_user_sgpr_private_segment_size 0
		.amdhsa_wavefront_size32 1
		.amdhsa_uses_dynamic_stack 0
		.amdhsa_enable_private_segment 0
		.amdhsa_system_sgpr_workgroup_id_x 1
		.amdhsa_system_sgpr_workgroup_id_y 0
		.amdhsa_system_sgpr_workgroup_id_z 0
		.amdhsa_system_sgpr_workgroup_info 0
		.amdhsa_system_vgpr_workitem_id 0
		.amdhsa_next_free_vgpr 32
		.amdhsa_next_free_sgpr 36
		.amdhsa_named_barrier_count 0
		.amdhsa_reserve_vcc 1
		.amdhsa_float_round_mode_32 0
		.amdhsa_float_round_mode_16_64 0
		.amdhsa_float_denorm_mode_32 3
		.amdhsa_float_denorm_mode_16_64 3
		.amdhsa_fp16_overflow 0
		.amdhsa_memory_ordered 1
		.amdhsa_forward_progress 1
		.amdhsa_inst_pref_size 16
		.amdhsa_round_robin_scheduling 0
		.amdhsa_exception_fp_ieee_invalid_op 0
		.amdhsa_exception_fp_denorm_src 0
		.amdhsa_exception_fp_ieee_div_zero 0
		.amdhsa_exception_fp_ieee_overflow 0
		.amdhsa_exception_fp_ieee_underflow 0
		.amdhsa_exception_fp_ieee_inexact 0
		.amdhsa_exception_int_div_zero 0
	.end_amdhsa_kernel
	.section	.text._ZN9rocsparseL40csr2gebsr_block_per_row_multipass_kernelILj256ELj64ELj16EfEEv20rocsparse_direction_iiiiii21rocsparse_index_base_PKT2_PKiS7_S2_PS3_PiS9_,"axG",@progbits,_ZN9rocsparseL40csr2gebsr_block_per_row_multipass_kernelILj256ELj64ELj16EfEEv20rocsparse_direction_iiiiii21rocsparse_index_base_PKT2_PKiS7_S2_PS3_PiS9_,comdat
.Lfunc_end67:
	.size	_ZN9rocsparseL40csr2gebsr_block_per_row_multipass_kernelILj256ELj64ELj16EfEEv20rocsparse_direction_iiiiii21rocsparse_index_base_PKT2_PKiS7_S2_PS3_PiS9_, .Lfunc_end67-_ZN9rocsparseL40csr2gebsr_block_per_row_multipass_kernelILj256ELj64ELj16EfEEv20rocsparse_direction_iiiiii21rocsparse_index_base_PKT2_PKiS7_S2_PS3_PiS9_
                                        ; -- End function
	.set _ZN9rocsparseL40csr2gebsr_block_per_row_multipass_kernelILj256ELj64ELj16EfEEv20rocsparse_direction_iiiiii21rocsparse_index_base_PKT2_PKiS7_S2_PS3_PiS9_.num_vgpr, 32
	.set _ZN9rocsparseL40csr2gebsr_block_per_row_multipass_kernelILj256ELj64ELj16EfEEv20rocsparse_direction_iiiiii21rocsparse_index_base_PKT2_PKiS7_S2_PS3_PiS9_.num_agpr, 0
	.set _ZN9rocsparseL40csr2gebsr_block_per_row_multipass_kernelILj256ELj64ELj16EfEEv20rocsparse_direction_iiiiii21rocsparse_index_base_PKT2_PKiS7_S2_PS3_PiS9_.numbered_sgpr, 36
	.set _ZN9rocsparseL40csr2gebsr_block_per_row_multipass_kernelILj256ELj64ELj16EfEEv20rocsparse_direction_iiiiii21rocsparse_index_base_PKT2_PKiS7_S2_PS3_PiS9_.num_named_barrier, 0
	.set _ZN9rocsparseL40csr2gebsr_block_per_row_multipass_kernelILj256ELj64ELj16EfEEv20rocsparse_direction_iiiiii21rocsparse_index_base_PKT2_PKiS7_S2_PS3_PiS9_.private_seg_size, 0
	.set _ZN9rocsparseL40csr2gebsr_block_per_row_multipass_kernelILj256ELj64ELj16EfEEv20rocsparse_direction_iiiiii21rocsparse_index_base_PKT2_PKiS7_S2_PS3_PiS9_.uses_vcc, 1
	.set _ZN9rocsparseL40csr2gebsr_block_per_row_multipass_kernelILj256ELj64ELj16EfEEv20rocsparse_direction_iiiiii21rocsparse_index_base_PKT2_PKiS7_S2_PS3_PiS9_.uses_flat_scratch, 0
	.set _ZN9rocsparseL40csr2gebsr_block_per_row_multipass_kernelILj256ELj64ELj16EfEEv20rocsparse_direction_iiiiii21rocsparse_index_base_PKT2_PKiS7_S2_PS3_PiS9_.has_dyn_sized_stack, 0
	.set _ZN9rocsparseL40csr2gebsr_block_per_row_multipass_kernelILj256ELj64ELj16EfEEv20rocsparse_direction_iiiiii21rocsparse_index_base_PKT2_PKiS7_S2_PS3_PiS9_.has_recursion, 0
	.set _ZN9rocsparseL40csr2gebsr_block_per_row_multipass_kernelILj256ELj64ELj16EfEEv20rocsparse_direction_iiiiii21rocsparse_index_base_PKT2_PKiS7_S2_PS3_PiS9_.has_indirect_call, 0
	.section	.AMDGPU.csdata,"",@progbits
; Kernel info:
; codeLenInByte = 2016
; TotalNumSgprs: 38
; NumVgprs: 32
; ScratchSize: 0
; MemoryBound: 0
; FloatMode: 240
; IeeeMode: 1
; LDSByteSize: 4100 bytes/workgroup (compile time only)
; SGPRBlocks: 0
; VGPRBlocks: 1
; NumSGPRsForWavesPerEU: 38
; NumVGPRsForWavesPerEU: 32
; NamedBarCnt: 0
; Occupancy: 16
; WaveLimiterHint : 0
; COMPUTE_PGM_RSRC2:SCRATCH_EN: 0
; COMPUTE_PGM_RSRC2:USER_SGPR: 2
; COMPUTE_PGM_RSRC2:TRAP_HANDLER: 0
; COMPUTE_PGM_RSRC2:TGID_X_EN: 1
; COMPUTE_PGM_RSRC2:TGID_Y_EN: 0
; COMPUTE_PGM_RSRC2:TGID_Z_EN: 0
; COMPUTE_PGM_RSRC2:TIDIG_COMP_CNT: 0
	.section	.text._ZN9rocsparseL40csr2gebsr_block_per_row_multipass_kernelILj256ELj64ELj32EfEEv20rocsparse_direction_iiiiii21rocsparse_index_base_PKT2_PKiS7_S2_PS3_PiS9_,"axG",@progbits,_ZN9rocsparseL40csr2gebsr_block_per_row_multipass_kernelILj256ELj64ELj32EfEEv20rocsparse_direction_iiiiii21rocsparse_index_base_PKT2_PKiS7_S2_PS3_PiS9_,comdat
	.globl	_ZN9rocsparseL40csr2gebsr_block_per_row_multipass_kernelILj256ELj64ELj32EfEEv20rocsparse_direction_iiiiii21rocsparse_index_base_PKT2_PKiS7_S2_PS3_PiS9_ ; -- Begin function _ZN9rocsparseL40csr2gebsr_block_per_row_multipass_kernelILj256ELj64ELj32EfEEv20rocsparse_direction_iiiiii21rocsparse_index_base_PKT2_PKiS7_S2_PS3_PiS9_
	.p2align	8
	.type	_ZN9rocsparseL40csr2gebsr_block_per_row_multipass_kernelILj256ELj64ELj32EfEEv20rocsparse_direction_iiiiii21rocsparse_index_base_PKT2_PKiS7_S2_PS3_PiS9_,@function
_ZN9rocsparseL40csr2gebsr_block_per_row_multipass_kernelILj256ELj64ELj32EfEEv20rocsparse_direction_iiiiii21rocsparse_index_base_PKT2_PKiS7_S2_PS3_PiS9_: ; @_ZN9rocsparseL40csr2gebsr_block_per_row_multipass_kernelILj256ELj64ELj32EfEEv20rocsparse_direction_iiiiii21rocsparse_index_base_PKT2_PKiS7_S2_PS3_PiS9_
; %bb.0:
	s_clause 0x1
	s_load_b128 s[12:15], s[0:1], 0x10
	s_load_b64 s[30:31], s[0:1], 0x0
	s_bfe_u32 s2, ttmp6, 0x4000c
	s_and_b32 s3, ttmp6, 15
	s_add_co_i32 s2, s2, 1
	s_getreg_b32 s4, hwreg(HW_REG_IB_STS2, 6, 4)
	s_mul_i32 s2, ttmp9, s2
	v_dual_mov_b32 v26, 0 :: v_dual_lshrrev_b32 v1, 2, v0
	s_add_co_i32 s3, s3, s2
	s_cmp_eq_u32 s4, 0
	s_load_b64 s[6:7], s[0:1], 0x28
	s_cselect_b32 s4, ttmp9, s3
	v_mov_b32_e32 v33, 0
	s_wait_kmcnt 0x0
	v_mad_u32 v2, s13, s4, v1
	v_cmp_gt_i32_e32 vcc_lo, s13, v1
	s_delay_alu instid0(VALU_DEP_2) | instskip(SKIP_1) | instid1(SALU_CYCLE_1)
	v_cmp_gt_i32_e64 s2, s31, v2
	s_and_b32 s2, vcc_lo, s2
	s_and_saveexec_b32 s3, s2
	s_cbranch_execnz .LBB68_3
; %bb.1:
	s_or_b32 exec_lo, exec_lo, s3
	s_and_saveexec_b32 s3, s2
	s_cbranch_execnz .LBB68_4
.LBB68_2:
	s_or_b32 exec_lo, exec_lo, s3
	s_cmp_lt_i32 s12, 1
	s_cbranch_scc0 .LBB68_5
	s_branch .LBB68_73
.LBB68_3:
	global_load_b32 v3, v2, s[6:7] scale_offset
	s_wait_loadcnt 0x0
	v_subrev_nc_u32_e32 v33, s15, v3
	s_or_b32 exec_lo, exec_lo, s3
	s_and_saveexec_b32 s3, s2
	s_cbranch_execz .LBB68_2
.LBB68_4:
	global_load_b32 v2, v2, s[6:7] offset:4 scale_offset
	s_wait_loadcnt 0x0
	v_subrev_nc_u32_e32 v26, s15, v2
	s_or_b32 exec_lo, exec_lo, s3
	s_cmp_lt_i32 s12, 1
	s_cbranch_scc1 .LBB68_73
.LBB68_5:
	s_clause 0x3
	s_load_b128 s[16:19], s[0:1], 0x40
	s_load_b64 s[10:11], s[0:1], 0x50
	s_load_b96 s[20:22], s[0:1], 0x30
	s_load_b64 s[24:25], s[0:1], 0x20
	s_ashr_i32 s5, s4, 31
	v_mbcnt_lo_u32_b32 v4, -1, 0
	s_lshl_b64 s[4:5], s[4:5], 2
	v_dual_lshlrev_b32 v28, 7, v1 :: v_dual_bitop2_b32 v27, 3, v0 bitop3:0x40
	v_dual_mov_b32 v3, 0 :: v_dual_lshlrev_b32 v2, 2, v1
	v_mul_lo_u32 v6, s14, v1
	v_xor_b32_e32 v1, 2, v4
	v_lshl_or_b32 v30, v4, 2, 12
	v_dual_lshlrev_b32 v29, 2, v0 :: v_dual_lshlrev_b32 v22, 2, v27
	v_mov_b32_e32 v23, v3
	s_delay_alu instid0(VALU_DEP_4)
	v_cmp_gt_i32_e64 s7, 32, v1
	v_xor_b32_e32 v5, 1, v4
	s_wait_xcnt 0x0
	v_cmp_gt_u32_e64 s0, 0x80, v0
	s_wait_kmcnt 0x0
	s_add_nc_u64 s[4:5], s[18:19], s[4:5]
	v_cmp_gt_u32_e64 s1, 64, v0
	s_load_b32 s9, s[4:5], 0x0
	v_cndmask_b32_e64 v1, v4, v1, s7
	v_cmp_gt_i32_e64 s7, 32, v5
	v_cmp_gt_u32_e64 s2, 32, v0
	v_cmp_gt_u32_e64 s3, 16, v0
	s_wait_xcnt 0x0
	v_cmp_gt_u32_e64 s4, 8, v0
	v_cmp_gt_u32_e64 s5, 4, v0
	v_dual_cndmask_b32 v5, v4, v5, s7 :: v_dual_ashrrev_i32 v7, 31, v6
	v_mul_lo_u32 v4, v27, s13
	v_cmp_gt_u32_e64 s6, 2, v0
	v_cmp_gt_u32_e64 s8, s14, v27
	v_dual_lshlrev_b32 v31, 2, v1 :: v_dual_bitop2_b32 v10, 4, v27 bitop3:0x54
	v_lshlrev_b32_e32 v32, 2, v5
	v_cmp_eq_u32_e64 s7, 0, v0
	v_or_b32_e32 v0, 8, v27
	s_mov_b32 s27, 0
	s_mov_b32 s26, s13
	;; [unrolled: 1-line block ×3, first 2 shown]
	s_wait_kmcnt 0x0
	s_sub_co_i32 s18, s9, s22
	s_cmp_lg_u32 s30, 0
	v_lshl_add_u64 v[8:9], v[6:7], 2, s[16:17]
	s_cselect_b32 s23, -1, 0
	s_ashr_i32 s29, s14, 31
	s_lshl_b32 s19, s13, 2
	v_add_nc_u64_e32 v[6:7], s[16:17], v[2:3]
	s_mul_u64 s[16:17], s[28:29], s[26:27]
	s_and_b32 s28, vcc_lo, s8
	v_dual_mov_b32 v5, v3 :: v_dual_bitop2_b32 v1, 12, v27 bitop3:0x54
	v_cmp_gt_u32_e64 s8, s14, v10
	v_cmp_gt_u32_e64 s9, s14, v0
	v_add_nc_u32_e32 v0, s19, v4
	s_abs_i32 s33, s14
	v_mov_b32_e32 v11, v3
	s_and_b32 s13, vcc_lo, s8
	v_cmp_gt_u32_e64 s8, s14, v1
	v_dual_mov_b32 v1, v3 :: v_dual_add_nc_u32 v10, s19, v0
	v_or_b32_e32 v2, 16, v27
	s_cvt_f32_u32 s26, s33
	v_dual_mov_b32 v13, v3 :: v_dual_bitop2_b32 v14, 20, v27 bitop3:0x54
	s_delay_alu instid0(VALU_DEP_3)
	v_add_nc_u32_e32 v12, s19, v10
	s_and_b32 s31, vcc_lo, s8
	v_cmp_gt_u32_e64 s8, s14, v2
	v_rcp_iflag_f32_e32 v2, s26
	s_and_b32 s30, vcc_lo, s9
	v_cmp_gt_u32_e64 s9, s14, v14
	v_dual_add_nc_u32 v14, s19, v12 :: v_dual_bitop2_b32 v17, 24, v27 bitop3:0x54
	v_mov_b32_e32 v15, v3
	s_and_b32 s34, vcc_lo, s8
	s_delay_alu instid0(TRANS32_DEP_1) | instskip(NEXT) | instid1(VALU_DEP_3)
	v_readfirstlane_b32 s26, v2
	v_add_nc_u32_e32 v16, s19, v14
	v_cmp_gt_u32_e64 s8, s14, v17
	v_dual_mov_b32 v17, v3 :: v_dual_bitop2_b32 v2, 28, v27 bitop3:0x54
	s_mul_f32 s26, s26, 0x4f7ffffe
	v_dual_mov_b32 v19, v3 :: v_dual_add_nc_u32 v18, s19, v16
	v_add_nc_u64_e32 v[8:9], v[8:9], v[22:23]
	s_delay_alu instid0(SALU_CYCLE_1) | instskip(SKIP_1) | instid1(VALU_DEP_2)
	s_cvt_u32_f32 s26, s26
	s_and_b32 s35, vcc_lo, s8
	v_dual_mov_b32 v21, v3 :: v_dual_add_nc_u32 v20, s19, v18
	s_sub_co_i32 s19, 0, s33
	v_cmp_gt_u32_e64 s8, s14, v2
	s_mul_i32 s19, s19, s26
	v_dual_mov_b32 v35, 1 :: v_dual_add_nc_u32 v34, v22, v28
	v_mov_b32_e32 v24, 0
	s_mul_hi_u32 s19, s26, s19
	s_and_b32 s9, vcc_lo, s9
	s_and_b32 s36, vcc_lo, s8
	s_add_co_i32 s26, s26, s19
	s_branch .LBB68_7
.LBB68_6:                               ;   in Loop: Header=BB68_7 Depth=1
	s_or_b32 exec_lo, exec_lo, s19
	s_wait_dscnt 0x0
	s_barrier_signal -1
	s_barrier_wait -1
	ds_load_b32 v24, v3
	s_add_co_i32 s18, s8, s18
	s_wait_dscnt 0x0
	s_barrier_signal -1
	s_barrier_wait -1
	v_cmp_gt_i32_e32 vcc_lo, s12, v24
	s_cbranch_vccz .LBB68_73
.LBB68_7:                               ; =>This Loop Header: Depth=1
                                        ;     Child Loop BB68_10 Depth 2
	v_dual_add_nc_u32 v22, v33, v27 :: v_dual_mov_b32 v36, s12
	v_mov_b32_e32 v23, v26
	s_mov_b32 s19, exec_lo
	ds_store_b8 v3, v3 offset:8192
	ds_store_2addr_b32 v34, v3, v3 offset1:4
	ds_store_2addr_b32 v34, v3, v3 offset0:8 offset1:12
	ds_store_2addr_b32 v34, v3, v3 offset0:16 offset1:20
	;; [unrolled: 1-line block ×3, first 2 shown]
	s_wait_dscnt 0x0
	s_barrier_signal -1
	s_barrier_wait -1
	v_cmpx_lt_i32_e64 v22, v26
	s_cbranch_execz .LBB68_15
; %bb.8:                                ;   in Loop: Header=BB68_7 Depth=1
	v_mul_lo_u32 v25, v24, s14
	v_dual_mov_b32 v36, s12 :: v_dual_mov_b32 v23, v26
	s_mov_b32 s37, 0
	s_branch .LBB68_10
.LBB68_9:                               ;   in Loop: Header=BB68_10 Depth=2
	s_wait_xcnt 0x0
	s_or_b32 exec_lo, exec_lo, s8
	v_add_nc_u32_e32 v22, 4, v22
	s_xor_b32 s38, vcc_lo, -1
	s_delay_alu instid0(VALU_DEP_1) | instskip(SKIP_1) | instid1(SALU_CYCLE_1)
	v_cmp_ge_i32_e64 s8, v22, v26
	s_or_b32 s8, s38, s8
	s_and_b32 s8, exec_lo, s8
	s_delay_alu instid0(SALU_CYCLE_1) | instskip(NEXT) | instid1(SALU_CYCLE_1)
	s_or_b32 s37, s8, s37
	s_and_not1_b32 exec_lo, exec_lo, s37
	s_cbranch_execz .LBB68_14
.LBB68_10:                              ;   Parent Loop BB68_7 Depth=1
                                        ; =>  This Inner Loop Header: Depth=2
	global_load_b32 v2, v22, s[20:21] scale_offset
	s_wait_loadcnt 0x0
	v_subrev_nc_u32_e32 v33, s15, v2
	s_delay_alu instid0(VALU_DEP_1) | instskip(NEXT) | instid1(VALU_DEP_1)
	v_sub_nc_u32_e32 v2, 0, v33
	v_max_i32_e32 v2, v33, v2
	s_delay_alu instid0(VALU_DEP_1) | instskip(NEXT) | instid1(VALU_DEP_1)
	v_mul_u64_e32 v[38:39], s[26:27], v[2:3]
	v_mul_lo_u32 v37, v39, s33
	s_delay_alu instid0(VALU_DEP_1) | instskip(NEXT) | instid1(VALU_DEP_1)
	v_dual_sub_nc_u32 v2, v2, v37 :: v_dual_add_nc_u32 v37, 1, v39
	v_subrev_nc_u32_e32 v38, s33, v2
	v_cmp_le_u32_e32 vcc_lo, s33, v2
	s_delay_alu instid0(VALU_DEP_3) | instskip(NEXT) | instid1(VALU_DEP_3)
	v_cndmask_b32_e32 v37, v39, v37, vcc_lo
	v_dual_cndmask_b32 v2, v2, v38 :: v_dual_ashrrev_i32 v39, 31, v33
	s_delay_alu instid0(VALU_DEP_2) | instskip(NEXT) | instid1(VALU_DEP_2)
	v_add_nc_u32_e32 v38, 1, v37
	v_cmp_le_u32_e32 vcc_lo, s33, v2
	s_delay_alu instid0(VALU_DEP_2) | instskip(NEXT) | instid1(VALU_DEP_1)
	v_dual_cndmask_b32 v2, v37, v38, vcc_lo :: v_dual_bitop2_b32 v39, s29, v39 bitop3:0x14
	v_xor_b32_e32 v2, v2, v39
	s_delay_alu instid0(VALU_DEP_1) | instskip(NEXT) | instid1(VALU_DEP_1)
	v_dual_mov_b32 v2, v23 :: v_dual_sub_nc_u32 v37, v2, v39
	v_cmp_ne_u32_e64 s8, v37, v24
	v_cmp_eq_u32_e32 vcc_lo, v37, v24
	s_wait_xcnt 0x0
	s_and_saveexec_b32 s38, s8
	s_delay_alu instid0(SALU_CYCLE_1)
	s_xor_b32 s8, exec_lo, s38
; %bb.11:                               ;   in Loop: Header=BB68_10 Depth=2
	v_min_i32_e32 v36, v37, v36
                                        ; implicit-def: $vgpr33
                                        ; implicit-def: $vgpr2
; %bb.12:                               ;   in Loop: Header=BB68_10 Depth=2
	s_or_saveexec_b32 s8, s8
	v_mov_b32_e32 v23, v22
	s_xor_b32 exec_lo, exec_lo, s8
	s_cbranch_execz .LBB68_9
; %bb.13:                               ;   in Loop: Header=BB68_10 Depth=2
	v_ashrrev_i32_e32 v23, 31, v22
	s_delay_alu instid0(VALU_DEP_1)
	v_lshl_add_u64 v[38:39], v[22:23], 2, s[24:25]
	v_sub_nc_u32_e32 v23, v33, v25
	global_load_b32 v37, v[38:39], off
	v_lshl_add_u32 v33, v23, 2, v28
	v_mov_b32_e32 v23, v2
	ds_store_b8 v3, v35 offset:8192
	s_wait_loadcnt 0x0
	ds_store_b32 v33, v37
	s_branch .LBB68_9
.LBB68_14:                              ;   in Loop: Header=BB68_7 Depth=1
	s_or_b32 exec_lo, exec_lo, s37
.LBB68_15:                              ;   in Loop: Header=BB68_7 Depth=1
	s_delay_alu instid0(SALU_CYCLE_1)
	s_or_b32 exec_lo, exec_lo, s19
	ds_bpermute_b32 v2, v31, v23
	s_wait_dscnt 0x0
	s_barrier_signal -1
	s_barrier_wait -1
	s_mov_b32 s8, 0
	v_min_i32_e32 v2, v2, v23
	ds_load_u8 v23, v3 offset:8192
	ds_bpermute_b32 v22, v32, v2
	s_wait_dscnt 0x0
	v_min_i32_e32 v2, v22, v2
	ds_bpermute_b32 v33, v30, v2
	v_and_b32_e32 v2, 1, v23
	s_delay_alu instid0(VALU_DEP_1)
	v_cmp_eq_u32_e32 vcc_lo, 0, v2
	s_cbranch_vccnz .LBB68_49
; %bb.16:                               ;   in Loop: Header=BB68_7 Depth=1
	s_ashr_i32 s19, s18, 31
	v_dual_mov_b32 v37, s18 :: v_dual_add_nc_u32 v2, s22, v24
	s_mul_u64 s[38:39], s[16:17], s[18:19]
	s_delay_alu instid0(SALU_CYCLE_1) | instskip(NEXT) | instid1(SALU_CYCLE_1)
	s_lshl_b64 s[38:39], s[38:39], 2
	v_add_nc_u64_e32 v[24:25], s[38:39], v[6:7]
	v_add_nc_u64_e32 v[22:23], s[38:39], v[8:9]
	global_store_b32 v37, v2, s[10:11] scale_offset
	s_wait_xcnt 0x0
	s_and_saveexec_b32 s8, s28
	s_cbranch_execz .LBB68_20
; %bb.17:                               ;   in Loop: Header=BB68_7 Depth=1
	ds_load_b32 v2, v34
	s_and_b32 vcc_lo, exec_lo, s23
	s_cbranch_vccz .LBB68_65
; %bb.18:                               ;   in Loop: Header=BB68_7 Depth=1
	v_lshl_add_u64 v[38:39], v[4:5], 2, v[24:25]
	s_wait_dscnt 0x0
	global_store_b32 v[38:39], v2, off
	s_cbranch_execnz .LBB68_20
.LBB68_19:                              ;   in Loop: Header=BB68_7 Depth=1
	s_wait_dscnt 0x0
	global_store_b32 v[22:23], v2, off
.LBB68_20:                              ;   in Loop: Header=BB68_7 Depth=1
	s_wait_xcnt 0x0
	s_or_b32 exec_lo, exec_lo, s8
	s_and_saveexec_b32 s8, s13
	s_cbranch_execz .LBB68_24
; %bb.21:                               ;   in Loop: Header=BB68_7 Depth=1
	s_wait_dscnt 0x0
	ds_load_b32 v2, v34 offset:16
	s_and_not1_b32 vcc_lo, exec_lo, s23
	s_cbranch_vccnz .LBB68_66
; %bb.22:                               ;   in Loop: Header=BB68_7 Depth=1
	v_lshl_add_u64 v[38:39], v[0:1], 2, v[24:25]
	s_wait_dscnt 0x0
	global_store_b32 v[38:39], v2, off
	s_cbranch_execnz .LBB68_24
.LBB68_23:                              ;   in Loop: Header=BB68_7 Depth=1
	s_wait_dscnt 0x0
	global_store_b32 v[22:23], v2, off offset:16
.LBB68_24:                              ;   in Loop: Header=BB68_7 Depth=1
	s_wait_xcnt 0x0
	s_or_b32 exec_lo, exec_lo, s8
	s_and_saveexec_b32 s8, s30
	s_cbranch_execz .LBB68_28
; %bb.25:                               ;   in Loop: Header=BB68_7 Depth=1
	s_wait_dscnt 0x0
	ds_load_b32 v2, v34 offset:32
	s_and_not1_b32 vcc_lo, exec_lo, s23
	s_cbranch_vccnz .LBB68_67
; %bb.26:                               ;   in Loop: Header=BB68_7 Depth=1
	v_lshl_add_u64 v[38:39], v[10:11], 2, v[24:25]
	s_wait_dscnt 0x0
	global_store_b32 v[38:39], v2, off
	s_cbranch_execnz .LBB68_28
.LBB68_27:                              ;   in Loop: Header=BB68_7 Depth=1
	s_wait_dscnt 0x0
	global_store_b32 v[22:23], v2, off offset:32
.LBB68_28:                              ;   in Loop: Header=BB68_7 Depth=1
	s_wait_xcnt 0x0
	s_or_b32 exec_lo, exec_lo, s8
	s_and_saveexec_b32 s8, s31
	s_cbranch_execz .LBB68_32
; %bb.29:                               ;   in Loop: Header=BB68_7 Depth=1
	s_wait_dscnt 0x0
	ds_load_b32 v2, v34 offset:48
	s_and_not1_b32 vcc_lo, exec_lo, s23
	s_cbranch_vccnz .LBB68_68
; %bb.30:                               ;   in Loop: Header=BB68_7 Depth=1
	v_lshl_add_u64 v[38:39], v[12:13], 2, v[24:25]
	s_wait_dscnt 0x0
	global_store_b32 v[38:39], v2, off
	s_cbranch_execnz .LBB68_32
.LBB68_31:                              ;   in Loop: Header=BB68_7 Depth=1
	s_wait_dscnt 0x0
	global_store_b32 v[22:23], v2, off offset:48
.LBB68_32:                              ;   in Loop: Header=BB68_7 Depth=1
	s_wait_xcnt 0x0
	s_or_b32 exec_lo, exec_lo, s8
	s_and_saveexec_b32 s8, s34
	s_cbranch_execz .LBB68_36
; %bb.33:                               ;   in Loop: Header=BB68_7 Depth=1
	s_wait_dscnt 0x0
	ds_load_b32 v2, v34 offset:64
	s_and_not1_b32 vcc_lo, exec_lo, s23
	s_cbranch_vccnz .LBB68_69
; %bb.34:                               ;   in Loop: Header=BB68_7 Depth=1
	v_lshl_add_u64 v[38:39], v[14:15], 2, v[24:25]
	s_wait_dscnt 0x0
	global_store_b32 v[38:39], v2, off
	s_cbranch_execnz .LBB68_36
.LBB68_35:                              ;   in Loop: Header=BB68_7 Depth=1
	s_wait_dscnt 0x0
	global_store_b32 v[22:23], v2, off offset:64
.LBB68_36:                              ;   in Loop: Header=BB68_7 Depth=1
	s_wait_xcnt 0x0
	s_or_b32 exec_lo, exec_lo, s8
	s_and_saveexec_b32 s8, s9
	s_cbranch_execz .LBB68_40
; %bb.37:                               ;   in Loop: Header=BB68_7 Depth=1
	s_wait_dscnt 0x0
	ds_load_b32 v2, v34 offset:80
	s_and_not1_b32 vcc_lo, exec_lo, s23
	s_cbranch_vccnz .LBB68_70
; %bb.38:                               ;   in Loop: Header=BB68_7 Depth=1
	v_lshl_add_u64 v[38:39], v[16:17], 2, v[24:25]
	s_wait_dscnt 0x0
	global_store_b32 v[38:39], v2, off
	s_cbranch_execnz .LBB68_40
.LBB68_39:                              ;   in Loop: Header=BB68_7 Depth=1
	s_wait_dscnt 0x0
	global_store_b32 v[22:23], v2, off offset:80
.LBB68_40:                              ;   in Loop: Header=BB68_7 Depth=1
	s_wait_xcnt 0x0
	s_or_b32 exec_lo, exec_lo, s8
	s_and_saveexec_b32 s8, s35
	s_cbranch_execz .LBB68_44
; %bb.41:                               ;   in Loop: Header=BB68_7 Depth=1
	s_wait_dscnt 0x0
	ds_load_b32 v2, v34 offset:96
	s_and_not1_b32 vcc_lo, exec_lo, s23
	s_cbranch_vccnz .LBB68_71
; %bb.42:                               ;   in Loop: Header=BB68_7 Depth=1
	v_lshl_add_u64 v[38:39], v[18:19], 2, v[24:25]
	s_wait_dscnt 0x0
	global_store_b32 v[38:39], v2, off
	s_cbranch_execnz .LBB68_44
.LBB68_43:                              ;   in Loop: Header=BB68_7 Depth=1
	s_wait_dscnt 0x0
	global_store_b32 v[22:23], v2, off offset:96
.LBB68_44:                              ;   in Loop: Header=BB68_7 Depth=1
	s_wait_xcnt 0x0
	s_or_b32 exec_lo, exec_lo, s8
	s_and_saveexec_b32 s8, s36
	s_cbranch_execz .LBB68_48
; %bb.45:                               ;   in Loop: Header=BB68_7 Depth=1
	s_wait_dscnt 0x0
	ds_load_b32 v2, v34 offset:112
	s_and_not1_b32 vcc_lo, exec_lo, s23
	s_cbranch_vccnz .LBB68_72
; %bb.46:                               ;   in Loop: Header=BB68_7 Depth=1
	v_lshl_add_u64 v[24:25], v[20:21], 2, v[24:25]
	s_wait_dscnt 0x0
	global_store_b32 v[24:25], v2, off
	s_cbranch_execnz .LBB68_48
.LBB68_47:                              ;   in Loop: Header=BB68_7 Depth=1
	s_wait_dscnt 0x0
	global_store_b32 v[22:23], v2, off offset:112
.LBB68_48:                              ;   in Loop: Header=BB68_7 Depth=1
	s_wait_xcnt 0x0
	s_or_b32 exec_lo, exec_lo, s8
	s_mov_b32 s8, 1
.LBB68_49:                              ;   in Loop: Header=BB68_7 Depth=1
	s_wait_storecnt_dscnt 0x0
	s_barrier_signal -1
	s_barrier_wait -1
	ds_store_b32 v29, v36
	s_wait_dscnt 0x0
	s_barrier_signal -1
	s_barrier_wait -1
	s_and_saveexec_b32 s19, s0
	s_cbranch_execz .LBB68_51
; %bb.50:                               ;   in Loop: Header=BB68_7 Depth=1
	ds_load_2addr_stride64_b32 v[22:23], v29 offset1:2
	s_wait_dscnt 0x0
	v_min_i32_e32 v2, v23, v22
	ds_store_b32 v29, v2
.LBB68_51:                              ;   in Loop: Header=BB68_7 Depth=1
	s_or_b32 exec_lo, exec_lo, s19
	s_wait_dscnt 0x0
	s_barrier_signal -1
	s_barrier_wait -1
	s_and_saveexec_b32 s19, s1
	s_cbranch_execz .LBB68_53
; %bb.52:                               ;   in Loop: Header=BB68_7 Depth=1
	ds_load_2addr_stride64_b32 v[22:23], v29 offset1:1
	s_wait_dscnt 0x0
	v_min_i32_e32 v2, v23, v22
	ds_store_b32 v29, v2
.LBB68_53:                              ;   in Loop: Header=BB68_7 Depth=1
	s_or_b32 exec_lo, exec_lo, s19
	s_wait_dscnt 0x0
	s_barrier_signal -1
	s_barrier_wait -1
	s_and_saveexec_b32 s19, s2
	s_cbranch_execz .LBB68_55
; %bb.54:                               ;   in Loop: Header=BB68_7 Depth=1
	ds_load_2addr_b32 v[22:23], v29 offset1:32
	s_wait_dscnt 0x0
	v_min_i32_e32 v2, v23, v22
	ds_store_b32 v29, v2
.LBB68_55:                              ;   in Loop: Header=BB68_7 Depth=1
	s_or_b32 exec_lo, exec_lo, s19
	s_wait_dscnt 0x0
	s_barrier_signal -1
	s_barrier_wait -1
	s_and_saveexec_b32 s19, s3
	s_cbranch_execz .LBB68_57
; %bb.56:                               ;   in Loop: Header=BB68_7 Depth=1
	ds_load_2addr_b32 v[22:23], v29 offset1:16
	s_wait_dscnt 0x0
	v_min_i32_e32 v2, v23, v22
	ds_store_b32 v29, v2
.LBB68_57:                              ;   in Loop: Header=BB68_7 Depth=1
	;; [unrolled: 12-line block ×5, first 2 shown]
	s_or_b32 exec_lo, exec_lo, s19
	s_wait_dscnt 0x0
	s_barrier_signal -1
	s_barrier_wait -1
	s_and_saveexec_b32 s19, s7
	s_cbranch_execz .LBB68_6
; %bb.64:                               ;   in Loop: Header=BB68_7 Depth=1
	ds_load_b64 v[22:23], v3
	s_wait_dscnt 0x0
	v_min_i32_e32 v2, v23, v22
	ds_store_b32 v3, v2
	s_branch .LBB68_6
.LBB68_65:                              ;   in Loop: Header=BB68_7 Depth=1
	s_branch .LBB68_19
.LBB68_66:                              ;   in Loop: Header=BB68_7 Depth=1
	s_branch .LBB68_23
.LBB68_67:                              ;   in Loop: Header=BB68_7 Depth=1
	s_branch .LBB68_27
.LBB68_68:                              ;   in Loop: Header=BB68_7 Depth=1
	s_branch .LBB68_31
.LBB68_69:                              ;   in Loop: Header=BB68_7 Depth=1
	s_branch .LBB68_35
.LBB68_70:                              ;   in Loop: Header=BB68_7 Depth=1
	s_branch .LBB68_39
.LBB68_71:                              ;   in Loop: Header=BB68_7 Depth=1
	s_branch .LBB68_43
.LBB68_72:                              ;   in Loop: Header=BB68_7 Depth=1
	s_branch .LBB68_47
.LBB68_73:
	s_endpgm
	.section	.rodata,"a",@progbits
	.p2align	6, 0x0
	.amdhsa_kernel _ZN9rocsparseL40csr2gebsr_block_per_row_multipass_kernelILj256ELj64ELj32EfEEv20rocsparse_direction_iiiiii21rocsparse_index_base_PKT2_PKiS7_S2_PS3_PiS9_
		.amdhsa_group_segment_fixed_size 8196
		.amdhsa_private_segment_fixed_size 0
		.amdhsa_kernarg_size 88
		.amdhsa_user_sgpr_count 2
		.amdhsa_user_sgpr_dispatch_ptr 0
		.amdhsa_user_sgpr_queue_ptr 0
		.amdhsa_user_sgpr_kernarg_segment_ptr 1
		.amdhsa_user_sgpr_dispatch_id 0
		.amdhsa_user_sgpr_kernarg_preload_length 0
		.amdhsa_user_sgpr_kernarg_preload_offset 0
		.amdhsa_user_sgpr_private_segment_size 0
		.amdhsa_wavefront_size32 1
		.amdhsa_uses_dynamic_stack 0
		.amdhsa_enable_private_segment 0
		.amdhsa_system_sgpr_workgroup_id_x 1
		.amdhsa_system_sgpr_workgroup_id_y 0
		.amdhsa_system_sgpr_workgroup_id_z 0
		.amdhsa_system_sgpr_workgroup_info 0
		.amdhsa_system_vgpr_workitem_id 0
		.amdhsa_next_free_vgpr 40
		.amdhsa_next_free_sgpr 40
		.amdhsa_named_barrier_count 0
		.amdhsa_reserve_vcc 1
		.amdhsa_float_round_mode_32 0
		.amdhsa_float_round_mode_16_64 0
		.amdhsa_float_denorm_mode_32 3
		.amdhsa_float_denorm_mode_16_64 3
		.amdhsa_fp16_overflow 0
		.amdhsa_memory_ordered 1
		.amdhsa_forward_progress 1
		.amdhsa_inst_pref_size 20
		.amdhsa_round_robin_scheduling 0
		.amdhsa_exception_fp_ieee_invalid_op 0
		.amdhsa_exception_fp_denorm_src 0
		.amdhsa_exception_fp_ieee_div_zero 0
		.amdhsa_exception_fp_ieee_overflow 0
		.amdhsa_exception_fp_ieee_underflow 0
		.amdhsa_exception_fp_ieee_inexact 0
		.amdhsa_exception_int_div_zero 0
	.end_amdhsa_kernel
	.section	.text._ZN9rocsparseL40csr2gebsr_block_per_row_multipass_kernelILj256ELj64ELj32EfEEv20rocsparse_direction_iiiiii21rocsparse_index_base_PKT2_PKiS7_S2_PS3_PiS9_,"axG",@progbits,_ZN9rocsparseL40csr2gebsr_block_per_row_multipass_kernelILj256ELj64ELj32EfEEv20rocsparse_direction_iiiiii21rocsparse_index_base_PKT2_PKiS7_S2_PS3_PiS9_,comdat
.Lfunc_end68:
	.size	_ZN9rocsparseL40csr2gebsr_block_per_row_multipass_kernelILj256ELj64ELj32EfEEv20rocsparse_direction_iiiiii21rocsparse_index_base_PKT2_PKiS7_S2_PS3_PiS9_, .Lfunc_end68-_ZN9rocsparseL40csr2gebsr_block_per_row_multipass_kernelILj256ELj64ELj32EfEEv20rocsparse_direction_iiiiii21rocsparse_index_base_PKT2_PKiS7_S2_PS3_PiS9_
                                        ; -- End function
	.set _ZN9rocsparseL40csr2gebsr_block_per_row_multipass_kernelILj256ELj64ELj32EfEEv20rocsparse_direction_iiiiii21rocsparse_index_base_PKT2_PKiS7_S2_PS3_PiS9_.num_vgpr, 40
	.set _ZN9rocsparseL40csr2gebsr_block_per_row_multipass_kernelILj256ELj64ELj32EfEEv20rocsparse_direction_iiiiii21rocsparse_index_base_PKT2_PKiS7_S2_PS3_PiS9_.num_agpr, 0
	.set _ZN9rocsparseL40csr2gebsr_block_per_row_multipass_kernelILj256ELj64ELj32EfEEv20rocsparse_direction_iiiiii21rocsparse_index_base_PKT2_PKiS7_S2_PS3_PiS9_.numbered_sgpr, 40
	.set _ZN9rocsparseL40csr2gebsr_block_per_row_multipass_kernelILj256ELj64ELj32EfEEv20rocsparse_direction_iiiiii21rocsparse_index_base_PKT2_PKiS7_S2_PS3_PiS9_.num_named_barrier, 0
	.set _ZN9rocsparseL40csr2gebsr_block_per_row_multipass_kernelILj256ELj64ELj32EfEEv20rocsparse_direction_iiiiii21rocsparse_index_base_PKT2_PKiS7_S2_PS3_PiS9_.private_seg_size, 0
	.set _ZN9rocsparseL40csr2gebsr_block_per_row_multipass_kernelILj256ELj64ELj32EfEEv20rocsparse_direction_iiiiii21rocsparse_index_base_PKT2_PKiS7_S2_PS3_PiS9_.uses_vcc, 1
	.set _ZN9rocsparseL40csr2gebsr_block_per_row_multipass_kernelILj256ELj64ELj32EfEEv20rocsparse_direction_iiiiii21rocsparse_index_base_PKT2_PKiS7_S2_PS3_PiS9_.uses_flat_scratch, 0
	.set _ZN9rocsparseL40csr2gebsr_block_per_row_multipass_kernelILj256ELj64ELj32EfEEv20rocsparse_direction_iiiiii21rocsparse_index_base_PKT2_PKiS7_S2_PS3_PiS9_.has_dyn_sized_stack, 0
	.set _ZN9rocsparseL40csr2gebsr_block_per_row_multipass_kernelILj256ELj64ELj32EfEEv20rocsparse_direction_iiiiii21rocsparse_index_base_PKT2_PKiS7_S2_PS3_PiS9_.has_recursion, 0
	.set _ZN9rocsparseL40csr2gebsr_block_per_row_multipass_kernelILj256ELj64ELj32EfEEv20rocsparse_direction_iiiiii21rocsparse_index_base_PKT2_PKiS7_S2_PS3_PiS9_.has_indirect_call, 0
	.section	.AMDGPU.csdata,"",@progbits
; Kernel info:
; codeLenInByte = 2472
; TotalNumSgprs: 42
; NumVgprs: 40
; ScratchSize: 0
; MemoryBound: 0
; FloatMode: 240
; IeeeMode: 1
; LDSByteSize: 8196 bytes/workgroup (compile time only)
; SGPRBlocks: 0
; VGPRBlocks: 2
; NumSGPRsForWavesPerEU: 42
; NumVGPRsForWavesPerEU: 40
; NamedBarCnt: 0
; Occupancy: 16
; WaveLimiterHint : 0
; COMPUTE_PGM_RSRC2:SCRATCH_EN: 0
; COMPUTE_PGM_RSRC2:USER_SGPR: 2
; COMPUTE_PGM_RSRC2:TRAP_HANDLER: 0
; COMPUTE_PGM_RSRC2:TGID_X_EN: 1
; COMPUTE_PGM_RSRC2:TGID_Y_EN: 0
; COMPUTE_PGM_RSRC2:TGID_Z_EN: 0
; COMPUTE_PGM_RSRC2:TIDIG_COMP_CNT: 0
	.section	.text._ZN9rocsparseL40csr2gebsr_block_per_row_multipass_kernelILj256ELj64ELj64EfEEv20rocsparse_direction_iiiiii21rocsparse_index_base_PKT2_PKiS7_S2_PS3_PiS9_,"axG",@progbits,_ZN9rocsparseL40csr2gebsr_block_per_row_multipass_kernelILj256ELj64ELj64EfEEv20rocsparse_direction_iiiiii21rocsparse_index_base_PKT2_PKiS7_S2_PS3_PiS9_,comdat
	.globl	_ZN9rocsparseL40csr2gebsr_block_per_row_multipass_kernelILj256ELj64ELj64EfEEv20rocsparse_direction_iiiiii21rocsparse_index_base_PKT2_PKiS7_S2_PS3_PiS9_ ; -- Begin function _ZN9rocsparseL40csr2gebsr_block_per_row_multipass_kernelILj256ELj64ELj64EfEEv20rocsparse_direction_iiiiii21rocsparse_index_base_PKT2_PKiS7_S2_PS3_PiS9_
	.p2align	8
	.type	_ZN9rocsparseL40csr2gebsr_block_per_row_multipass_kernelILj256ELj64ELj64EfEEv20rocsparse_direction_iiiiii21rocsparse_index_base_PKT2_PKiS7_S2_PS3_PiS9_,@function
_ZN9rocsparseL40csr2gebsr_block_per_row_multipass_kernelILj256ELj64ELj64EfEEv20rocsparse_direction_iiiiii21rocsparse_index_base_PKT2_PKiS7_S2_PS3_PiS9_: ; @_ZN9rocsparseL40csr2gebsr_block_per_row_multipass_kernelILj256ELj64ELj64EfEEv20rocsparse_direction_iiiiii21rocsparse_index_base_PKT2_PKiS7_S2_PS3_PiS9_
; %bb.0:
	s_clause 0x1
	s_load_b128 s[12:15], s[0:1], 0x10
	s_load_b64 s[30:31], s[0:1], 0x0
	s_bfe_u32 s2, ttmp6, 0x4000c
	s_and_b32 s3, ttmp6, 15
	s_add_co_i32 s2, s2, 1
	s_getreg_b32 s4, hwreg(HW_REG_IB_STS2, 6, 4)
	s_mul_i32 s2, ttmp9, s2
	v_dual_mov_b32 v42, 0 :: v_dual_lshrrev_b32 v1, 2, v0
	s_add_co_i32 s3, s3, s2
	s_cmp_eq_u32 s4, 0
	s_load_b64 s[6:7], s[0:1], 0x28
	s_cselect_b32 s4, ttmp9, s3
	v_mov_b32_e32 v49, 0
	s_wait_kmcnt 0x0
	v_mad_u32 v2, s13, s4, v1
	v_cmp_gt_i32_e32 vcc_lo, s13, v1
	s_delay_alu instid0(VALU_DEP_2) | instskip(SKIP_1) | instid1(SALU_CYCLE_1)
	v_cmp_gt_i32_e64 s2, s31, v2
	s_and_b32 s2, vcc_lo, s2
	s_and_saveexec_b32 s3, s2
	s_cbranch_execnz .LBB69_3
; %bb.1:
	s_or_b32 exec_lo, exec_lo, s3
	s_and_saveexec_b32 s3, s2
	s_cbranch_execnz .LBB69_4
.LBB69_2:
	s_or_b32 exec_lo, exec_lo, s3
	s_cmp_lt_i32 s12, 1
	s_cbranch_scc0 .LBB69_5
	s_branch .LBB69_113
.LBB69_3:
	global_load_b32 v3, v2, s[6:7] scale_offset
	s_wait_loadcnt 0x0
	v_subrev_nc_u32_e32 v49, s15, v3
	s_or_b32 exec_lo, exec_lo, s3
	s_and_saveexec_b32 s3, s2
	s_cbranch_execz .LBB69_2
.LBB69_4:
	global_load_b32 v2, v2, s[6:7] offset:4 scale_offset
	s_wait_loadcnt 0x0
	v_subrev_nc_u32_e32 v42, s15, v2
	s_or_b32 exec_lo, exec_lo, s3
	s_cmp_lt_i32 s12, 1
	s_cbranch_scc1 .LBB69_113
.LBB69_5:
	s_clause 0x3
	s_load_b128 s[16:19], s[0:1], 0x40
	s_load_b64 s[10:11], s[0:1], 0x50
	s_load_b96 s[20:22], s[0:1], 0x30
	s_load_b64 s[24:25], s[0:1], 0x20
	s_ashr_i32 s5, s4, 31
	v_mbcnt_lo_u32_b32 v4, -1, 0
	s_lshl_b64 s[4:5], s[4:5], 2
	v_dual_lshlrev_b32 v44, 8, v1 :: v_dual_bitop2_b32 v43, 3, v0 bitop3:0x40
	v_dual_mov_b32 v3, 0 :: v_dual_lshlrev_b32 v2, 2, v1
	v_mul_lo_u32 v6, s14, v1
	v_xor_b32_e32 v1, 2, v4
	v_lshl_or_b32 v46, v4, 2, 12
	v_dual_lshlrev_b32 v45, 2, v0 :: v_dual_lshlrev_b32 v38, 2, v43
	v_mov_b32_e32 v39, v3
	s_delay_alu instid0(VALU_DEP_4)
	v_cmp_gt_i32_e64 s7, 32, v1
	v_xor_b32_e32 v5, 1, v4
	s_wait_xcnt 0x0
	v_cmp_gt_u32_e64 s0, 0x80, v0
	s_wait_kmcnt 0x0
	s_add_nc_u64 s[4:5], s[18:19], s[4:5]
	v_cmp_gt_u32_e64 s1, 64, v0
	s_load_b32 s9, s[4:5], 0x0
	v_cndmask_b32_e64 v1, v4, v1, s7
	v_cmp_gt_i32_e64 s7, 32, v5
	v_cmp_gt_u32_e64 s2, 32, v0
	v_cmp_gt_u32_e64 s3, 16, v0
	s_wait_xcnt 0x0
	v_cmp_gt_u32_e64 s4, 8, v0
	v_cmp_gt_u32_e64 s5, 4, v0
	v_dual_cndmask_b32 v5, v4, v5, s7 :: v_dual_ashrrev_i32 v7, 31, v6
	v_mul_lo_u32 v4, v43, s13
	v_cmp_gt_u32_e64 s6, 2, v0
	v_cmp_gt_u32_e64 s8, s14, v43
	s_delay_alu instid0(VALU_DEP_4)
	v_lshlrev_b32_e32 v48, 2, v5
	v_cmp_eq_u32_e64 s7, 0, v0
	v_or_b32_e32 v0, 8, v43
	s_mov_b32 s27, 0
	s_mov_b32 s26, s13
	;; [unrolled: 1-line block ×3, first 2 shown]
	v_dual_lshlrev_b32 v47, 2, v1 :: v_dual_bitop2_b32 v10, 4, v43 bitop3:0x54
	s_wait_kmcnt 0x0
	s_sub_co_i32 s18, s9, s22
	s_cmp_lg_u32 s30, 0
	v_lshl_add_u64 v[8:9], v[6:7], 2, s[16:17]
	s_cselect_b32 s23, -1, 0
	s_ashr_i32 s29, s14, 31
	s_lshl_b32 s19, s13, 2
	v_add_nc_u64_e32 v[6:7], s[16:17], v[2:3]
	s_mul_u64 s[16:17], s[28:29], s[26:27]
	s_and_b32 s28, vcc_lo, s8
	v_mov_b32_e32 v5, v3
	v_cmp_gt_u32_e64 s8, s14, v0
	v_add_nc_u32_e32 v0, s19, v4
	v_cmp_gt_u32_e64 s9, s14, v10
	v_or_b32_e32 v12, 16, v43
	v_dual_mov_b32 v1, v3 :: v_dual_bitop2_b32 v2, 12, v43 bitop3:0x54
	s_delay_alu instid0(VALU_DEP_4) | instskip(SKIP_1) | instid1(VALU_DEP_3)
	v_add_nc_u32_e32 v10, s19, v0
	s_and_b32 s13, vcc_lo, s9
	v_cmp_gt_u32_e64 s9, s14, v12
	s_and_b32 s30, vcc_lo, s8
	v_cmp_gt_u32_e64 s8, s14, v2
	v_dual_mov_b32 v13, v3 :: v_dual_add_nc_u32 v12, s19, v10
	v_dual_mov_b32 v11, v3 :: v_dual_bitop2_b32 v2, 20, v43 bitop3:0x54
	s_and_b32 s31, vcc_lo, s8
	s_delay_alu instid0(VALU_DEP_2) | instskip(SKIP_1) | instid1(VALU_DEP_3)
	v_dual_mov_b32 v15, v3 :: v_dual_add_nc_u32 v14, s19, v12
	v_or_b32_e32 v18, 28, v43
	v_cmp_gt_u32_e64 s8, s14, v2
	s_delay_alu instid0(VALU_DEP_3) | instskip(SKIP_3) | instid1(VALU_DEP_2)
	v_dual_add_nc_u32 v16, s19, v14 :: v_dual_bitop2_b32 v2, 24, v43 bitop3:0x54
	v_mov_b32_e32 v17, v3
	s_and_b32 s33, vcc_lo, s9
	s_and_b32 s34, vcc_lo, s8
	v_cmp_gt_u32_e64 s8, s14, v2
	v_or_b32_e32 v2, 32, v43
	v_cmp_gt_u32_e64 s9, s14, v18
	v_dual_mov_b32 v19, v3 :: v_dual_add_nc_u32 v18, s19, v16
	s_and_b32 s35, vcc_lo, s8
	v_cmp_gt_u32_e64 s8, s14, v2
	v_dual_mov_b32 v21, v3 :: v_dual_bitop2_b32 v2, 36, v43 bitop3:0x54
	s_delay_alu instid0(VALU_DEP_3) | instskip(SKIP_2) | instid1(VALU_DEP_2)
	v_dual_add_nc_u32 v20, s19, v18 :: v_dual_bitop2_b32 v24, 40, v43 bitop3:0x54
	s_and_b32 s36, vcc_lo, s9
	s_and_b32 s37, vcc_lo, s8
	v_cmp_gt_u32_e64 s8, s14, v2
	s_delay_alu instid0(VALU_DEP_2) | instskip(SKIP_2) | instid1(VALU_DEP_3)
	v_add_nc_u32_e32 v22, s19, v20
	v_cmp_gt_u32_e64 s9, s14, v24
	v_dual_mov_b32 v23, v3 :: v_dual_bitop2_b32 v2, 44, v43 bitop3:0x54
	v_dual_mov_b32 v25, v3 :: v_dual_add_nc_u32 v24, s19, v22
	s_abs_i32 s41, s14
	s_and_b32 s38, vcc_lo, s8
	s_delay_alu instid0(VALU_DEP_2) | instskip(NEXT) | instid1(VALU_DEP_2)
	v_cmp_gt_u32_e64 s8, s14, v2
	v_dual_mov_b32 v27, v3 :: v_dual_add_nc_u32 v26, s19, v24
	v_or_b32_e32 v2, 48, v43
	s_cvt_f32_u32 s26, s41
	v_dual_mov_b32 v29, v3 :: v_dual_bitop2_b32 v30, 52, v43 bitop3:0x54
	s_delay_alu instid0(VALU_DEP_3)
	v_add_nc_u32_e32 v28, s19, v26
	s_and_b32 s40, vcc_lo, s8
	v_cmp_gt_u32_e64 s8, s14, v2
	v_rcp_iflag_f32_e32 v2, s26
	s_and_b32 s39, vcc_lo, s9
	v_cmp_gt_u32_e64 s9, s14, v30
	v_dual_add_nc_u32 v30, s19, v28 :: v_dual_bitop2_b32 v33, 56, v43 bitop3:0x54
	v_mov_b32_e32 v31, v3
	s_and_b32 s42, vcc_lo, s8
	s_delay_alu instid0(TRANS32_DEP_1) | instskip(NEXT) | instid1(VALU_DEP_3)
	v_readfirstlane_b32 s26, v2
	v_add_nc_u32_e32 v32, s19, v30
	v_cmp_gt_u32_e64 s8, s14, v33
	v_dual_mov_b32 v33, v3 :: v_dual_bitop2_b32 v2, 60, v43 bitop3:0x54
	s_mul_f32 s26, s26, 0x4f7ffffe
	v_dual_mov_b32 v35, v3 :: v_dual_add_nc_u32 v34, s19, v32
	v_add_nc_u64_e32 v[8:9], v[8:9], v[38:39]
	s_delay_alu instid0(SALU_CYCLE_1) | instskip(SKIP_1) | instid1(VALU_DEP_2)
	s_cvt_u32_f32 s26, s26
	s_and_b32 s43, vcc_lo, s8
	v_dual_mov_b32 v37, v3 :: v_dual_add_nc_u32 v36, s19, v34
	s_sub_co_i32 s19, 0, s41
	v_cmp_gt_u32_e64 s8, s14, v2
	s_mul_i32 s19, s19, s26
	v_dual_mov_b32 v51, 1 :: v_dual_add_nc_u32 v50, v38, v44
	v_mov_b32_e32 v40, 0
	s_mul_hi_u32 s19, s26, s19
	s_and_b32 s9, vcc_lo, s9
	s_and_b32 s44, vcc_lo, s8
	s_add_co_i32 s26, s26, s19
	s_branch .LBB69_7
.LBB69_6:                               ;   in Loop: Header=BB69_7 Depth=1
	s_or_b32 exec_lo, exec_lo, s19
	s_wait_dscnt 0x0
	s_barrier_signal -1
	s_barrier_wait -1
	ds_load_b32 v40, v3
	s_add_co_i32 s18, s8, s18
	s_wait_dscnt 0x0
	s_barrier_signal -1
	s_barrier_wait -1
	v_cmp_gt_i32_e32 vcc_lo, s12, v40
	s_cbranch_vccz .LBB69_113
.LBB69_7:                               ; =>This Loop Header: Depth=1
                                        ;     Child Loop BB69_10 Depth 2
	v_dual_add_nc_u32 v38, v49, v43 :: v_dual_mov_b32 v52, s12
	v_mov_b32_e32 v39, v42
	s_mov_b32 s19, exec_lo
	ds_store_b8 v3, v3 offset:16384
	ds_store_2addr_b32 v50, v3, v3 offset1:4
	ds_store_2addr_b32 v50, v3, v3 offset0:8 offset1:12
	ds_store_2addr_b32 v50, v3, v3 offset0:16 offset1:20
	;; [unrolled: 1-line block ×7, first 2 shown]
	s_wait_dscnt 0x0
	s_barrier_signal -1
	s_barrier_wait -1
	v_cmpx_lt_i32_e64 v38, v42
	s_cbranch_execz .LBB69_15
; %bb.8:                                ;   in Loop: Header=BB69_7 Depth=1
	v_mul_lo_u32 v41, v40, s14
	v_dual_mov_b32 v52, s12 :: v_dual_mov_b32 v39, v42
	s_mov_b32 s45, 0
	s_branch .LBB69_10
.LBB69_9:                               ;   in Loop: Header=BB69_10 Depth=2
	s_wait_xcnt 0x0
	s_or_b32 exec_lo, exec_lo, s8
	v_add_nc_u32_e32 v38, 4, v38
	s_xor_b32 s46, vcc_lo, -1
	s_delay_alu instid0(VALU_DEP_1) | instskip(SKIP_1) | instid1(SALU_CYCLE_1)
	v_cmp_ge_i32_e64 s8, v38, v42
	s_or_b32 s8, s46, s8
	s_and_b32 s8, exec_lo, s8
	s_delay_alu instid0(SALU_CYCLE_1) | instskip(NEXT) | instid1(SALU_CYCLE_1)
	s_or_b32 s45, s8, s45
	s_and_not1_b32 exec_lo, exec_lo, s45
	s_cbranch_execz .LBB69_14
.LBB69_10:                              ;   Parent Loop BB69_7 Depth=1
                                        ; =>  This Inner Loop Header: Depth=2
	global_load_b32 v2, v38, s[20:21] scale_offset
	s_wait_loadcnt 0x0
	v_subrev_nc_u32_e32 v49, s15, v2
	s_delay_alu instid0(VALU_DEP_1) | instskip(NEXT) | instid1(VALU_DEP_1)
	v_sub_nc_u32_e32 v2, 0, v49
	v_max_i32_e32 v2, v49, v2
	s_delay_alu instid0(VALU_DEP_1) | instskip(NEXT) | instid1(VALU_DEP_1)
	v_mul_u64_e32 v[54:55], s[26:27], v[2:3]
	v_mul_lo_u32 v53, v55, s41
	s_delay_alu instid0(VALU_DEP_1) | instskip(NEXT) | instid1(VALU_DEP_1)
	v_dual_sub_nc_u32 v2, v2, v53 :: v_dual_add_nc_u32 v53, 1, v55
	v_subrev_nc_u32_e32 v54, s41, v2
	v_cmp_le_u32_e32 vcc_lo, s41, v2
	s_delay_alu instid0(VALU_DEP_3) | instskip(NEXT) | instid1(VALU_DEP_3)
	v_cndmask_b32_e32 v53, v55, v53, vcc_lo
	v_dual_cndmask_b32 v2, v2, v54 :: v_dual_ashrrev_i32 v55, 31, v49
	s_delay_alu instid0(VALU_DEP_2) | instskip(NEXT) | instid1(VALU_DEP_2)
	v_add_nc_u32_e32 v54, 1, v53
	v_cmp_le_u32_e32 vcc_lo, s41, v2
	s_delay_alu instid0(VALU_DEP_2) | instskip(NEXT) | instid1(VALU_DEP_1)
	v_dual_cndmask_b32 v2, v53, v54, vcc_lo :: v_dual_bitop2_b32 v55, s29, v55 bitop3:0x14
	v_xor_b32_e32 v2, v2, v55
	s_delay_alu instid0(VALU_DEP_1) | instskip(NEXT) | instid1(VALU_DEP_1)
	v_dual_mov_b32 v2, v39 :: v_dual_sub_nc_u32 v53, v2, v55
	v_cmp_ne_u32_e64 s8, v53, v40
	v_cmp_eq_u32_e32 vcc_lo, v53, v40
	s_wait_xcnt 0x0
	s_and_saveexec_b32 s46, s8
	s_delay_alu instid0(SALU_CYCLE_1)
	s_xor_b32 s8, exec_lo, s46
; %bb.11:                               ;   in Loop: Header=BB69_10 Depth=2
	v_min_i32_e32 v52, v53, v52
                                        ; implicit-def: $vgpr49
                                        ; implicit-def: $vgpr2
; %bb.12:                               ;   in Loop: Header=BB69_10 Depth=2
	s_or_saveexec_b32 s8, s8
	v_mov_b32_e32 v39, v38
	s_xor_b32 exec_lo, exec_lo, s8
	s_cbranch_execz .LBB69_9
; %bb.13:                               ;   in Loop: Header=BB69_10 Depth=2
	v_ashrrev_i32_e32 v39, 31, v38
	s_delay_alu instid0(VALU_DEP_1)
	v_lshl_add_u64 v[54:55], v[38:39], 2, s[24:25]
	v_sub_nc_u32_e32 v39, v49, v41
	global_load_b32 v53, v[54:55], off
	v_lshl_add_u32 v49, v39, 2, v44
	v_mov_b32_e32 v39, v2
	ds_store_b8 v3, v51 offset:16384
	s_wait_loadcnt 0x0
	ds_store_b32 v49, v53
	s_branch .LBB69_9
.LBB69_14:                              ;   in Loop: Header=BB69_7 Depth=1
	s_or_b32 exec_lo, exec_lo, s45
.LBB69_15:                              ;   in Loop: Header=BB69_7 Depth=1
	s_delay_alu instid0(SALU_CYCLE_1)
	s_or_b32 exec_lo, exec_lo, s19
	ds_bpermute_b32 v2, v47, v39
	s_wait_dscnt 0x0
	s_barrier_signal -1
	s_barrier_wait -1
	s_mov_b32 s8, 0
	v_min_i32_e32 v2, v2, v39
	ds_load_u8 v39, v3 offset:16384
	ds_bpermute_b32 v38, v48, v2
	s_wait_dscnt 0x0
	v_min_i32_e32 v2, v38, v2
	ds_bpermute_b32 v49, v46, v2
	v_and_b32_e32 v2, 1, v39
	s_delay_alu instid0(VALU_DEP_1)
	v_cmp_eq_u32_e32 vcc_lo, 0, v2
	s_cbranch_vccnz .LBB69_81
; %bb.16:                               ;   in Loop: Header=BB69_7 Depth=1
	s_ashr_i32 s19, s18, 31
	v_dual_mov_b32 v53, s18 :: v_dual_add_nc_u32 v2, s22, v40
	s_mul_u64 s[46:47], s[16:17], s[18:19]
	s_delay_alu instid0(SALU_CYCLE_1) | instskip(NEXT) | instid1(SALU_CYCLE_1)
	s_lshl_b64 s[46:47], s[46:47], 2
	v_add_nc_u64_e32 v[40:41], s[46:47], v[6:7]
	v_add_nc_u64_e32 v[38:39], s[46:47], v[8:9]
	global_store_b32 v53, v2, s[10:11] scale_offset
	s_wait_xcnt 0x0
	s_and_saveexec_b32 s8, s28
	s_cbranch_execz .LBB69_20
; %bb.17:                               ;   in Loop: Header=BB69_7 Depth=1
	ds_load_b32 v2, v50
	s_and_b32 vcc_lo, exec_lo, s23
	s_cbranch_vccz .LBB69_97
; %bb.18:                               ;   in Loop: Header=BB69_7 Depth=1
	v_lshl_add_u64 v[54:55], v[4:5], 2, v[40:41]
	s_wait_dscnt 0x0
	global_store_b32 v[54:55], v2, off
	s_cbranch_execnz .LBB69_20
.LBB69_19:                              ;   in Loop: Header=BB69_7 Depth=1
	s_wait_dscnt 0x0
	global_store_b32 v[38:39], v2, off
.LBB69_20:                              ;   in Loop: Header=BB69_7 Depth=1
	s_wait_xcnt 0x0
	s_or_b32 exec_lo, exec_lo, s8
	s_and_saveexec_b32 s8, s13
	s_cbranch_execz .LBB69_24
; %bb.21:                               ;   in Loop: Header=BB69_7 Depth=1
	s_wait_dscnt 0x0
	ds_load_b32 v2, v50 offset:16
	s_and_not1_b32 vcc_lo, exec_lo, s23
	s_cbranch_vccnz .LBB69_98
; %bb.22:                               ;   in Loop: Header=BB69_7 Depth=1
	v_lshl_add_u64 v[54:55], v[0:1], 2, v[40:41]
	s_wait_dscnt 0x0
	global_store_b32 v[54:55], v2, off
	s_cbranch_execnz .LBB69_24
.LBB69_23:                              ;   in Loop: Header=BB69_7 Depth=1
	s_wait_dscnt 0x0
	global_store_b32 v[38:39], v2, off offset:16
.LBB69_24:                              ;   in Loop: Header=BB69_7 Depth=1
	s_wait_xcnt 0x0
	s_or_b32 exec_lo, exec_lo, s8
	s_and_saveexec_b32 s8, s30
	s_cbranch_execz .LBB69_28
; %bb.25:                               ;   in Loop: Header=BB69_7 Depth=1
	s_wait_dscnt 0x0
	ds_load_b32 v2, v50 offset:32
	s_and_not1_b32 vcc_lo, exec_lo, s23
	s_cbranch_vccnz .LBB69_99
; %bb.26:                               ;   in Loop: Header=BB69_7 Depth=1
	v_lshl_add_u64 v[54:55], v[10:11], 2, v[40:41]
	s_wait_dscnt 0x0
	global_store_b32 v[54:55], v2, off
	s_cbranch_execnz .LBB69_28
.LBB69_27:                              ;   in Loop: Header=BB69_7 Depth=1
	s_wait_dscnt 0x0
	global_store_b32 v[38:39], v2, off offset:32
.LBB69_28:                              ;   in Loop: Header=BB69_7 Depth=1
	s_wait_xcnt 0x0
	s_or_b32 exec_lo, exec_lo, s8
	s_and_saveexec_b32 s8, s31
	s_cbranch_execz .LBB69_32
; %bb.29:                               ;   in Loop: Header=BB69_7 Depth=1
	s_wait_dscnt 0x0
	ds_load_b32 v2, v50 offset:48
	s_and_not1_b32 vcc_lo, exec_lo, s23
	s_cbranch_vccnz .LBB69_100
; %bb.30:                               ;   in Loop: Header=BB69_7 Depth=1
	v_lshl_add_u64 v[54:55], v[12:13], 2, v[40:41]
	s_wait_dscnt 0x0
	global_store_b32 v[54:55], v2, off
	s_cbranch_execnz .LBB69_32
.LBB69_31:                              ;   in Loop: Header=BB69_7 Depth=1
	s_wait_dscnt 0x0
	global_store_b32 v[38:39], v2, off offset:48
.LBB69_32:                              ;   in Loop: Header=BB69_7 Depth=1
	s_wait_xcnt 0x0
	s_or_b32 exec_lo, exec_lo, s8
	s_and_saveexec_b32 s8, s33
	s_cbranch_execz .LBB69_36
; %bb.33:                               ;   in Loop: Header=BB69_7 Depth=1
	s_wait_dscnt 0x0
	ds_load_b32 v2, v50 offset:64
	s_and_not1_b32 vcc_lo, exec_lo, s23
	s_cbranch_vccnz .LBB69_101
; %bb.34:                               ;   in Loop: Header=BB69_7 Depth=1
	v_lshl_add_u64 v[54:55], v[14:15], 2, v[40:41]
	s_wait_dscnt 0x0
	global_store_b32 v[54:55], v2, off
	s_cbranch_execnz .LBB69_36
.LBB69_35:                              ;   in Loop: Header=BB69_7 Depth=1
	s_wait_dscnt 0x0
	global_store_b32 v[38:39], v2, off offset:64
.LBB69_36:                              ;   in Loop: Header=BB69_7 Depth=1
	s_wait_xcnt 0x0
	s_or_b32 exec_lo, exec_lo, s8
	s_and_saveexec_b32 s8, s34
	s_cbranch_execz .LBB69_40
; %bb.37:                               ;   in Loop: Header=BB69_7 Depth=1
	s_wait_dscnt 0x0
	ds_load_b32 v2, v50 offset:80
	s_and_not1_b32 vcc_lo, exec_lo, s23
	s_cbranch_vccnz .LBB69_102
; %bb.38:                               ;   in Loop: Header=BB69_7 Depth=1
	v_lshl_add_u64 v[54:55], v[16:17], 2, v[40:41]
	s_wait_dscnt 0x0
	global_store_b32 v[54:55], v2, off
	s_cbranch_execnz .LBB69_40
.LBB69_39:                              ;   in Loop: Header=BB69_7 Depth=1
	s_wait_dscnt 0x0
	global_store_b32 v[38:39], v2, off offset:80
.LBB69_40:                              ;   in Loop: Header=BB69_7 Depth=1
	s_wait_xcnt 0x0
	s_or_b32 exec_lo, exec_lo, s8
	s_and_saveexec_b32 s8, s35
	s_cbranch_execz .LBB69_44
; %bb.41:                               ;   in Loop: Header=BB69_7 Depth=1
	s_wait_dscnt 0x0
	ds_load_b32 v2, v50 offset:96
	s_and_not1_b32 vcc_lo, exec_lo, s23
	s_cbranch_vccnz .LBB69_103
; %bb.42:                               ;   in Loop: Header=BB69_7 Depth=1
	v_lshl_add_u64 v[54:55], v[18:19], 2, v[40:41]
	s_wait_dscnt 0x0
	global_store_b32 v[54:55], v2, off
	s_cbranch_execnz .LBB69_44
.LBB69_43:                              ;   in Loop: Header=BB69_7 Depth=1
	s_wait_dscnt 0x0
	global_store_b32 v[38:39], v2, off offset:96
.LBB69_44:                              ;   in Loop: Header=BB69_7 Depth=1
	s_wait_xcnt 0x0
	s_or_b32 exec_lo, exec_lo, s8
	s_and_saveexec_b32 s8, s36
	s_cbranch_execz .LBB69_48
; %bb.45:                               ;   in Loop: Header=BB69_7 Depth=1
	s_wait_dscnt 0x0
	ds_load_b32 v2, v50 offset:112
	s_and_not1_b32 vcc_lo, exec_lo, s23
	s_cbranch_vccnz .LBB69_104
; %bb.46:                               ;   in Loop: Header=BB69_7 Depth=1
	v_lshl_add_u64 v[54:55], v[20:21], 2, v[40:41]
	s_wait_dscnt 0x0
	global_store_b32 v[54:55], v2, off
	s_cbranch_execnz .LBB69_48
.LBB69_47:                              ;   in Loop: Header=BB69_7 Depth=1
	s_wait_dscnt 0x0
	global_store_b32 v[38:39], v2, off offset:112
.LBB69_48:                              ;   in Loop: Header=BB69_7 Depth=1
	s_wait_xcnt 0x0
	s_or_b32 exec_lo, exec_lo, s8
	s_and_saveexec_b32 s8, s37
	s_cbranch_execz .LBB69_52
; %bb.49:                               ;   in Loop: Header=BB69_7 Depth=1
	s_wait_dscnt 0x0
	ds_load_b32 v2, v50 offset:128
	s_and_not1_b32 vcc_lo, exec_lo, s23
	s_cbranch_vccnz .LBB69_105
; %bb.50:                               ;   in Loop: Header=BB69_7 Depth=1
	v_lshl_add_u64 v[54:55], v[22:23], 2, v[40:41]
	s_wait_dscnt 0x0
	global_store_b32 v[54:55], v2, off
	s_cbranch_execnz .LBB69_52
.LBB69_51:                              ;   in Loop: Header=BB69_7 Depth=1
	s_wait_dscnt 0x0
	global_store_b32 v[38:39], v2, off offset:128
.LBB69_52:                              ;   in Loop: Header=BB69_7 Depth=1
	s_wait_xcnt 0x0
	s_or_b32 exec_lo, exec_lo, s8
	s_and_saveexec_b32 s8, s38
	s_cbranch_execz .LBB69_56
; %bb.53:                               ;   in Loop: Header=BB69_7 Depth=1
	s_wait_dscnt 0x0
	ds_load_b32 v2, v50 offset:144
	s_and_not1_b32 vcc_lo, exec_lo, s23
	s_cbranch_vccnz .LBB69_106
; %bb.54:                               ;   in Loop: Header=BB69_7 Depth=1
	v_lshl_add_u64 v[54:55], v[24:25], 2, v[40:41]
	s_wait_dscnt 0x0
	global_store_b32 v[54:55], v2, off
	s_cbranch_execnz .LBB69_56
.LBB69_55:                              ;   in Loop: Header=BB69_7 Depth=1
	s_wait_dscnt 0x0
	global_store_b32 v[38:39], v2, off offset:144
.LBB69_56:                              ;   in Loop: Header=BB69_7 Depth=1
	s_wait_xcnt 0x0
	s_or_b32 exec_lo, exec_lo, s8
	s_and_saveexec_b32 s8, s39
	s_cbranch_execz .LBB69_60
; %bb.57:                               ;   in Loop: Header=BB69_7 Depth=1
	s_wait_dscnt 0x0
	ds_load_b32 v2, v50 offset:160
	s_and_not1_b32 vcc_lo, exec_lo, s23
	s_cbranch_vccnz .LBB69_107
; %bb.58:                               ;   in Loop: Header=BB69_7 Depth=1
	v_lshl_add_u64 v[54:55], v[26:27], 2, v[40:41]
	s_wait_dscnt 0x0
	global_store_b32 v[54:55], v2, off
	s_cbranch_execnz .LBB69_60
.LBB69_59:                              ;   in Loop: Header=BB69_7 Depth=1
	s_wait_dscnt 0x0
	global_store_b32 v[38:39], v2, off offset:160
.LBB69_60:                              ;   in Loop: Header=BB69_7 Depth=1
	s_wait_xcnt 0x0
	s_or_b32 exec_lo, exec_lo, s8
	s_and_saveexec_b32 s8, s40
	s_cbranch_execz .LBB69_64
; %bb.61:                               ;   in Loop: Header=BB69_7 Depth=1
	s_wait_dscnt 0x0
	ds_load_b32 v2, v50 offset:176
	s_and_not1_b32 vcc_lo, exec_lo, s23
	s_cbranch_vccnz .LBB69_108
; %bb.62:                               ;   in Loop: Header=BB69_7 Depth=1
	v_lshl_add_u64 v[54:55], v[28:29], 2, v[40:41]
	s_wait_dscnt 0x0
	global_store_b32 v[54:55], v2, off
	s_cbranch_execnz .LBB69_64
.LBB69_63:                              ;   in Loop: Header=BB69_7 Depth=1
	s_wait_dscnt 0x0
	global_store_b32 v[38:39], v2, off offset:176
.LBB69_64:                              ;   in Loop: Header=BB69_7 Depth=1
	s_wait_xcnt 0x0
	s_or_b32 exec_lo, exec_lo, s8
	s_and_saveexec_b32 s8, s42
	s_cbranch_execz .LBB69_68
; %bb.65:                               ;   in Loop: Header=BB69_7 Depth=1
	s_wait_dscnt 0x0
	ds_load_b32 v2, v50 offset:192
	s_and_not1_b32 vcc_lo, exec_lo, s23
	s_cbranch_vccnz .LBB69_109
; %bb.66:                               ;   in Loop: Header=BB69_7 Depth=1
	v_lshl_add_u64 v[54:55], v[30:31], 2, v[40:41]
	s_wait_dscnt 0x0
	global_store_b32 v[54:55], v2, off
	s_cbranch_execnz .LBB69_68
.LBB69_67:                              ;   in Loop: Header=BB69_7 Depth=1
	s_wait_dscnt 0x0
	global_store_b32 v[38:39], v2, off offset:192
.LBB69_68:                              ;   in Loop: Header=BB69_7 Depth=1
	s_wait_xcnt 0x0
	s_or_b32 exec_lo, exec_lo, s8
	s_and_saveexec_b32 s8, s9
	s_cbranch_execz .LBB69_72
; %bb.69:                               ;   in Loop: Header=BB69_7 Depth=1
	s_wait_dscnt 0x0
	ds_load_b32 v2, v50 offset:208
	s_and_not1_b32 vcc_lo, exec_lo, s23
	s_cbranch_vccnz .LBB69_110
; %bb.70:                               ;   in Loop: Header=BB69_7 Depth=1
	v_lshl_add_u64 v[54:55], v[32:33], 2, v[40:41]
	s_wait_dscnt 0x0
	global_store_b32 v[54:55], v2, off
	s_cbranch_execnz .LBB69_72
.LBB69_71:                              ;   in Loop: Header=BB69_7 Depth=1
	s_wait_dscnt 0x0
	global_store_b32 v[38:39], v2, off offset:208
.LBB69_72:                              ;   in Loop: Header=BB69_7 Depth=1
	s_wait_xcnt 0x0
	s_or_b32 exec_lo, exec_lo, s8
	s_and_saveexec_b32 s8, s43
	s_cbranch_execz .LBB69_76
; %bb.73:                               ;   in Loop: Header=BB69_7 Depth=1
	s_wait_dscnt 0x0
	ds_load_b32 v2, v50 offset:224
	s_and_not1_b32 vcc_lo, exec_lo, s23
	s_cbranch_vccnz .LBB69_111
; %bb.74:                               ;   in Loop: Header=BB69_7 Depth=1
	v_lshl_add_u64 v[54:55], v[34:35], 2, v[40:41]
	s_wait_dscnt 0x0
	global_store_b32 v[54:55], v2, off
	s_cbranch_execnz .LBB69_76
.LBB69_75:                              ;   in Loop: Header=BB69_7 Depth=1
	s_wait_dscnt 0x0
	global_store_b32 v[38:39], v2, off offset:224
.LBB69_76:                              ;   in Loop: Header=BB69_7 Depth=1
	s_wait_xcnt 0x0
	s_or_b32 exec_lo, exec_lo, s8
	s_and_saveexec_b32 s8, s44
	s_cbranch_execz .LBB69_80
; %bb.77:                               ;   in Loop: Header=BB69_7 Depth=1
	s_wait_dscnt 0x0
	ds_load_b32 v2, v50 offset:240
	s_and_not1_b32 vcc_lo, exec_lo, s23
	s_cbranch_vccnz .LBB69_112
; %bb.78:                               ;   in Loop: Header=BB69_7 Depth=1
	v_lshl_add_u64 v[40:41], v[36:37], 2, v[40:41]
	s_wait_dscnt 0x0
	global_store_b32 v[40:41], v2, off
	s_cbranch_execnz .LBB69_80
.LBB69_79:                              ;   in Loop: Header=BB69_7 Depth=1
	s_wait_dscnt 0x0
	global_store_b32 v[38:39], v2, off offset:240
.LBB69_80:                              ;   in Loop: Header=BB69_7 Depth=1
	s_wait_xcnt 0x0
	s_or_b32 exec_lo, exec_lo, s8
	s_mov_b32 s8, 1
.LBB69_81:                              ;   in Loop: Header=BB69_7 Depth=1
	s_wait_storecnt_dscnt 0x0
	s_barrier_signal -1
	s_barrier_wait -1
	ds_store_b32 v45, v52
	s_wait_dscnt 0x0
	s_barrier_signal -1
	s_barrier_wait -1
	s_and_saveexec_b32 s19, s0
	s_cbranch_execz .LBB69_83
; %bb.82:                               ;   in Loop: Header=BB69_7 Depth=1
	ds_load_2addr_stride64_b32 v[38:39], v45 offset1:2
	s_wait_dscnt 0x0
	v_min_i32_e32 v2, v39, v38
	ds_store_b32 v45, v2
.LBB69_83:                              ;   in Loop: Header=BB69_7 Depth=1
	s_or_b32 exec_lo, exec_lo, s19
	s_wait_dscnt 0x0
	s_barrier_signal -1
	s_barrier_wait -1
	s_and_saveexec_b32 s19, s1
	s_cbranch_execz .LBB69_85
; %bb.84:                               ;   in Loop: Header=BB69_7 Depth=1
	ds_load_2addr_stride64_b32 v[38:39], v45 offset1:1
	s_wait_dscnt 0x0
	v_min_i32_e32 v2, v39, v38
	ds_store_b32 v45, v2
.LBB69_85:                              ;   in Loop: Header=BB69_7 Depth=1
	s_or_b32 exec_lo, exec_lo, s19
	s_wait_dscnt 0x0
	s_barrier_signal -1
	s_barrier_wait -1
	s_and_saveexec_b32 s19, s2
	s_cbranch_execz .LBB69_87
; %bb.86:                               ;   in Loop: Header=BB69_7 Depth=1
	ds_load_2addr_b32 v[38:39], v45 offset1:32
	s_wait_dscnt 0x0
	v_min_i32_e32 v2, v39, v38
	ds_store_b32 v45, v2
.LBB69_87:                              ;   in Loop: Header=BB69_7 Depth=1
	s_or_b32 exec_lo, exec_lo, s19
	s_wait_dscnt 0x0
	s_barrier_signal -1
	s_barrier_wait -1
	s_and_saveexec_b32 s19, s3
	s_cbranch_execz .LBB69_89
; %bb.88:                               ;   in Loop: Header=BB69_7 Depth=1
	ds_load_2addr_b32 v[38:39], v45 offset1:16
	s_wait_dscnt 0x0
	v_min_i32_e32 v2, v39, v38
	ds_store_b32 v45, v2
.LBB69_89:                              ;   in Loop: Header=BB69_7 Depth=1
	;; [unrolled: 12-line block ×5, first 2 shown]
	s_or_b32 exec_lo, exec_lo, s19
	s_wait_dscnt 0x0
	s_barrier_signal -1
	s_barrier_wait -1
	s_and_saveexec_b32 s19, s7
	s_cbranch_execz .LBB69_6
; %bb.96:                               ;   in Loop: Header=BB69_7 Depth=1
	ds_load_b64 v[38:39], v3
	s_wait_dscnt 0x0
	v_min_i32_e32 v2, v39, v38
	ds_store_b32 v3, v2
	s_branch .LBB69_6
.LBB69_97:                              ;   in Loop: Header=BB69_7 Depth=1
	s_branch .LBB69_19
.LBB69_98:                              ;   in Loop: Header=BB69_7 Depth=1
	s_branch .LBB69_23
.LBB69_99:                              ;   in Loop: Header=BB69_7 Depth=1
	s_branch .LBB69_27
.LBB69_100:                             ;   in Loop: Header=BB69_7 Depth=1
	s_branch .LBB69_31
.LBB69_101:                             ;   in Loop: Header=BB69_7 Depth=1
	s_branch .LBB69_35
.LBB69_102:                             ;   in Loop: Header=BB69_7 Depth=1
	s_branch .LBB69_39
.LBB69_103:                             ;   in Loop: Header=BB69_7 Depth=1
	s_branch .LBB69_43
.LBB69_104:                             ;   in Loop: Header=BB69_7 Depth=1
	s_branch .LBB69_47
.LBB69_105:                             ;   in Loop: Header=BB69_7 Depth=1
	s_branch .LBB69_51
.LBB69_106:                             ;   in Loop: Header=BB69_7 Depth=1
	s_branch .LBB69_55
.LBB69_107:                             ;   in Loop: Header=BB69_7 Depth=1
	s_branch .LBB69_59
.LBB69_108:                             ;   in Loop: Header=BB69_7 Depth=1
	s_branch .LBB69_63
.LBB69_109:                             ;   in Loop: Header=BB69_7 Depth=1
	s_branch .LBB69_67
.LBB69_110:                             ;   in Loop: Header=BB69_7 Depth=1
	s_branch .LBB69_71
.LBB69_111:                             ;   in Loop: Header=BB69_7 Depth=1
	s_branch .LBB69_75
.LBB69_112:                             ;   in Loop: Header=BB69_7 Depth=1
	s_branch .LBB69_79
.LBB69_113:
	s_endpgm
	.section	.rodata,"a",@progbits
	.p2align	6, 0x0
	.amdhsa_kernel _ZN9rocsparseL40csr2gebsr_block_per_row_multipass_kernelILj256ELj64ELj64EfEEv20rocsparse_direction_iiiiii21rocsparse_index_base_PKT2_PKiS7_S2_PS3_PiS9_
		.amdhsa_group_segment_fixed_size 16388
		.amdhsa_private_segment_fixed_size 0
		.amdhsa_kernarg_size 88
		.amdhsa_user_sgpr_count 2
		.amdhsa_user_sgpr_dispatch_ptr 0
		.amdhsa_user_sgpr_queue_ptr 0
		.amdhsa_user_sgpr_kernarg_segment_ptr 1
		.amdhsa_user_sgpr_dispatch_id 0
		.amdhsa_user_sgpr_kernarg_preload_length 0
		.amdhsa_user_sgpr_kernarg_preload_offset 0
		.amdhsa_user_sgpr_private_segment_size 0
		.amdhsa_wavefront_size32 1
		.amdhsa_uses_dynamic_stack 0
		.amdhsa_enable_private_segment 0
		.amdhsa_system_sgpr_workgroup_id_x 1
		.amdhsa_system_sgpr_workgroup_id_y 0
		.amdhsa_system_sgpr_workgroup_id_z 0
		.amdhsa_system_sgpr_workgroup_info 0
		.amdhsa_system_vgpr_workitem_id 0
		.amdhsa_next_free_vgpr 56
		.amdhsa_next_free_sgpr 48
		.amdhsa_named_barrier_count 0
		.amdhsa_reserve_vcc 1
		.amdhsa_float_round_mode_32 0
		.amdhsa_float_round_mode_16_64 0
		.amdhsa_float_denorm_mode_32 3
		.amdhsa_float_denorm_mode_16_64 3
		.amdhsa_fp16_overflow 0
		.amdhsa_memory_ordered 1
		.amdhsa_forward_progress 1
		.amdhsa_inst_pref_size 27
		.amdhsa_round_robin_scheduling 0
		.amdhsa_exception_fp_ieee_invalid_op 0
		.amdhsa_exception_fp_denorm_src 0
		.amdhsa_exception_fp_ieee_div_zero 0
		.amdhsa_exception_fp_ieee_overflow 0
		.amdhsa_exception_fp_ieee_underflow 0
		.amdhsa_exception_fp_ieee_inexact 0
		.amdhsa_exception_int_div_zero 0
	.end_amdhsa_kernel
	.section	.text._ZN9rocsparseL40csr2gebsr_block_per_row_multipass_kernelILj256ELj64ELj64EfEEv20rocsparse_direction_iiiiii21rocsparse_index_base_PKT2_PKiS7_S2_PS3_PiS9_,"axG",@progbits,_ZN9rocsparseL40csr2gebsr_block_per_row_multipass_kernelILj256ELj64ELj64EfEEv20rocsparse_direction_iiiiii21rocsparse_index_base_PKT2_PKiS7_S2_PS3_PiS9_,comdat
.Lfunc_end69:
	.size	_ZN9rocsparseL40csr2gebsr_block_per_row_multipass_kernelILj256ELj64ELj64EfEEv20rocsparse_direction_iiiiii21rocsparse_index_base_PKT2_PKiS7_S2_PS3_PiS9_, .Lfunc_end69-_ZN9rocsparseL40csr2gebsr_block_per_row_multipass_kernelILj256ELj64ELj64EfEEv20rocsparse_direction_iiiiii21rocsparse_index_base_PKT2_PKiS7_S2_PS3_PiS9_
                                        ; -- End function
	.set _ZN9rocsparseL40csr2gebsr_block_per_row_multipass_kernelILj256ELj64ELj64EfEEv20rocsparse_direction_iiiiii21rocsparse_index_base_PKT2_PKiS7_S2_PS3_PiS9_.num_vgpr, 56
	.set _ZN9rocsparseL40csr2gebsr_block_per_row_multipass_kernelILj256ELj64ELj64EfEEv20rocsparse_direction_iiiiii21rocsparse_index_base_PKT2_PKiS7_S2_PS3_PiS9_.num_agpr, 0
	.set _ZN9rocsparseL40csr2gebsr_block_per_row_multipass_kernelILj256ELj64ELj64EfEEv20rocsparse_direction_iiiiii21rocsparse_index_base_PKT2_PKiS7_S2_PS3_PiS9_.numbered_sgpr, 48
	.set _ZN9rocsparseL40csr2gebsr_block_per_row_multipass_kernelILj256ELj64ELj64EfEEv20rocsparse_direction_iiiiii21rocsparse_index_base_PKT2_PKiS7_S2_PS3_PiS9_.num_named_barrier, 0
	.set _ZN9rocsparseL40csr2gebsr_block_per_row_multipass_kernelILj256ELj64ELj64EfEEv20rocsparse_direction_iiiiii21rocsparse_index_base_PKT2_PKiS7_S2_PS3_PiS9_.private_seg_size, 0
	.set _ZN9rocsparseL40csr2gebsr_block_per_row_multipass_kernelILj256ELj64ELj64EfEEv20rocsparse_direction_iiiiii21rocsparse_index_base_PKT2_PKiS7_S2_PS3_PiS9_.uses_vcc, 1
	.set _ZN9rocsparseL40csr2gebsr_block_per_row_multipass_kernelILj256ELj64ELj64EfEEv20rocsparse_direction_iiiiii21rocsparse_index_base_PKT2_PKiS7_S2_PS3_PiS9_.uses_flat_scratch, 0
	.set _ZN9rocsparseL40csr2gebsr_block_per_row_multipass_kernelILj256ELj64ELj64EfEEv20rocsparse_direction_iiiiii21rocsparse_index_base_PKT2_PKiS7_S2_PS3_PiS9_.has_dyn_sized_stack, 0
	.set _ZN9rocsparseL40csr2gebsr_block_per_row_multipass_kernelILj256ELj64ELj64EfEEv20rocsparse_direction_iiiiii21rocsparse_index_base_PKT2_PKiS7_S2_PS3_PiS9_.has_recursion, 0
	.set _ZN9rocsparseL40csr2gebsr_block_per_row_multipass_kernelILj256ELj64ELj64EfEEv20rocsparse_direction_iiiiii21rocsparse_index_base_PKT2_PKiS7_S2_PS3_PiS9_.has_indirect_call, 0
	.section	.AMDGPU.csdata,"",@progbits
; Kernel info:
; codeLenInByte = 3416
; TotalNumSgprs: 50
; NumVgprs: 56
; ScratchSize: 0
; MemoryBound: 0
; FloatMode: 240
; IeeeMode: 1
; LDSByteSize: 16388 bytes/workgroup (compile time only)
; SGPRBlocks: 0
; VGPRBlocks: 3
; NumSGPRsForWavesPerEU: 50
; NumVGPRsForWavesPerEU: 56
; NamedBarCnt: 0
; Occupancy: 16
; WaveLimiterHint : 0
; COMPUTE_PGM_RSRC2:SCRATCH_EN: 0
; COMPUTE_PGM_RSRC2:USER_SGPR: 2
; COMPUTE_PGM_RSRC2:TRAP_HANDLER: 0
; COMPUTE_PGM_RSRC2:TGID_X_EN: 1
; COMPUTE_PGM_RSRC2:TGID_Y_EN: 0
; COMPUTE_PGM_RSRC2:TGID_Z_EN: 0
; COMPUTE_PGM_RSRC2:TIDIG_COMP_CNT: 0
	.section	.text._ZN9rocsparseL23csr2gebsr_65_inf_kernelILi32EfEEv20rocsparse_direction_iiiiiii21rocsparse_index_base_PKT0_PKiS7_S2_PS3_PiS9_S9_S8_,"axG",@progbits,_ZN9rocsparseL23csr2gebsr_65_inf_kernelILi32EfEEv20rocsparse_direction_iiiiiii21rocsparse_index_base_PKT0_PKiS7_S2_PS3_PiS9_S9_S8_,comdat
	.globl	_ZN9rocsparseL23csr2gebsr_65_inf_kernelILi32EfEEv20rocsparse_direction_iiiiiii21rocsparse_index_base_PKT0_PKiS7_S2_PS3_PiS9_S9_S8_ ; -- Begin function _ZN9rocsparseL23csr2gebsr_65_inf_kernelILi32EfEEv20rocsparse_direction_iiiiiii21rocsparse_index_base_PKT0_PKiS7_S2_PS3_PiS9_S9_S8_
	.p2align	8
	.type	_ZN9rocsparseL23csr2gebsr_65_inf_kernelILi32EfEEv20rocsparse_direction_iiiiiii21rocsparse_index_base_PKT0_PKiS7_S2_PS3_PiS9_S9_S8_,@function
_ZN9rocsparseL23csr2gebsr_65_inf_kernelILi32EfEEv20rocsparse_direction_iiiiiii21rocsparse_index_base_PKT0_PKiS7_S2_PS3_PiS9_S9_S8_: ; @_ZN9rocsparseL23csr2gebsr_65_inf_kernelILi32EfEEv20rocsparse_direction_iiiiiii21rocsparse_index_base_PKT0_PKiS7_S2_PS3_PiS9_S9_S8_
; %bb.0:
	s_clause 0x2
	s_load_b128 s[4:7], s[0:1], 0x0
	s_load_b64 s[2:3], s[0:1], 0x60
	s_load_b32 s24, s[0:1], 0x40
	s_bfe_u32 s8, ttmp6, 0x4000c
	s_and_b32 s9, ttmp6, 15
	s_add_co_i32 s8, s8, 1
	s_getreg_b32 s10, hwreg(HW_REG_IB_STS2, 6, 4)
	s_mul_i32 s8, ttmp9, s8
	s_delay_alu instid0(SALU_CYCLE_1)
	s_add_co_i32 s9, s9, s8
	s_cmp_eq_u32 s10, 0
	s_cselect_b32 s18, ttmp9, s9
	s_wait_kmcnt 0x0
	s_cmp_ge_i32 s18, s7
	s_mov_b32 s7, 0
	s_cbranch_scc1 .LBB70_2
; %bb.1:
	s_load_b64 s[8:9], s[0:1], 0x50
	s_ashr_i32 s19, s18, 31
	s_delay_alu instid0(SALU_CYCLE_1)
	s_lshl_b64 s[10:11], s[18:19], 2
	s_wait_kmcnt 0x0
	s_add_nc_u64 s[8:9], s[8:9], s[10:11]
	s_load_b32 s7, s[8:9], 0x0
	s_wait_kmcnt 0x0
	s_sub_co_i32 s7, s7, s24
.LBB70_2:
	s_load_b128 s[8:11], s[0:1], 0x14
	s_wait_kmcnt 0x0
	v_mul_lo_u32 v4, s10, v0
	s_mul_i32 s12, s18, s10
	s_lshl_b32 s22, s10, 5
	s_mulk_i32 s12, 0x60
	s_ashr_i32 s23, s22, 31
	s_ashr_i32 s13, s12, 31
	s_delay_alu instid0(SALU_CYCLE_1) | instskip(SKIP_3) | instid1(VALU_DEP_1)
	s_lshl_b64 s[12:13], s[12:13], 2
	s_cmp_gt_i32 s10, 0
	s_add_nc_u64 s[20:21], s[2:3], s[12:13]
	s_cselect_b32 s25, -1, 0
	v_ashrrev_i32_e32 v5, 31, v4
	s_cmp_lt_i32 s10, 1
	s_delay_alu instid0(VALU_DEP_1)
	v_lshl_add_u64 v[2:3], v[4:5], 2, s[20:21]
	s_cbranch_scc1 .LBB70_7
; %bb.3:
	s_load_b64 s[12:13], s[0:1], 0x30
	s_delay_alu instid0(VALU_DEP_1)
	v_mov_b64_e32 v[6:7], v[2:3]
	v_dual_mov_b32 v1, 0 :: v_dual_mov_b32 v12, v0
	s_mul_i32 s3, s8, s18
	s_lshl_b64 s[14:15], s[22:23], 2
	s_mov_b32 s16, s10
	s_branch .LBB70_5
.LBB70_4:                               ;   in Loop: Header=BB70_5 Depth=1
	s_wait_xcnt 0x0
	s_or_b32 exec_lo, exec_lo, s2
	v_add_nc_u64_e32 v[6:7], 4, v[6:7]
	v_add_nc_u32_e32 v12, 32, v12
	s_add_co_i32 s16, s16, -1
	s_delay_alu instid0(SALU_CYCLE_1)
	s_cmp_eq_u32 s16, 0
	s_cbranch_scc1 .LBB70_7
.LBB70_5:                               ; =>This Inner Loop Header: Depth=1
	s_delay_alu instid0(VALU_DEP_1) | instskip(NEXT) | instid1(VALU_DEP_3)
	v_add_nc_u32_e32 v10, s3, v12
	v_add_nc_u64_e32 v[8:9], s[14:15], v[6:7]
	v_cmp_gt_i32_e64 s2, s8, v12
	global_store_b32 v[6:7], v1, off
	v_cmp_gt_i32_e32 vcc_lo, s5, v10
	global_store_b32 v[8:9], v1, off
	s_and_b32 s17, vcc_lo, s2
	s_wait_xcnt 0x0
	s_and_saveexec_b32 s2, s17
	s_cbranch_execz .LBB70_4
; %bb.6:                                ;   in Loop: Header=BB70_5 Depth=1
	v_ashrrev_i32_e32 v11, 31, v10
	s_wait_kmcnt 0x0
	s_delay_alu instid0(VALU_DEP_1)
	v_lshl_add_u64 v[10:11], v[10:11], 2, s[12:13]
	global_load_b64 v[10:11], v[10:11], off
	s_wait_loadcnt 0x0
	v_subrev_nc_u32_e32 v10, s11, v10
	v_subrev_nc_u32_e32 v11, s11, v11
	s_clause 0x1
	global_store_b32 v[6:7], v10, off
	global_store_b32 v[8:9], v11, off
	s_branch .LBB70_4
.LBB70_7:
	s_cmp_lt_i32 s6, 1
	s_cbranch_scc1 .LBB70_37
; %bb.8:
	s_clause 0x1
	s_load_b64 s[26:27], s[0:1], 0x68
	s_load_b64 s[2:3], s[0:1], 0x58
	s_wait_kmcnt 0x0
	s_clause 0x2
	s_load_b64 s[12:13], s[0:1], 0x48
	s_load_b64 s[14:15], s[0:1], 0x28
	;; [unrolled: 1-line block ×3, first 2 shown]
	v_mbcnt_lo_u32_b32 v10, -1, 0
	v_lshlrev_b64_e32 v[8:9], 2, v[4:5]
	s_mul_i32 s18, s22, s18
	s_wait_xcnt 0x0
	s_lshl_b64 s[0:1], s[22:23], 2
	s_ashr_i32 s29, s10, 31
	v_xor_b32_e32 v11, 8, v10
	v_xor_b32_e32 v1, 16, v10
	s_mov_b32 s28, s10
	s_ashr_i32 s19, s18, 31
	s_add_nc_u64 s[0:1], s[20:21], s[0:1]
	s_lshl_b64 s[20:21], s[28:29], 7
	v_cmp_gt_i32_e32 vcc_lo, 32, v1
	s_lshl_b64 s[18:19], s[18:19], 2
	s_add_nc_u64 s[20:21], s[0:1], s[20:21]
	v_add_nc_u64_e32 v[4:5], s[0:1], v[8:9]
	s_add_nc_u64 s[0:1], s[26:27], s[18:19]
	v_dual_cndmask_b32 v1, v10, v1, vcc_lo :: v_dual_bitop2_b32 v12, 4, v10 bitop3:0x14
	s_cmp_lg_u32 s4, 0
	v_add_nc_u64_e32 v[6:7], s[20:21], v[8:9]
	v_add_nc_u64_e32 v[8:9], s[0:1], v[8:9]
	s_cselect_b32 s1, -1, 0
	s_abs_i32 s26, s9
	v_lshlrev_b32_e32 v1, 2, v1
	v_cmp_gt_i32_e32 vcc_lo, 32, v11
	s_cvt_f32_u32 s0, s26
	v_mul_lo_u32 v29, v0, s9
	s_sub_co_i32 s22, 0, s26
	s_ashr_i32 s21, s8, 31
	v_rcp_iflag_f32_e32 v15, s0
	v_cndmask_b32_e32 v11, v10, v11, vcc_lo
	v_cmp_gt_i32_e32 vcc_lo, 32, v12
	v_xor_b32_e32 v13, 2, v10
	s_mov_b32 s20, s8
	s_ashr_i32 s19, s9, 31
	s_mov_b32 s18, s9
	v_cndmask_b32_e32 v12, v10, v12, vcc_lo
	v_cmp_gt_i32_e32 vcc_lo, 32, v13
	v_xor_b32_e32 v14, 1, v10
	v_readfirstlane_b32 s4, v15
	v_lshlrev_b32_e32 v24, 2, v11
	v_cmp_eq_u32_e64 s0, 31, v0
	v_cndmask_b32_e32 v13, v10, v13, vcc_lo
	v_cmp_gt_i32_e32 vcc_lo, 32, v14
	s_mul_f32 s4, s4, 0x4f7ffffe
	v_dual_mov_b32 v28, 0x7c :: v_dual_lshlrev_b32 v25, 2, v12
	s_delay_alu instid0(VALU_DEP_3) | instskip(NEXT) | instid1(SALU_CYCLE_1)
	v_dual_lshlrev_b32 v26, 2, v13 :: v_dual_cndmask_b32 v10, v10, v14, vcc_lo
	s_cvt_u32_f32 s4, s4
	v_dual_mov_b32 v11, 0 :: v_dual_mov_b32 v30, 0
	v_mov_b32_e32 v31, 0
	s_delay_alu instid0(SALU_CYCLE_1)
	s_mul_i32 s22, s22, s4
	v_dual_mov_b32 v10, 0 :: v_dual_lshlrev_b32 v27, 2, v10
	s_mov_b32 s5, 0
	s_mul_u64 s[20:21], s[18:19], s[20:21]
	s_mul_hi_u32 s18, s4, s22
	s_add_co_i32 s27, s7, -1
	s_add_co_i32 s22, s4, s18
	s_mov_b32 s23, s5
	s_lshl_b32 s18, s9, 5
	s_mov_b32 s28, 0
	s_branch .LBB70_10
.LBB70_9:                               ;   in Loop: Header=BB70_10 Depth=1
	s_wait_dscnt 0x1
	v_add_nc_u32_e32 v10, 1, v32
	s_delay_alu instid0(VALU_DEP_1) | instskip(SKIP_1) | instid1(SALU_CYCLE_1)
	v_cmp_le_i32_e32 vcc_lo, s6, v10
	s_or_b32 s28, vcc_lo, s28
	s_and_not1_b32 exec_lo, exec_lo, s28
	s_cbranch_execz .LBB70_37
.LBB70_10:                              ; =>This Loop Header: Depth=1
                                        ;     Child Loop BB70_14 Depth 2
                                        ;       Child Loop BB70_17 Depth 3
                                        ;     Child Loop BB70_31 Depth 2
	v_mov_b32_e32 v32, s6
	s_and_not1_b32 vcc_lo, exec_lo, s25
	s_cbranch_vccnz .LBB70_23
; %bb.11:                               ;   in Loop: Header=BB70_10 Depth=1
	v_mov_b32_e32 v32, s6
	s_mov_b32 s4, 0
	s_branch .LBB70_14
.LBB70_12:                              ;   in Loop: Header=BB70_14 Depth=2
	s_wait_xcnt 0x0
	s_or_b32 exec_lo, exec_lo, s30
.LBB70_13:                              ;   in Loop: Header=BB70_14 Depth=2
	s_delay_alu instid0(SALU_CYCLE_1) | instskip(SKIP_1) | instid1(SALU_CYCLE_1)
	s_or_b32 exec_lo, exec_lo, s29
	s_add_co_i32 s4, s4, 1
	s_cmp_eq_u32 s4, s10
	s_cbranch_scc1 .LBB70_23
.LBB70_14:                              ;   Parent Loop BB70_10 Depth=1
                                        ; =>  This Loop Header: Depth=2
                                        ;       Child Loop BB70_17 Depth 3
	s_lshl_b64 s[30:31], s[4:5], 2
	v_mov_b32_e32 v18, s6
	v_add_nc_u64_e32 v[12:13], s[30:31], v[6:7]
	v_add_nc_u64_e32 v[14:15], s[30:31], v[2:3]
	;; [unrolled: 1-line block ×3, first 2 shown]
	s_mov_b32 s29, exec_lo
	s_clause 0x2
	global_store_b32 v[12:13], v18, off
	global_load_b32 v20, v[14:15], off
	global_load_b32 v34, v[16:17], off
	s_wait_xcnt 0x0
	v_add_nc_u64_e32 v[16:17], s[30:31], v[8:9]
	global_store_b32 v[16:17], v11, off
	s_wait_loadcnt 0x0
	s_wait_xcnt 0x0
	v_cmpx_lt_i32_e64 v20, v34
	s_cbranch_execz .LBB70_13
; %bb.15:                               ;   in Loop: Header=BB70_14 Depth=2
	v_ashrrev_i32_e32 v21, 31, v20
	s_mov_b32 s30, 0
                                        ; implicit-def: $sgpr31
                                        ; implicit-def: $sgpr34
                                        ; implicit-def: $sgpr33
	s_wait_kmcnt 0x0
	s_delay_alu instid0(VALU_DEP_1)
	v_lshl_add_u64 v[22:23], v[20:21], 2, s[16:17]
	s_branch .LBB70_17
.LBB70_16:                              ;   in Loop: Header=BB70_17 Depth=3
	s_or_b32 exec_lo, exec_lo, s35
	s_delay_alu instid0(SALU_CYCLE_1) | instskip(NEXT) | instid1(SALU_CYCLE_1)
	s_and_b32 s35, exec_lo, s34
	s_or_b32 s30, s35, s30
	s_and_not1_b32 s31, s31, exec_lo
	s_and_b32 s35, s33, exec_lo
	s_delay_alu instid0(SALU_CYCLE_1)
	s_or_b32 s31, s31, s35
	s_and_not1_b32 exec_lo, exec_lo, s30
	s_cbranch_execz .LBB70_19
.LBB70_17:                              ;   Parent Loop BB70_10 Depth=1
                                        ;     Parent Loop BB70_14 Depth=2
                                        ; =>    This Inner Loop Header: Depth=3
	global_load_b32 v18, v[22:23], off
	s_or_b32 s33, s33, exec_lo
	s_or_b32 s34, s34, exec_lo
	s_mov_b32 s35, exec_lo
	s_wait_loadcnt 0x0
	v_subrev_nc_u32_e32 v33, s11, v18
	v_mov_b64_e32 v[18:19], v[20:21]
                                        ; implicit-def: $vgpr20_vgpr21
	s_wait_xcnt 0x0
	s_delay_alu instid0(VALU_DEP_2)
	v_cmpx_lt_i32_e64 v33, v10
	s_cbranch_execz .LBB70_16
; %bb.18:                               ;   in Loop: Header=BB70_17 Depth=3
	s_delay_alu instid0(VALU_DEP_2) | instskip(SKIP_3) | instid1(VALU_DEP_2)
	v_add_nc_u64_e32 v[20:21], 1, v[18:19]
	v_add_nc_u64_e32 v[22:23], 4, v[22:23]
	s_and_not1_b32 s34, s34, exec_lo
	s_and_not1_b32 s33, s33, exec_lo
	v_cmp_ge_i32_e32 vcc_lo, v20, v34
	s_and_b32 s36, vcc_lo, exec_lo
	s_delay_alu instid0(SALU_CYCLE_1)
	s_or_b32 s34, s34, s36
	s_branch .LBB70_16
.LBB70_19:                              ;   in Loop: Header=BB70_14 Depth=2
	s_or_b32 exec_lo, exec_lo, s30
	v_lshl_add_u64 v[20:21], v[18:19], 2, s[14:15]
	s_xor_b32 s30, s31, -1
	s_delay_alu instid0(SALU_CYCLE_1) | instskip(NEXT) | instid1(SALU_CYCLE_1)
	s_and_saveexec_b32 s31, s30
	s_xor_b32 s30, exec_lo, s31
	s_cbranch_execz .LBB70_21
; %bb.20:                               ;   in Loop: Header=BB70_14 Depth=2
	global_load_b32 v14, v[20:21], off
                                        ; implicit-def: $vgpr20_vgpr21
	global_store_b32 v[12:13], v33, off
	s_wait_loadcnt 0x0
	global_store_b32 v[16:17], v14, off
                                        ; implicit-def: $vgpr12_vgpr13
                                        ; implicit-def: $vgpr16_vgpr17
                                        ; implicit-def: $vgpr14_vgpr15
.LBB70_21:                              ;   in Loop: Header=BB70_14 Depth=2
	s_wait_xcnt 0x0
	s_and_not1_saveexec_b32 s30, s30
	s_cbranch_execz .LBB70_12
; %bb.22:                               ;   in Loop: Header=BB70_14 Depth=2
	global_load_b32 v19, v[20:21], off
	v_min_i32_e32 v32, v33, v32
	global_store_b32 v[12:13], v33, off
	s_wait_loadcnt 0x0
	global_store_b32 v[16:17], v19, off
	global_store_b32 v[14:15], v18, off
	s_branch .LBB70_12
.LBB70_23:                              ;   in Loop: Header=BB70_10 Depth=1
	ds_bpermute_b32 v10, v1, v32
	s_wait_dscnt 0x0
	v_min_i32_e32 v10, v10, v32
	ds_bpermute_b32 v12, v24, v10
	s_wait_dscnt 0x0
	v_min_i32_e32 v10, v12, v10
	;; [unrolled: 3-line block ×5, first 2 shown]
	s_delay_alu instid0(VALU_DEP_1) | instskip(SKIP_1) | instid1(SALU_CYCLE_1)
	v_cmp_gt_i32_e32 vcc_lo, s6, v12
	s_and_b32 s29, s0, vcc_lo
	s_and_saveexec_b32 s4, s29
	s_cbranch_execz .LBB70_27
; %bb.24:                               ;   in Loop: Header=BB70_10 Depth=1
	v_sub_nc_u32_e32 v10, 0, v12
	s_mov_b32 s29, exec_lo
	s_delay_alu instid0(VALU_DEP_1) | instskip(NEXT) | instid1(VALU_DEP_1)
	v_max_i32_e32 v10, v12, v10
	v_mul_u64_e32 v[14:15], s[22:23], v[10:11]
	s_delay_alu instid0(VALU_DEP_1) | instskip(NEXT) | instid1(VALU_DEP_1)
	v_mul_lo_u32 v13, v15, s26
	v_dual_sub_nc_u32 v10, v10, v13 :: v_dual_add_nc_u32 v13, 1, v15
	s_delay_alu instid0(VALU_DEP_1) | instskip(NEXT) | instid1(VALU_DEP_2)
	v_cmp_le_u32_e32 vcc_lo, s26, v10
	v_dual_cndmask_b32 v13, v15, v13, vcc_lo :: v_dual_ashrrev_i32 v15, 31, v12
	v_subrev_nc_u32_e32 v14, s26, v10
	s_delay_alu instid0(VALU_DEP_1) | instskip(NEXT) | instid1(VALU_DEP_1)
	v_dual_cndmask_b32 v10, v10, v14, vcc_lo :: v_dual_add_nc_u32 v14, 1, v13
	v_cmp_le_u32_e32 vcc_lo, s26, v10
	s_delay_alu instid0(VALU_DEP_2) | instskip(NEXT) | instid1(VALU_DEP_1)
	v_dual_cndmask_b32 v10, v13, v14, vcc_lo :: v_dual_bitop2_b32 v15, s19, v15 bitop3:0x14
	v_xor_b32_e32 v10, v10, v15
	s_delay_alu instid0(VALU_DEP_1) | instskip(NEXT) | instid1(VALU_DEP_1)
	v_sub_nc_u32_e32 v10, v10, v15
	v_cmpx_ge_i32_e64 v10, v30
	s_cbranch_execz .LBB70_26
; %bb.25:                               ;   in Loop: Header=BB70_10 Depth=1
	v_dual_add_nc_u32 v13, 1, v31 :: v_dual_add_nc_u32 v30, 1, v10
	v_dual_add_nc_u32 v14, s7, v31 :: v_dual_add_nc_u32 v10, s24, v10
	s_delay_alu instid0(VALU_DEP_2)
	v_mov_b32_e32 v31, v13
	global_store_b32 v14, v10, s[2:3] scale_offset
.LBB70_26:                              ;   in Loop: Header=BB70_10 Depth=1
	s_wait_xcnt 0x0
	s_or_b32 exec_lo, exec_lo, s29
.LBB70_27:                              ;   in Loop: Header=BB70_10 Depth=1
	s_delay_alu instid0(SALU_CYCLE_1)
	s_or_b32 exec_lo, exec_lo, s4
	ds_bpermute_b32 v32, v28, v12
	ds_bpermute_b32 v31, v28, v31
	s_and_not1_b32 vcc_lo, exec_lo, s25
	s_cbranch_vccnz .LBB70_9
; %bb.28:                               ;   in Loop: Header=BB70_10 Depth=1
	s_wait_dscnt 0x0
	v_dual_sub_nc_u32 v10, 0, v32 :: v_dual_add_nc_u32 v14, s27, v31
	s_mov_b32 s4, s10
	v_dual_mov_b32 v16, v0 :: v_dual_mov_b32 v34, v29
	s_delay_alu instid0(VALU_DEP_2) | instskip(NEXT) | instid1(VALU_DEP_1)
	v_max_i32_e32 v10, v32, v10
	v_mul_u64_e32 v[12:13], s[22:23], v[10:11]
	s_delay_alu instid0(VALU_DEP_1) | instskip(NEXT) | instid1(VALU_DEP_1)
	v_mul_lo_u32 v12, v13, s26
	v_dual_ashrrev_i32 v15, 31, v14 :: v_dual_sub_nc_u32 v10, v10, v12
	s_delay_alu instid0(VALU_DEP_1) | instskip(SKIP_1) | instid1(VALU_DEP_3)
	v_mul_u64_e32 v[18:19], s[20:21], v[14:15]
	v_add_nc_u32_e32 v12, 1, v13
	v_subrev_nc_u32_e32 v14, s26, v10
	v_cmp_le_u32_e32 vcc_lo, s26, v10
	s_delay_alu instid0(VALU_DEP_2) | instskip(NEXT) | instid1(VALU_DEP_1)
	v_dual_cndmask_b32 v12, v13, v12, vcc_lo :: v_dual_cndmask_b32 v10, v10, v14, vcc_lo
	v_add_nc_u32_e32 v14, 1, v12
	s_delay_alu instid0(VALU_DEP_2) | instskip(NEXT) | instid1(VALU_DEP_2)
	v_cmp_le_u32_e32 vcc_lo, s26, v10
	v_dual_cndmask_b32 v10, v12, v14 :: v_dual_ashrrev_i32 v13, 31, v32
	s_delay_alu instid0(VALU_DEP_1) | instskip(SKIP_2) | instid1(VALU_DEP_3)
	v_xor_b32_e32 v17, s19, v13
	v_mov_b64_e32 v[12:13], v[8:9]
	v_mov_b64_e32 v[14:15], v[6:7]
	v_xor_b32_e32 v10, v10, v17
	s_delay_alu instid0(VALU_DEP_1)
	v_sub_nc_u32_e32 v33, v10, v17
	s_wait_kmcnt 0x0
	v_lshl_add_u64 v[18:19], v[18:19], 2, s[12:13]
	s_branch .LBB70_31
.LBB70_29:                              ;   in Loop: Header=BB70_31 Depth=2
	s_delay_alu instid0(VALU_DEP_3) | instskip(NEXT) | instid1(VALU_DEP_1)
	v_ashrrev_i32_e32 v23, 31, v22
	v_lshl_add_u64 v[22:23], v[22:23], 2, v[18:19]
	s_delay_alu instid0(VALU_DEP_1)
	v_lshl_add_u64 v[20:21], v[20:21], 2, v[22:23]
	s_wait_loadcnt 0x0
	global_store_b32 v[20:21], v35, off
.LBB70_30:                              ;   in Loop: Header=BB70_31 Depth=2
	s_wait_xcnt 0x0
	s_or_b32 exec_lo, exec_lo, s29
	v_add_nc_u64_e32 v[14:15], 4, v[14:15]
	v_add_nc_u64_e32 v[12:13], 4, v[12:13]
	v_dual_add_nc_u32 v34, s18, v34 :: v_dual_add_nc_u32 v16, 32, v16
	s_add_co_i32 s4, s4, -1
	s_delay_alu instid0(SALU_CYCLE_1)
	s_cmp_eq_u32 s4, 0
	s_cbranch_scc1 .LBB70_9
.LBB70_31:                              ;   Parent Loop BB70_10 Depth=1
                                        ; =>  This Inner Loop Header: Depth=2
	global_load_b32 v17, v[14:15], off
	s_mov_b32 s29, exec_lo
	s_wait_loadcnt 0x0
	v_cmpx_gt_i32_e64 s6, v17
	s_cbranch_execz .LBB70_30
; %bb.32:                               ;   in Loop: Header=BB70_31 Depth=2
	v_dual_sub_nc_u32 v10, 0, v17 :: v_dual_ashrrev_i32 v23, 31, v17
	s_delay_alu instid0(VALU_DEP_1) | instskip(NEXT) | instid1(VALU_DEP_1)
	v_max_i32_e32 v10, v17, v10
	v_mul_u64_e32 v[20:21], s[22:23], v[10:11]
	s_delay_alu instid0(VALU_DEP_1) | instskip(NEXT) | instid1(VALU_DEP_1)
	v_mul_lo_u32 v20, v21, s26
	v_dual_add_nc_u32 v22, 1, v21 :: v_dual_sub_nc_u32 v20, v10, v20
	s_delay_alu instid0(VALU_DEP_1) | instskip(SKIP_1) | instid1(VALU_DEP_2)
	v_subrev_nc_u32_e32 v35, s26, v20
	v_cmp_le_u32_e32 vcc_lo, s26, v20
	v_dual_cndmask_b32 v21, v21, v22 :: v_dual_cndmask_b32 v20, v20, v35
	s_delay_alu instid0(VALU_DEP_1) | instskip(NEXT) | instid1(VALU_DEP_2)
	v_add_nc_u32_e32 v22, 1, v21
	v_cmp_le_u32_e32 vcc_lo, s26, v20
	s_delay_alu instid0(VALU_DEP_2) | instskip(NEXT) | instid1(VALU_DEP_1)
	v_dual_cndmask_b32 v20, v21, v22, vcc_lo :: v_dual_bitop2_b32 v35, s19, v23 bitop3:0x14
	v_xor_b32_e32 v20, v20, v35
	s_delay_alu instid0(VALU_DEP_1) | instskip(NEXT) | instid1(VALU_DEP_1)
	v_sub_nc_u32_e32 v20, v20, v35
	v_cmp_eq_u32_e32 vcc_lo, v20, v33
	s_and_b32 exec_lo, exec_lo, vcc_lo
	s_cbranch_execz .LBB70_30
; %bb.33:                               ;   in Loop: Header=BB70_31 Depth=2
	global_load_b32 v35, v[12:13], off
	s_and_b32 vcc_lo, exec_lo, s1
	s_cbranch_vccz .LBB70_35
; %bb.34:                               ;   in Loop: Header=BB70_31 Depth=2
	v_mul_lo_u32 v20, v33, s9
	s_delay_alu instid0(VALU_DEP_1) | instskip(NEXT) | instid1(VALU_DEP_1)
	v_sub_nc_u32_e32 v17, v17, v20
	v_mul_lo_u32 v22, v17, s8
	v_mov_b32_e32 v17, v11
	s_delay_alu instid0(VALU_DEP_1)
	v_mov_b64_e32 v[20:21], v[16:17]
	s_cbranch_execnz .LBB70_29
	s_branch .LBB70_36
.LBB70_35:                              ;   in Loop: Header=BB70_31 Depth=2
                                        ; implicit-def: $vgpr20_vgpr21
                                        ; implicit-def: $vgpr22
.LBB70_36:                              ;   in Loop: Header=BB70_31 Depth=2
	v_mul_u64_e32 v[20:21], s[22:23], v[10:11]
	v_mov_b32_e32 v22, v34
	s_delay_alu instid0(VALU_DEP_2) | instskip(NEXT) | instid1(VALU_DEP_1)
	v_mul_lo_u32 v17, v21, s26
	v_sub_nc_u32_e32 v10, v10, v17
	s_delay_alu instid0(VALU_DEP_1) | instskip(SKIP_1) | instid1(VALU_DEP_2)
	v_subrev_nc_u32_e32 v17, s26, v10
	v_cmp_le_u32_e32 vcc_lo, s26, v10
	v_cndmask_b32_e32 v10, v10, v17, vcc_lo
	s_delay_alu instid0(VALU_DEP_1) | instskip(SKIP_1) | instid1(VALU_DEP_2)
	v_subrev_nc_u32_e32 v17, s26, v10
	v_cmp_le_u32_e32 vcc_lo, s26, v10
	v_cndmask_b32_e32 v10, v10, v17, vcc_lo
	s_delay_alu instid0(VALU_DEP_1) | instskip(NEXT) | instid1(VALU_DEP_1)
	v_xor_b32_e32 v10, v10, v23
	v_sub_nc_u32_e32 v20, v10, v23
	s_delay_alu instid0(VALU_DEP_1)
	v_ashrrev_i32_e32 v21, 31, v20
	s_branch .LBB70_29
.LBB70_37:
	s_endpgm
	.section	.rodata,"a",@progbits
	.p2align	6, 0x0
	.amdhsa_kernel _ZN9rocsparseL23csr2gebsr_65_inf_kernelILi32EfEEv20rocsparse_direction_iiiiiii21rocsparse_index_base_PKT0_PKiS7_S2_PS3_PiS9_S9_S8_
		.amdhsa_group_segment_fixed_size 0
		.amdhsa_private_segment_fixed_size 0
		.amdhsa_kernarg_size 112
		.amdhsa_user_sgpr_count 2
		.amdhsa_user_sgpr_dispatch_ptr 0
		.amdhsa_user_sgpr_queue_ptr 0
		.amdhsa_user_sgpr_kernarg_segment_ptr 1
		.amdhsa_user_sgpr_dispatch_id 0
		.amdhsa_user_sgpr_kernarg_preload_length 0
		.amdhsa_user_sgpr_kernarg_preload_offset 0
		.amdhsa_user_sgpr_private_segment_size 0
		.amdhsa_wavefront_size32 1
		.amdhsa_uses_dynamic_stack 0
		.amdhsa_enable_private_segment 0
		.amdhsa_system_sgpr_workgroup_id_x 1
		.amdhsa_system_sgpr_workgroup_id_y 0
		.amdhsa_system_sgpr_workgroup_id_z 0
		.amdhsa_system_sgpr_workgroup_info 0
		.amdhsa_system_vgpr_workitem_id 0
		.amdhsa_next_free_vgpr 36
		.amdhsa_next_free_sgpr 37
		.amdhsa_named_barrier_count 0
		.amdhsa_reserve_vcc 1
		.amdhsa_float_round_mode_32 0
		.amdhsa_float_round_mode_16_64 0
		.amdhsa_float_denorm_mode_32 3
		.amdhsa_float_denorm_mode_16_64 3
		.amdhsa_fp16_overflow 0
		.amdhsa_memory_ordered 1
		.amdhsa_forward_progress 1
		.amdhsa_inst_pref_size 17
		.amdhsa_round_robin_scheduling 0
		.amdhsa_exception_fp_ieee_invalid_op 0
		.amdhsa_exception_fp_denorm_src 0
		.amdhsa_exception_fp_ieee_div_zero 0
		.amdhsa_exception_fp_ieee_overflow 0
		.amdhsa_exception_fp_ieee_underflow 0
		.amdhsa_exception_fp_ieee_inexact 0
		.amdhsa_exception_int_div_zero 0
	.end_amdhsa_kernel
	.section	.text._ZN9rocsparseL23csr2gebsr_65_inf_kernelILi32EfEEv20rocsparse_direction_iiiiiii21rocsparse_index_base_PKT0_PKiS7_S2_PS3_PiS9_S9_S8_,"axG",@progbits,_ZN9rocsparseL23csr2gebsr_65_inf_kernelILi32EfEEv20rocsparse_direction_iiiiiii21rocsparse_index_base_PKT0_PKiS7_S2_PS3_PiS9_S9_S8_,comdat
.Lfunc_end70:
	.size	_ZN9rocsparseL23csr2gebsr_65_inf_kernelILi32EfEEv20rocsparse_direction_iiiiiii21rocsparse_index_base_PKT0_PKiS7_S2_PS3_PiS9_S9_S8_, .Lfunc_end70-_ZN9rocsparseL23csr2gebsr_65_inf_kernelILi32EfEEv20rocsparse_direction_iiiiiii21rocsparse_index_base_PKT0_PKiS7_S2_PS3_PiS9_S9_S8_
                                        ; -- End function
	.set _ZN9rocsparseL23csr2gebsr_65_inf_kernelILi32EfEEv20rocsparse_direction_iiiiiii21rocsparse_index_base_PKT0_PKiS7_S2_PS3_PiS9_S9_S8_.num_vgpr, 36
	.set _ZN9rocsparseL23csr2gebsr_65_inf_kernelILi32EfEEv20rocsparse_direction_iiiiiii21rocsparse_index_base_PKT0_PKiS7_S2_PS3_PiS9_S9_S8_.num_agpr, 0
	.set _ZN9rocsparseL23csr2gebsr_65_inf_kernelILi32EfEEv20rocsparse_direction_iiiiiii21rocsparse_index_base_PKT0_PKiS7_S2_PS3_PiS9_S9_S8_.numbered_sgpr, 37
	.set _ZN9rocsparseL23csr2gebsr_65_inf_kernelILi32EfEEv20rocsparse_direction_iiiiiii21rocsparse_index_base_PKT0_PKiS7_S2_PS3_PiS9_S9_S8_.num_named_barrier, 0
	.set _ZN9rocsparseL23csr2gebsr_65_inf_kernelILi32EfEEv20rocsparse_direction_iiiiiii21rocsparse_index_base_PKT0_PKiS7_S2_PS3_PiS9_S9_S8_.private_seg_size, 0
	.set _ZN9rocsparseL23csr2gebsr_65_inf_kernelILi32EfEEv20rocsparse_direction_iiiiiii21rocsparse_index_base_PKT0_PKiS7_S2_PS3_PiS9_S9_S8_.uses_vcc, 1
	.set _ZN9rocsparseL23csr2gebsr_65_inf_kernelILi32EfEEv20rocsparse_direction_iiiiiii21rocsparse_index_base_PKT0_PKiS7_S2_PS3_PiS9_S9_S8_.uses_flat_scratch, 0
	.set _ZN9rocsparseL23csr2gebsr_65_inf_kernelILi32EfEEv20rocsparse_direction_iiiiiii21rocsparse_index_base_PKT0_PKiS7_S2_PS3_PiS9_S9_S8_.has_dyn_sized_stack, 0
	.set _ZN9rocsparseL23csr2gebsr_65_inf_kernelILi32EfEEv20rocsparse_direction_iiiiiii21rocsparse_index_base_PKT0_PKiS7_S2_PS3_PiS9_S9_S8_.has_recursion, 0
	.set _ZN9rocsparseL23csr2gebsr_65_inf_kernelILi32EfEEv20rocsparse_direction_iiiiiii21rocsparse_index_base_PKT0_PKiS7_S2_PS3_PiS9_S9_S8_.has_indirect_call, 0
	.section	.AMDGPU.csdata,"",@progbits
; Kernel info:
; codeLenInByte = 2144
; TotalNumSgprs: 39
; NumVgprs: 36
; ScratchSize: 0
; MemoryBound: 0
; FloatMode: 240
; IeeeMode: 1
; LDSByteSize: 0 bytes/workgroup (compile time only)
; SGPRBlocks: 0
; VGPRBlocks: 2
; NumSGPRsForWavesPerEU: 39
; NumVGPRsForWavesPerEU: 36
; NamedBarCnt: 0
; Occupancy: 16
; WaveLimiterHint : 0
; COMPUTE_PGM_RSRC2:SCRATCH_EN: 0
; COMPUTE_PGM_RSRC2:USER_SGPR: 2
; COMPUTE_PGM_RSRC2:TRAP_HANDLER: 0
; COMPUTE_PGM_RSRC2:TGID_X_EN: 1
; COMPUTE_PGM_RSRC2:TGID_Y_EN: 0
; COMPUTE_PGM_RSRC2:TGID_Z_EN: 0
; COMPUTE_PGM_RSRC2:TIDIG_COMP_CNT: 0
	.section	.text._ZN9rocsparseL20csr2gebsr_kernel_bm1ILi256EdEEviiii21rocsparse_index_base_PKT0_PKiS6_20rocsparse_direction_S1_PS2_S6_Piii,"axG",@progbits,_ZN9rocsparseL20csr2gebsr_kernel_bm1ILi256EdEEviiii21rocsparse_index_base_PKT0_PKiS6_20rocsparse_direction_S1_PS2_S6_Piii,comdat
	.globl	_ZN9rocsparseL20csr2gebsr_kernel_bm1ILi256EdEEviiii21rocsparse_index_base_PKT0_PKiS6_20rocsparse_direction_S1_PS2_S6_Piii ; -- Begin function _ZN9rocsparseL20csr2gebsr_kernel_bm1ILi256EdEEviiii21rocsparse_index_base_PKT0_PKiS6_20rocsparse_direction_S1_PS2_S6_Piii
	.p2align	8
	.type	_ZN9rocsparseL20csr2gebsr_kernel_bm1ILi256EdEEviiii21rocsparse_index_base_PKT0_PKiS6_20rocsparse_direction_S1_PS2_S6_Piii,@function
_ZN9rocsparseL20csr2gebsr_kernel_bm1ILi256EdEEviiii21rocsparse_index_base_PKT0_PKiS6_20rocsparse_direction_S1_PS2_S6_Piii: ; @_ZN9rocsparseL20csr2gebsr_kernel_bm1ILi256EdEEviiii21rocsparse_index_base_PKT0_PKiS6_20rocsparse_direction_S1_PS2_S6_Piii
; %bb.0:
	s_load_b32 s2, s[0:1], 0x0
	s_bfe_u32 s3, ttmp6, 0x4000c
	s_and_b32 s4, ttmp6, 15
	s_add_co_i32 s3, s3, 1
	s_getreg_b32 s5, hwreg(HW_REG_IB_STS2, 6, 4)
	s_mul_i32 s3, ttmp9, s3
	s_delay_alu instid0(SALU_CYCLE_1) | instskip(SKIP_2) | instid1(SALU_CYCLE_1)
	s_add_co_i32 s4, s4, s3
	s_cmp_eq_u32 s5, 0
	s_cselect_b32 s3, ttmp9, s4
	v_lshl_or_b32 v4, s3, 8, v0
	s_wait_kmcnt 0x0
	s_delay_alu instid0(VALU_DEP_1)
	v_cmp_gt_i32_e32 vcc_lo, s2, v4
	s_and_saveexec_b32 s2, vcc_lo
	s_cbranch_execz .LBB71_6
; %bb.1:
	s_load_b128 s[16:19], s[0:1], 0x18
	v_ashrrev_i32_e32 v5, 31, v4
	s_wait_kmcnt 0x0
	s_delay_alu instid0(VALU_DEP_1)
	v_lshl_add_u64 v[0:1], v[4:5], 2, s[18:19]
	global_load_b64 v[2:3], v[0:1], off
	s_wait_loadcnt 0x0
	v_cmp_lt_i32_e32 vcc_lo, v2, v3
	s_and_b32 exec_lo, exec_lo, vcc_lo
	s_cbranch_execz .LBB71_6
; %bb.2:
	s_clause 0x1
	s_load_b256 s[4:11], s[0:1], 0x28
	s_load_b128 s[12:15], s[0:1], 0x48
	s_wait_kmcnt 0x0
	v_lshl_add_u64 v[4:5], v[4:5], 2, s[10:11]
	s_ashr_i32 s19, s14, 31
	s_ashr_i32 s3, s15, 31
	s_cmp_eq_u32 s6, 0
	s_load_b32 s6, s[0:1], 0x10
	global_load_b32 v6, v[4:5], off
	s_cselect_b32 s10, s14, 1
	s_abs_i32 s11, s15
	s_mov_b32 s18, s14
	s_cvt_f32_u32 s0, s11
	s_sub_co_i32 s2, 0, s11
	s_mov_b32 s1, 0
	s_wait_xcnt 0x0
	v_rcp_iflag_f32_e32 v4, s0
	v_nop
	s_delay_alu instid0(TRANS32_DEP_1) | instskip(SKIP_3) | instid1(VALU_DEP_1)
	v_readfirstlane_b32 s0, v4
	s_wait_kmcnt 0x0
	v_subrev_nc_u32_e32 v4, s6, v2
	s_mul_f32 s0, s0, 0x4f7ffffe
	v_dual_mov_b32 v14, -1 :: v_dual_ashrrev_i32 v5, 31, v4
	s_delay_alu instid0(SALU_CYCLE_2) | instskip(NEXT) | instid1(SALU_CYCLE_3)
	s_cvt_u32_f32 s0, s0
	s_mul_i32 s14, s2, s0
	s_delay_alu instid0(VALU_DEP_1) | instskip(SKIP_2) | instid1(SALU_CYCLE_1)
	v_lshl_add_u64 v[8:9], v[4:5], 3, s[16:17]
	s_mov_b32 s2, s15
	s_mul_hi_u32 s14, s0, s14
	s_add_co_i32 s0, s0, s14
	s_wait_loadcnt 0x0
	v_xad_u32 v2, s7, -1, v6
	v_lshl_add_u64 v[6:7], v[4:5], 2, s[4:5]
	v_mov_b32_e32 v11, 0
	s_mul_u64 s[4:5], s[2:3], s[18:19]
	s_mov_b32 s2, s1
	v_mov_b32_e32 v12, v2
	s_branch .LBB71_4
.LBB71_3:                               ;   in Loop: Header=BB71_4 Depth=1
	s_wait_xcnt 0x0
	s_or_b32 exec_lo, exec_lo, s14
	global_load_b64 v[16:17], v[8:9], off
	v_mul_lo_u32 v10, v10, s15
	v_ashrrev_i32_e32 v13, 31, v12
	v_add_nc_u32_e32 v4, 1, v4
	v_add_nc_u64_e32 v[6:7], 4, v[6:7]
	s_wait_xcnt 0x0
	v_add_nc_u64_e32 v[8:9], 8, v[8:9]
	v_sub_nc_u32_e32 v5, v5, v10
	v_mul_u64_e32 v[18:19], s[4:5], v[12:13]
	s_delay_alu instid0(VALU_DEP_2) | instskip(SKIP_2) | instid1(VALU_DEP_1)
	v_mul_lo_u32 v20, v5, s10
	s_wait_loadcnt 0x1
	v_subrev_nc_u32_e32 v5, s6, v3
	v_cmp_ge_i32_e32 vcc_lo, v4, v5
	s_or_b32 s2, vcc_lo, s2
	s_delay_alu instid0(VALU_DEP_3) | instskip(SKIP_1) | instid1(VALU_DEP_1)
	v_ashrrev_i32_e32 v21, 31, v20
	v_lshl_add_u64 v[18:19], v[18:19], 3, s[8:9]
	v_lshl_add_u64 v[18:19], v[20:21], 3, v[18:19]
	s_wait_loadcnt 0x0
	global_store_b64 v[18:19], v[16:17], off
	s_wait_xcnt 0x0
	s_and_not1_b32 exec_lo, exec_lo, s2
	s_cbranch_execz .LBB71_6
.LBB71_4:                               ; =>This Inner Loop Header: Depth=1
	global_load_b32 v5, v[6:7], off
	s_mov_b32 s14, exec_lo
	s_wait_loadcnt 0x0
	v_subrev_nc_u32_e32 v5, s6, v5
	s_delay_alu instid0(VALU_DEP_1) | instskip(NEXT) | instid1(VALU_DEP_1)
	v_sub_nc_u32_e32 v10, 0, v5
	v_max_i32_e32 v10, v5, v10
	s_delay_alu instid0(VALU_DEP_1) | instskip(SKIP_1) | instid1(VALU_DEP_2)
	v_mul_u64_e32 v[16:17], s[0:1], v[10:11]
	v_ashrrev_i32_e32 v16, 31, v5
	v_mul_lo_u32 v13, v17, s11
	s_delay_alu instid0(VALU_DEP_1) | instskip(SKIP_1) | instid1(VALU_DEP_2)
	v_sub_nc_u32_e32 v10, v10, v13
	v_add_nc_u32_e32 v13, 1, v17
	v_cmp_le_u32_e32 vcc_lo, s11, v10
	s_delay_alu instid0(VALU_DEP_2) | instskip(SKIP_1) | instid1(VALU_DEP_1)
	v_cndmask_b32_e32 v13, v17, v13, vcc_lo
	v_subrev_nc_u32_e32 v15, s11, v10
	v_dual_cndmask_b32 v10, v10, v15 :: v_dual_add_nc_u32 v15, 1, v13
	s_delay_alu instid0(VALU_DEP_1) | instskip(NEXT) | instid1(VALU_DEP_2)
	v_cmp_le_u32_e32 vcc_lo, s11, v10
	v_dual_cndmask_b32 v10, v13, v15, vcc_lo :: v_dual_bitop2_b32 v16, s3, v16 bitop3:0x14
	s_delay_alu instid0(VALU_DEP_1) | instskip(NEXT) | instid1(VALU_DEP_1)
	v_xor_b32_e32 v10, v10, v16
	v_sub_nc_u32_e32 v10, v10, v16
	s_wait_xcnt 0x0
	s_delay_alu instid0(VALU_DEP_1)
	v_cmpx_ne_u32_e64 v10, v14
	s_cbranch_execz .LBB71_3
; %bb.5:                                ;   in Loop: Header=BB71_4 Depth=1
	v_dual_add_nc_u32 v3, s7, v10 :: v_dual_add_nc_u32 v12, 1, v12
	v_mov_b32_e32 v14, v10
	global_store_b32 v2, v3, s[12:13] offset:4 scale_offset
	global_load_b32 v3, v[0:1], off offset:4
	v_add_nc_u32_e32 v2, 1, v2
	s_branch .LBB71_3
.LBB71_6:
	s_endpgm
	.section	.rodata,"a",@progbits
	.p2align	6, 0x0
	.amdhsa_kernel _ZN9rocsparseL20csr2gebsr_kernel_bm1ILi256EdEEviiii21rocsparse_index_base_PKT0_PKiS6_20rocsparse_direction_S1_PS2_S6_Piii
		.amdhsa_group_segment_fixed_size 0
		.amdhsa_private_segment_fixed_size 0
		.amdhsa_kernarg_size 88
		.amdhsa_user_sgpr_count 2
		.amdhsa_user_sgpr_dispatch_ptr 0
		.amdhsa_user_sgpr_queue_ptr 0
		.amdhsa_user_sgpr_kernarg_segment_ptr 1
		.amdhsa_user_sgpr_dispatch_id 0
		.amdhsa_user_sgpr_kernarg_preload_length 0
		.amdhsa_user_sgpr_kernarg_preload_offset 0
		.amdhsa_user_sgpr_private_segment_size 0
		.amdhsa_wavefront_size32 1
		.amdhsa_uses_dynamic_stack 0
		.amdhsa_enable_private_segment 0
		.amdhsa_system_sgpr_workgroup_id_x 1
		.amdhsa_system_sgpr_workgroup_id_y 0
		.amdhsa_system_sgpr_workgroup_id_z 0
		.amdhsa_system_sgpr_workgroup_info 0
		.amdhsa_system_vgpr_workitem_id 0
		.amdhsa_next_free_vgpr 22
		.amdhsa_next_free_sgpr 20
		.amdhsa_named_barrier_count 0
		.amdhsa_reserve_vcc 1
		.amdhsa_float_round_mode_32 0
		.amdhsa_float_round_mode_16_64 0
		.amdhsa_float_denorm_mode_32 3
		.amdhsa_float_denorm_mode_16_64 3
		.amdhsa_fp16_overflow 0
		.amdhsa_memory_ordered 1
		.amdhsa_forward_progress 1
		.amdhsa_inst_pref_size 6
		.amdhsa_round_robin_scheduling 0
		.amdhsa_exception_fp_ieee_invalid_op 0
		.amdhsa_exception_fp_denorm_src 0
		.amdhsa_exception_fp_ieee_div_zero 0
		.amdhsa_exception_fp_ieee_overflow 0
		.amdhsa_exception_fp_ieee_underflow 0
		.amdhsa_exception_fp_ieee_inexact 0
		.amdhsa_exception_int_div_zero 0
	.end_amdhsa_kernel
	.section	.text._ZN9rocsparseL20csr2gebsr_kernel_bm1ILi256EdEEviiii21rocsparse_index_base_PKT0_PKiS6_20rocsparse_direction_S1_PS2_S6_Piii,"axG",@progbits,_ZN9rocsparseL20csr2gebsr_kernel_bm1ILi256EdEEviiii21rocsparse_index_base_PKT0_PKiS6_20rocsparse_direction_S1_PS2_S6_Piii,comdat
.Lfunc_end71:
	.size	_ZN9rocsparseL20csr2gebsr_kernel_bm1ILi256EdEEviiii21rocsparse_index_base_PKT0_PKiS6_20rocsparse_direction_S1_PS2_S6_Piii, .Lfunc_end71-_ZN9rocsparseL20csr2gebsr_kernel_bm1ILi256EdEEviiii21rocsparse_index_base_PKT0_PKiS6_20rocsparse_direction_S1_PS2_S6_Piii
                                        ; -- End function
	.set _ZN9rocsparseL20csr2gebsr_kernel_bm1ILi256EdEEviiii21rocsparse_index_base_PKT0_PKiS6_20rocsparse_direction_S1_PS2_S6_Piii.num_vgpr, 22
	.set _ZN9rocsparseL20csr2gebsr_kernel_bm1ILi256EdEEviiii21rocsparse_index_base_PKT0_PKiS6_20rocsparse_direction_S1_PS2_S6_Piii.num_agpr, 0
	.set _ZN9rocsparseL20csr2gebsr_kernel_bm1ILi256EdEEviiii21rocsparse_index_base_PKT0_PKiS6_20rocsparse_direction_S1_PS2_S6_Piii.numbered_sgpr, 20
	.set _ZN9rocsparseL20csr2gebsr_kernel_bm1ILi256EdEEviiii21rocsparse_index_base_PKT0_PKiS6_20rocsparse_direction_S1_PS2_S6_Piii.num_named_barrier, 0
	.set _ZN9rocsparseL20csr2gebsr_kernel_bm1ILi256EdEEviiii21rocsparse_index_base_PKT0_PKiS6_20rocsparse_direction_S1_PS2_S6_Piii.private_seg_size, 0
	.set _ZN9rocsparseL20csr2gebsr_kernel_bm1ILi256EdEEviiii21rocsparse_index_base_PKT0_PKiS6_20rocsparse_direction_S1_PS2_S6_Piii.uses_vcc, 1
	.set _ZN9rocsparseL20csr2gebsr_kernel_bm1ILi256EdEEviiii21rocsparse_index_base_PKT0_PKiS6_20rocsparse_direction_S1_PS2_S6_Piii.uses_flat_scratch, 0
	.set _ZN9rocsparseL20csr2gebsr_kernel_bm1ILi256EdEEviiii21rocsparse_index_base_PKT0_PKiS6_20rocsparse_direction_S1_PS2_S6_Piii.has_dyn_sized_stack, 0
	.set _ZN9rocsparseL20csr2gebsr_kernel_bm1ILi256EdEEviiii21rocsparse_index_base_PKT0_PKiS6_20rocsparse_direction_S1_PS2_S6_Piii.has_recursion, 0
	.set _ZN9rocsparseL20csr2gebsr_kernel_bm1ILi256EdEEviiii21rocsparse_index_base_PKT0_PKiS6_20rocsparse_direction_S1_PS2_S6_Piii.has_indirect_call, 0
	.section	.AMDGPU.csdata,"",@progbits
; Kernel info:
; codeLenInByte = 672
; TotalNumSgprs: 22
; NumVgprs: 22
; ScratchSize: 0
; MemoryBound: 0
; FloatMode: 240
; IeeeMode: 1
; LDSByteSize: 0 bytes/workgroup (compile time only)
; SGPRBlocks: 0
; VGPRBlocks: 1
; NumSGPRsForWavesPerEU: 22
; NumVGPRsForWavesPerEU: 22
; NamedBarCnt: 0
; Occupancy: 16
; WaveLimiterHint : 1
; COMPUTE_PGM_RSRC2:SCRATCH_EN: 0
; COMPUTE_PGM_RSRC2:USER_SGPR: 2
; COMPUTE_PGM_RSRC2:TRAP_HANDLER: 0
; COMPUTE_PGM_RSRC2:TGID_X_EN: 1
; COMPUTE_PGM_RSRC2:TGID_Y_EN: 0
; COMPUTE_PGM_RSRC2:TGID_Z_EN: 0
; COMPUTE_PGM_RSRC2:TIDIG_COMP_CNT: 0
	.section	.text._ZN9rocsparseL44csr2gebsr_wavefront_per_row_multipass_kernelILi256ELi2ELi2ELi4EdEEv20rocsparse_direction_iiiiii21rocsparse_index_base_PKT3_PKiS7_S2_PS3_PiS9_,"axG",@progbits,_ZN9rocsparseL44csr2gebsr_wavefront_per_row_multipass_kernelILi256ELi2ELi2ELi4EdEEv20rocsparse_direction_iiiiii21rocsparse_index_base_PKT3_PKiS7_S2_PS3_PiS9_,comdat
	.globl	_ZN9rocsparseL44csr2gebsr_wavefront_per_row_multipass_kernelILi256ELi2ELi2ELi4EdEEv20rocsparse_direction_iiiiii21rocsparse_index_base_PKT3_PKiS7_S2_PS3_PiS9_ ; -- Begin function _ZN9rocsparseL44csr2gebsr_wavefront_per_row_multipass_kernelILi256ELi2ELi2ELi4EdEEv20rocsparse_direction_iiiiii21rocsparse_index_base_PKT3_PKiS7_S2_PS3_PiS9_
	.p2align	8
	.type	_ZN9rocsparseL44csr2gebsr_wavefront_per_row_multipass_kernelILi256ELi2ELi2ELi4EdEEv20rocsparse_direction_iiiiii21rocsparse_index_base_PKT3_PKiS7_S2_PS3_PiS9_,@function
_ZN9rocsparseL44csr2gebsr_wavefront_per_row_multipass_kernelILi256ELi2ELi2ELi4EdEEv20rocsparse_direction_iiiiii21rocsparse_index_base_PKT3_PKiS7_S2_PS3_PiS9_: ; @_ZN9rocsparseL44csr2gebsr_wavefront_per_row_multipass_kernelILi256ELi2ELi2ELi4EdEEv20rocsparse_direction_iiiiii21rocsparse_index_base_PKT3_PKiS7_S2_PS3_PiS9_
; %bb.0:
	s_clause 0x1
	s_load_b128 s[4:7], s[0:1], 0xc
	s_load_b64 s[12:13], s[0:1], 0x0
	s_bfe_u32 s2, ttmp6, 0x4000c
	s_and_b32 s3, ttmp6, 15
	s_add_co_i32 s2, s2, 1
	s_getreg_b32 s8, hwreg(HW_REG_IB_STS2, 6, 4)
	s_mul_i32 s2, ttmp9, s2
	v_dual_lshrrev_b32 v18, 2, v0 :: v_dual_mov_b32 v2, 0
	s_add_co_i32 s3, s3, s2
	s_cmp_eq_u32 s8, 0
	v_bfe_u32 v3, v0, 1, 1
	s_cselect_b32 s2, ttmp9, s3
	s_clause 0x1
	s_load_b32 s16, s[0:1], 0x1c
	s_load_b64 s[8:9], s[0:1], 0x28
	v_lshl_or_b32 v1, s2, 6, v18
	v_mov_b32_e32 v8, 0
	s_wait_kmcnt 0x0
	s_delay_alu instid0(VALU_DEP_2) | instskip(SKIP_1) | instid1(VALU_DEP_2)
	v_mad_u32 v4, v1, s6, v3
	v_cmp_gt_i32_e32 vcc_lo, s6, v3
	v_cmp_gt_i32_e64 s2, s13, v4
	s_and_b32 s2, vcc_lo, s2
	s_delay_alu instid0(SALU_CYCLE_1)
	s_and_saveexec_b32 s3, s2
	s_cbranch_execz .LBB72_2
; %bb.1:
	global_load_b32 v5, v4, s[8:9] scale_offset
	s_wait_loadcnt 0x0
	v_subrev_nc_u32_e32 v8, s16, v5
.LBB72_2:
	s_or_b32 exec_lo, exec_lo, s3
	v_mov_b32_e32 v19, 0
	s_and_saveexec_b32 s3, s2
	s_cbranch_execz .LBB72_4
; %bb.3:
	global_load_b32 v4, v4, s[8:9] offset:4 scale_offset
	s_wait_loadcnt 0x0
	v_subrev_nc_u32_e32 v19, s16, v4
.LBB72_4:
	s_or_b32 exec_lo, exec_lo, s3
	s_load_b32 s17, s[0:1], 0x38
	s_mov_b32 s3, exec_lo
	v_cmpx_gt_i32_e64 s4, v1
	s_cbranch_execz .LBB72_6
; %bb.5:
	s_load_b64 s[8:9], s[0:1], 0x48
	s_wait_kmcnt 0x0
	global_load_b32 v1, v1, s[8:9] scale_offset
	s_wait_loadcnt 0x0
	v_subrev_nc_u32_e32 v2, s17, v1
.LBB72_6:
	s_or_b32 exec_lo, exec_lo, s3
	s_cmp_lt_i32 s5, 1
	s_cbranch_scc1 .LBB72_24
; %bb.7:
	v_mbcnt_lo_u32_b32 v5, -1, 0
	v_dual_lshlrev_b32 v1, 4, v3 :: v_dual_bitop2_b32 v4, 1, v0 bitop3:0x40
	s_clause 0x3
	s_load_b64 s[2:3], s[0:1], 0x50
	s_load_b64 s[14:15], s[0:1], 0x40
	;; [unrolled: 1-line block ×4, first 2 shown]
	v_and_b32_e32 v0, 0xfc, v0
	v_dual_lshlrev_b32 v9, 2, v5 :: v_dual_bitop2_b32 v6, 1, v5 bitop3:0x14
	s_wait_xcnt 0x0
	v_cmp_gt_u32_e64 s0, s7, v4
	v_mul_lo_u32 v12, s7, v3
	v_lshl_or_b32 v20, v0, 3, v1
	v_cmp_gt_i32_e64 s1, 32, v6
	v_mul_lo_u32 v0, s6, v4
	s_and_b32 s4, vcc_lo, s0
	s_cmp_lg_u32 s12, 0
	v_or_b32_e32 v22, 4, v9
	s_cselect_b32 s18, -1, 0
	s_abs_i32 s19, s7
	v_dual_cndmask_b32 v1, v5, v6, s1 :: v_dual_lshlrev_b32 v10, 3, v4
	s_cvt_f32_u32 s0, s19
	s_mov_b32 s12, s6
	s_delay_alu instid0(VALU_DEP_1)
	v_dual_ashrrev_i32 v13, 31, v12 :: v_dual_lshlrev_b32 v21, 2, v1
	v_mov_b32_e32 v1, 0
	v_rcp_iflag_f32_e32 v11, s0
	v_or_b32_e32 v23, v20, v10
	s_wait_kmcnt 0x0
	v_lshl_add_u64 v[12:13], v[12:13], 3, s[14:15]
	v_mov_b32_e32 v26, 1
	v_lshl_add_u64 v[6:7], v[0:1], 3, s[14:15]
	v_dual_lshlrev_b32 v0, 3, v3 :: v_dual_bitop2_b32 v3, 2, v5 bitop3:0x14
	v_readfirstlane_b32 s6, v11
	v_mov_b32_e32 v11, v1
	s_sub_co_i32 s14, 0, s19
	v_add_nc_u64_e32 v[6:7], v[6:7], v[0:1]
	v_cmp_gt_i32_e32 vcc_lo, 32, v3
	s_mul_f32 s6, s6, 0x4f7ffffe
	v_add_nc_u64_e32 v[10:11], v[12:13], v[10:11]
	v_mov_b64_e32 v[12:13], 0
	v_dual_cndmask_b32 v0, v5, v3, vcc_lo :: v_dual_bitop2_b32 v25, 12, v9 bitop3:0x54
	s_cvt_u32_f32 s6, s6
	v_dual_mov_b32 v5, v1 :: v_dual_mov_b32 v3, 0
	s_mov_b32 s13, 0
	s_delay_alu instid0(SALU_CYCLE_1)
	s_mul_i32 s14, s14, s6
	v_lshlrev_b32_e32 v24, 2, v0
	s_ashr_i32 s1, s7, 31
	s_mov_b32 s0, s7
	s_mul_hi_u32 s20, s6, s14
	s_mul_u64 s[14:15], s[0:1], s[12:13]
	s_add_co_i32 s12, s6, s20
	s_mov_b32 s6, s13
	s_branch .LBB72_10
.LBB72_8:                               ;   in Loop: Header=BB72_10 Depth=1
	s_wait_xcnt 0x0
	s_or_b32 exec_lo, exec_lo, s20
	v_mov_b32_e32 v0, 1
.LBB72_9:                               ;   in Loop: Header=BB72_10 Depth=1
	s_or_b32 exec_lo, exec_lo, s0
	ds_bpermute_b32 v3, v24, v27
	s_wait_storecnt_dscnt 0x0
	v_dual_add_nc_u32 v2, v0, v2 :: v_dual_min_i32 v3, v3, v27
	ds_bpermute_b32 v9, v21, v3
	s_wait_dscnt 0x0
	v_min_i32_e32 v3, v9, v3
	ds_bpermute_b32 v3, v25, v3
	s_wait_dscnt 0x0
	v_cmp_le_i32_e32 vcc_lo, s5, v3
	s_or_b32 s6, vcc_lo, s6
	s_delay_alu instid0(SALU_CYCLE_1)
	s_and_not1_b32 exec_lo, exec_lo, s6
	s_cbranch_execz .LBB72_24
.LBB72_10:                              ; =>This Loop Header: Depth=1
                                        ;     Child Loop BB72_13 Depth 2
	v_dual_mov_b32 v27, s5 :: v_dual_add_nc_u32 v16, v8, v4
	v_mov_b32_e32 v28, v19
	s_mov_b32 s20, exec_lo
	ds_store_b8 v18, v1 offset:2048
	ds_store_b64 v23, v[12:13]
	s_wait_dscnt 0x0
	v_cmpx_lt_i32_e64 v16, v19
	s_cbranch_execz .LBB72_18
; %bb.11:                               ;   in Loop: Header=BB72_10 Depth=1
	v_dual_ashrrev_i32 v9, 31, v8 :: v_dual_mov_b32 v27, s5
	v_mul_lo_u32 v17, v3, s7
	v_mov_b32_e32 v28, v19
	s_mov_b32 s21, 0
	s_delay_alu instid0(VALU_DEP_3) | instskip(NEXT) | instid1(VALU_DEP_1)
	v_add_nc_u64_e32 v[14:15], v[4:5], v[8:9]
	v_lshl_add_u64 v[8:9], v[14:15], 2, s[10:11]
	v_lshl_add_u64 v[14:15], v[14:15], 3, s[8:9]
	s_branch .LBB72_13
.LBB72_12:                              ;   in Loop: Header=BB72_13 Depth=2
	s_wait_xcnt 0x0
	s_or_b32 exec_lo, exec_lo, s0
	v_add_nc_u32_e32 v16, 2, v16
	s_xor_b32 s22, vcc_lo, -1
	v_add_nc_u64_e32 v[8:9], 8, v[8:9]
	v_add_nc_u64_e32 v[14:15], 16, v[14:15]
	s_delay_alu instid0(VALU_DEP_3) | instskip(SKIP_1) | instid1(SALU_CYCLE_1)
	v_cmp_ge_i32_e64 s0, v16, v19
	s_or_b32 s0, s22, s0
	s_and_b32 s0, exec_lo, s0
	s_delay_alu instid0(SALU_CYCLE_1) | instskip(NEXT) | instid1(SALU_CYCLE_1)
	s_or_b32 s21, s0, s21
	s_and_not1_b32 exec_lo, exec_lo, s21
	s_cbranch_execz .LBB72_17
.LBB72_13:                              ;   Parent Loop BB72_10 Depth=1
                                        ; =>  This Inner Loop Header: Depth=2
	global_load_b32 v0, v[8:9], off
	s_wait_loadcnt 0x0
	v_subrev_nc_u32_e32 v29, s16, v0
	s_delay_alu instid0(VALU_DEP_1) | instskip(NEXT) | instid1(VALU_DEP_1)
	v_sub_nc_u32_e32 v0, 0, v29
	v_max_i32_e32 v0, v29, v0
	s_delay_alu instid0(VALU_DEP_1) | instskip(NEXT) | instid1(VALU_DEP_1)
	v_mul_u64_e32 v[30:31], s[12:13], v[0:1]
	v_mul_lo_u32 v30, v31, s19
	s_delay_alu instid0(VALU_DEP_1) | instskip(NEXT) | instid1(VALU_DEP_1)
	v_dual_sub_nc_u32 v0, v0, v30 :: v_dual_add_nc_u32 v30, 1, v31
	v_cmp_le_u32_e32 vcc_lo, s19, v0
	s_delay_alu instid0(VALU_DEP_2) | instskip(SKIP_1) | instid1(VALU_DEP_1)
	v_dual_cndmask_b32 v30, v31, v30 :: v_dual_ashrrev_i32 v31, 31, v29
	v_subrev_nc_u32_e32 v32, s19, v0
	v_dual_cndmask_b32 v0, v0, v32, vcc_lo :: v_dual_add_nc_u32 v32, 1, v30
	s_delay_alu instid0(VALU_DEP_1) | instskip(NEXT) | instid1(VALU_DEP_2)
	v_cmp_le_u32_e32 vcc_lo, s19, v0
	v_dual_cndmask_b32 v0, v30, v32, vcc_lo :: v_dual_bitop2_b32 v31, s1, v31 bitop3:0x14
	s_delay_alu instid0(VALU_DEP_1) | instskip(NEXT) | instid1(VALU_DEP_1)
	v_xor_b32_e32 v0, v0, v31
	v_sub_nc_u32_e32 v30, v0, v31
	v_mov_b32_e32 v0, v28
	s_delay_alu instid0(VALU_DEP_2) | instskip(SKIP_3) | instid1(SALU_CYCLE_1)
	v_cmp_ne_u32_e64 s0, v30, v3
	v_cmp_eq_u32_e32 vcc_lo, v30, v3
	s_wait_xcnt 0x0
	s_and_saveexec_b32 s22, s0
	s_xor_b32 s0, exec_lo, s22
; %bb.14:                               ;   in Loop: Header=BB72_13 Depth=2
	v_min_i32_e32 v27, v30, v27
                                        ; implicit-def: $vgpr29
                                        ; implicit-def: $vgpr0
; %bb.15:                               ;   in Loop: Header=BB72_13 Depth=2
	s_or_saveexec_b32 s0, s0
	v_mov_b32_e32 v28, v16
	s_xor_b32 exec_lo, exec_lo, s0
	s_cbranch_execz .LBB72_12
; %bb.16:                               ;   in Loop: Header=BB72_13 Depth=2
	global_load_b64 v[30:31], v[14:15], off
	v_sub_nc_u32_e32 v28, v29, v17
	s_delay_alu instid0(VALU_DEP_1)
	v_lshl_add_u32 v29, v28, 3, v20
	v_mov_b32_e32 v28, v0
	ds_store_b8 v18, v26 offset:2048
	s_wait_loadcnt 0x0
	ds_store_b64 v29, v[30:31]
	s_branch .LBB72_12
.LBB72_17:                              ;   in Loop: Header=BB72_10 Depth=1
	s_or_b32 exec_lo, exec_lo, s21
.LBB72_18:                              ;   in Loop: Header=BB72_10 Depth=1
	s_delay_alu instid0(SALU_CYCLE_1)
	s_or_b32 exec_lo, exec_lo, s20
	ds_bpermute_b32 v0, v21, v28
	s_wait_dscnt 0x0
	ds_load_u8 v9, v18 offset:2048
	v_min_i32_e32 v0, v0, v28
	ds_bpermute_b32 v8, v22, v0
	s_wait_dscnt 0x1
	v_and_b32_e32 v0, 1, v9
	s_delay_alu instid0(VALU_DEP_1)
	v_cmp_eq_u32_e32 vcc_lo, 1, v0
	v_mov_b32_e32 v0, 0
	s_and_saveexec_b32 s0, vcc_lo
	s_cbranch_execz .LBB72_9
; %bb.19:                               ;   in Loop: Header=BB72_10 Depth=1
	v_add_nc_u32_e32 v0, s17, v3
	global_store_b32 v2, v0, s[2:3] scale_offset
	s_wait_xcnt 0x0
	s_and_saveexec_b32 s20, s4
	s_cbranch_execz .LBB72_8
; %bb.20:                               ;   in Loop: Header=BB72_10 Depth=1
	v_ashrrev_i32_e32 v3, 31, v2
	ds_load_b64 v[16:17], v23
	s_and_b32 vcc_lo, exec_lo, s18
	v_mul_u64_e32 v[14:15], s[14:15], v[2:3]
	s_cbranch_vccz .LBB72_22
; %bb.21:                               ;   in Loop: Header=BB72_10 Depth=1
	s_delay_alu instid0(VALU_DEP_1)
	v_lshl_add_u64 v[28:29], v[14:15], 3, v[6:7]
	s_wait_dscnt 0x0
	global_store_b64 v[28:29], v[16:17], off
	s_cbranch_execnz .LBB72_8
	s_branch .LBB72_23
.LBB72_22:                              ;   in Loop: Header=BB72_10 Depth=1
.LBB72_23:                              ;   in Loop: Header=BB72_10 Depth=1
	s_delay_alu instid0(VALU_DEP_1)
	v_lshl_add_u64 v[14:15], v[14:15], 3, v[10:11]
	s_wait_dscnt 0x0
	global_store_b64 v[14:15], v[16:17], off
	s_branch .LBB72_8
.LBB72_24:
	s_endpgm
	.section	.rodata,"a",@progbits
	.p2align	6, 0x0
	.amdhsa_kernel _ZN9rocsparseL44csr2gebsr_wavefront_per_row_multipass_kernelILi256ELi2ELi2ELi4EdEEv20rocsparse_direction_iiiiii21rocsparse_index_base_PKT3_PKiS7_S2_PS3_PiS9_
		.amdhsa_group_segment_fixed_size 2112
		.amdhsa_private_segment_fixed_size 0
		.amdhsa_kernarg_size 88
		.amdhsa_user_sgpr_count 2
		.amdhsa_user_sgpr_dispatch_ptr 0
		.amdhsa_user_sgpr_queue_ptr 0
		.amdhsa_user_sgpr_kernarg_segment_ptr 1
		.amdhsa_user_sgpr_dispatch_id 0
		.amdhsa_user_sgpr_kernarg_preload_length 0
		.amdhsa_user_sgpr_kernarg_preload_offset 0
		.amdhsa_user_sgpr_private_segment_size 0
		.amdhsa_wavefront_size32 1
		.amdhsa_uses_dynamic_stack 0
		.amdhsa_enable_private_segment 0
		.amdhsa_system_sgpr_workgroup_id_x 1
		.amdhsa_system_sgpr_workgroup_id_y 0
		.amdhsa_system_sgpr_workgroup_id_z 0
		.amdhsa_system_sgpr_workgroup_info 0
		.amdhsa_system_vgpr_workitem_id 0
		.amdhsa_next_free_vgpr 33
		.amdhsa_next_free_sgpr 23
		.amdhsa_named_barrier_count 0
		.amdhsa_reserve_vcc 1
		.amdhsa_float_round_mode_32 0
		.amdhsa_float_round_mode_16_64 0
		.amdhsa_float_denorm_mode_32 3
		.amdhsa_float_denorm_mode_16_64 3
		.amdhsa_fp16_overflow 0
		.amdhsa_memory_ordered 1
		.amdhsa_forward_progress 1
		.amdhsa_inst_pref_size 11
		.amdhsa_round_robin_scheduling 0
		.amdhsa_exception_fp_ieee_invalid_op 0
		.amdhsa_exception_fp_denorm_src 0
		.amdhsa_exception_fp_ieee_div_zero 0
		.amdhsa_exception_fp_ieee_overflow 0
		.amdhsa_exception_fp_ieee_underflow 0
		.amdhsa_exception_fp_ieee_inexact 0
		.amdhsa_exception_int_div_zero 0
	.end_amdhsa_kernel
	.section	.text._ZN9rocsparseL44csr2gebsr_wavefront_per_row_multipass_kernelILi256ELi2ELi2ELi4EdEEv20rocsparse_direction_iiiiii21rocsparse_index_base_PKT3_PKiS7_S2_PS3_PiS9_,"axG",@progbits,_ZN9rocsparseL44csr2gebsr_wavefront_per_row_multipass_kernelILi256ELi2ELi2ELi4EdEEv20rocsparse_direction_iiiiii21rocsparse_index_base_PKT3_PKiS7_S2_PS3_PiS9_,comdat
.Lfunc_end72:
	.size	_ZN9rocsparseL44csr2gebsr_wavefront_per_row_multipass_kernelILi256ELi2ELi2ELi4EdEEv20rocsparse_direction_iiiiii21rocsparse_index_base_PKT3_PKiS7_S2_PS3_PiS9_, .Lfunc_end72-_ZN9rocsparseL44csr2gebsr_wavefront_per_row_multipass_kernelILi256ELi2ELi2ELi4EdEEv20rocsparse_direction_iiiiii21rocsparse_index_base_PKT3_PKiS7_S2_PS3_PiS9_
                                        ; -- End function
	.set _ZN9rocsparseL44csr2gebsr_wavefront_per_row_multipass_kernelILi256ELi2ELi2ELi4EdEEv20rocsparse_direction_iiiiii21rocsparse_index_base_PKT3_PKiS7_S2_PS3_PiS9_.num_vgpr, 33
	.set _ZN9rocsparseL44csr2gebsr_wavefront_per_row_multipass_kernelILi256ELi2ELi2ELi4EdEEv20rocsparse_direction_iiiiii21rocsparse_index_base_PKT3_PKiS7_S2_PS3_PiS9_.num_agpr, 0
	.set _ZN9rocsparseL44csr2gebsr_wavefront_per_row_multipass_kernelILi256ELi2ELi2ELi4EdEEv20rocsparse_direction_iiiiii21rocsparse_index_base_PKT3_PKiS7_S2_PS3_PiS9_.numbered_sgpr, 23
	.set _ZN9rocsparseL44csr2gebsr_wavefront_per_row_multipass_kernelILi256ELi2ELi2ELi4EdEEv20rocsparse_direction_iiiiii21rocsparse_index_base_PKT3_PKiS7_S2_PS3_PiS9_.num_named_barrier, 0
	.set _ZN9rocsparseL44csr2gebsr_wavefront_per_row_multipass_kernelILi256ELi2ELi2ELi4EdEEv20rocsparse_direction_iiiiii21rocsparse_index_base_PKT3_PKiS7_S2_PS3_PiS9_.private_seg_size, 0
	.set _ZN9rocsparseL44csr2gebsr_wavefront_per_row_multipass_kernelILi256ELi2ELi2ELi4EdEEv20rocsparse_direction_iiiiii21rocsparse_index_base_PKT3_PKiS7_S2_PS3_PiS9_.uses_vcc, 1
	.set _ZN9rocsparseL44csr2gebsr_wavefront_per_row_multipass_kernelILi256ELi2ELi2ELi4EdEEv20rocsparse_direction_iiiiii21rocsparse_index_base_PKT3_PKiS7_S2_PS3_PiS9_.uses_flat_scratch, 0
	.set _ZN9rocsparseL44csr2gebsr_wavefront_per_row_multipass_kernelILi256ELi2ELi2ELi4EdEEv20rocsparse_direction_iiiiii21rocsparse_index_base_PKT3_PKiS7_S2_PS3_PiS9_.has_dyn_sized_stack, 0
	.set _ZN9rocsparseL44csr2gebsr_wavefront_per_row_multipass_kernelILi256ELi2ELi2ELi4EdEEv20rocsparse_direction_iiiiii21rocsparse_index_base_PKT3_PKiS7_S2_PS3_PiS9_.has_recursion, 0
	.set _ZN9rocsparseL44csr2gebsr_wavefront_per_row_multipass_kernelILi256ELi2ELi2ELi4EdEEv20rocsparse_direction_iiiiii21rocsparse_index_base_PKT3_PKiS7_S2_PS3_PiS9_.has_indirect_call, 0
	.section	.AMDGPU.csdata,"",@progbits
; Kernel info:
; codeLenInByte = 1296
; TotalNumSgprs: 25
; NumVgprs: 33
; ScratchSize: 0
; MemoryBound: 0
; FloatMode: 240
; IeeeMode: 1
; LDSByteSize: 2112 bytes/workgroup (compile time only)
; SGPRBlocks: 0
; VGPRBlocks: 2
; NumSGPRsForWavesPerEU: 25
; NumVGPRsForWavesPerEU: 33
; NamedBarCnt: 0
; Occupancy: 16
; WaveLimiterHint : 0
; COMPUTE_PGM_RSRC2:SCRATCH_EN: 0
; COMPUTE_PGM_RSRC2:USER_SGPR: 2
; COMPUTE_PGM_RSRC2:TRAP_HANDLER: 0
; COMPUTE_PGM_RSRC2:TGID_X_EN: 1
; COMPUTE_PGM_RSRC2:TGID_Y_EN: 0
; COMPUTE_PGM_RSRC2:TGID_Z_EN: 0
; COMPUTE_PGM_RSRC2:TIDIG_COMP_CNT: 0
	.section	.text._ZN9rocsparseL44csr2gebsr_wavefront_per_row_multipass_kernelILi256ELi2ELi4ELi8EdEEv20rocsparse_direction_iiiiii21rocsparse_index_base_PKT3_PKiS7_S2_PS3_PiS9_,"axG",@progbits,_ZN9rocsparseL44csr2gebsr_wavefront_per_row_multipass_kernelILi256ELi2ELi4ELi8EdEEv20rocsparse_direction_iiiiii21rocsparse_index_base_PKT3_PKiS7_S2_PS3_PiS9_,comdat
	.globl	_ZN9rocsparseL44csr2gebsr_wavefront_per_row_multipass_kernelILi256ELi2ELi4ELi8EdEEv20rocsparse_direction_iiiiii21rocsparse_index_base_PKT3_PKiS7_S2_PS3_PiS9_ ; -- Begin function _ZN9rocsparseL44csr2gebsr_wavefront_per_row_multipass_kernelILi256ELi2ELi4ELi8EdEEv20rocsparse_direction_iiiiii21rocsparse_index_base_PKT3_PKiS7_S2_PS3_PiS9_
	.p2align	8
	.type	_ZN9rocsparseL44csr2gebsr_wavefront_per_row_multipass_kernelILi256ELi2ELi4ELi8EdEEv20rocsparse_direction_iiiiii21rocsparse_index_base_PKT3_PKiS7_S2_PS3_PiS9_,@function
_ZN9rocsparseL44csr2gebsr_wavefront_per_row_multipass_kernelILi256ELi2ELi4ELi8EdEEv20rocsparse_direction_iiiiii21rocsparse_index_base_PKT3_PKiS7_S2_PS3_PiS9_: ; @_ZN9rocsparseL44csr2gebsr_wavefront_per_row_multipass_kernelILi256ELi2ELi4ELi8EdEEv20rocsparse_direction_iiiiii21rocsparse_index_base_PKT3_PKiS7_S2_PS3_PiS9_
; %bb.0:
	s_clause 0x1
	s_load_b128 s[4:7], s[0:1], 0xc
	s_load_b64 s[12:13], s[0:1], 0x0
	s_bfe_u32 s2, ttmp6, 0x4000c
	s_and_b32 s3, ttmp6, 15
	s_add_co_i32 s2, s2, 1
	s_getreg_b32 s8, hwreg(HW_REG_IB_STS2, 6, 4)
	s_mul_i32 s2, ttmp9, s2
	v_dual_lshrrev_b32 v18, 3, v0 :: v_dual_mov_b32 v2, 0
	s_add_co_i32 s3, s3, s2
	s_cmp_eq_u32 s8, 0
	v_bfe_u32 v3, v0, 2, 1
	s_cselect_b32 s2, ttmp9, s3
	s_clause 0x1
	s_load_b32 s16, s[0:1], 0x1c
	s_load_b64 s[8:9], s[0:1], 0x28
	v_lshl_or_b32 v1, s2, 5, v18
	v_mov_b32_e32 v8, 0
	s_wait_kmcnt 0x0
	s_delay_alu instid0(VALU_DEP_2) | instskip(SKIP_1) | instid1(VALU_DEP_2)
	v_mad_u32 v4, v1, s6, v3
	v_cmp_gt_i32_e32 vcc_lo, s6, v3
	v_cmp_gt_i32_e64 s2, s13, v4
	s_and_b32 s2, vcc_lo, s2
	s_delay_alu instid0(SALU_CYCLE_1)
	s_and_saveexec_b32 s3, s2
	s_cbranch_execz .LBB73_2
; %bb.1:
	global_load_b32 v5, v4, s[8:9] scale_offset
	s_wait_loadcnt 0x0
	v_subrev_nc_u32_e32 v8, s16, v5
.LBB73_2:
	s_or_b32 exec_lo, exec_lo, s3
	v_mov_b32_e32 v19, 0
	s_and_saveexec_b32 s3, s2
	s_cbranch_execz .LBB73_4
; %bb.3:
	global_load_b32 v4, v4, s[8:9] offset:4 scale_offset
	s_wait_loadcnt 0x0
	v_subrev_nc_u32_e32 v19, s16, v4
.LBB73_4:
	s_or_b32 exec_lo, exec_lo, s3
	s_load_b32 s17, s[0:1], 0x38
	s_mov_b32 s3, exec_lo
	v_cmpx_gt_i32_e64 s4, v1
	s_cbranch_execz .LBB73_6
; %bb.5:
	s_load_b64 s[8:9], s[0:1], 0x48
	s_wait_kmcnt 0x0
	global_load_b32 v1, v1, s[8:9] scale_offset
	s_wait_loadcnt 0x0
	v_subrev_nc_u32_e32 v2, s17, v1
.LBB73_6:
	s_or_b32 exec_lo, exec_lo, s3
	s_cmp_lt_i32 s5, 1
	s_cbranch_scc1 .LBB73_24
; %bb.7:
	v_mbcnt_lo_u32_b32 v5, -1, 0
	s_clause 0x3
	s_load_b64 s[2:3], s[0:1], 0x50
	s_load_b64 s[14:15], s[0:1], 0x40
	;; [unrolled: 1-line block ×4, first 2 shown]
	v_mul_lo_u32 v12, s7, v3
	s_mov_b32 s13, 0
	v_dual_lshlrev_b32 v6, 5, v3 :: v_dual_bitop2_b32 v1, 2, v5 bitop3:0x14
	v_dual_lshlrev_b32 v9, 2, v5 :: v_dual_bitop2_b32 v7, 1, v5 bitop3:0x14
	v_mov_b32_e32 v27, 1
	s_wait_xcnt 0x0
	s_delay_alu instid0(VALU_DEP_3)
	v_cmp_gt_i32_e64 s0, 32, v1
	v_and_b32_e32 v4, 3, v0
	v_and_b32_e32 v0, 0xf8, v0
	v_cmp_gt_i32_e64 s1, 32, v7
	v_or_b32_e32 v23, 12, v9
	v_cndmask_b32_e64 v1, v5, v1, s0
	v_cmp_gt_u32_e64 s0, s7, v4
	v_lshl_or_b32 v20, v0, 3, v6
	v_mul_lo_u32 v0, s6, v4
	s_delay_alu instid0(VALU_DEP_4)
	v_dual_ashrrev_i32 v13, 31, v12 :: v_dual_lshlrev_b32 v21, 2, v1
	v_cndmask_b32_e64 v1, v5, v7, s1
	s_and_b32 s4, vcc_lo, s0
	s_cmp_lg_u32 s12, 0
	v_lshlrev_b32_e32 v10, 3, v4
	s_cselect_b32 s18, -1, 0
	s_abs_i32 s19, s7
	v_lshlrev_b32_e32 v22, 2, v1
	s_cvt_f32_u32 s0, s19
	v_dual_mov_b32 v1, 0 :: v_dual_bitop2_b32 v24, v20, v10 bitop3:0x54
	s_mov_b32 s12, s6
	s_delay_alu instid0(SALU_CYCLE_1)
	v_rcp_iflag_f32_e32 v11, s0
	v_or_b32_e32 v26, 28, v9
	s_wait_kmcnt 0x0
	v_lshl_add_u64 v[6:7], v[0:1], 3, s[14:15]
	v_dual_lshlrev_b32 v0, 3, v3 :: v_dual_bitop2_b32 v3, 4, v5 bitop3:0x14
	v_lshl_add_u64 v[12:13], v[12:13], 3, s[14:15]
	s_sub_co_i32 s14, 0, s19
	v_readfirstlane_b32 s6, v11
	v_mov_b32_e32 v11, v1
	v_cmp_gt_i32_e32 vcc_lo, 32, v3
	v_add_nc_u64_e32 v[6:7], v[6:7], v[0:1]
	s_ashr_i32 s1, s7, 31
	s_mul_f32 s6, s6, 0x4f7ffffe
	s_mov_b32 s0, s7
	v_cndmask_b32_e32 v0, v5, v3, vcc_lo
	v_mov_b32_e32 v5, v1
	s_cvt_u32_f32 s6, s6
	v_add_nc_u64_e32 v[10:11], v[12:13], v[10:11]
	v_mov_b64_e32 v[12:13], 0
	v_lshlrev_b32_e32 v25, 2, v0
	s_mul_i32 s14, s14, s6
	v_mov_b32_e32 v3, 0
	s_mul_hi_u32 s20, s6, s14
	s_mul_u64 s[14:15], s[0:1], s[12:13]
	s_add_co_i32 s12, s6, s20
	s_mov_b32 s6, s13
	s_branch .LBB73_10
.LBB73_8:                               ;   in Loop: Header=BB73_10 Depth=1
	s_wait_xcnt 0x0
	s_or_b32 exec_lo, exec_lo, s20
	v_mov_b32_e32 v0, 1
.LBB73_9:                               ;   in Loop: Header=BB73_10 Depth=1
	s_or_b32 exec_lo, exec_lo, s0
	ds_bpermute_b32 v3, v25, v28
	s_wait_storecnt_dscnt 0x0
	v_dual_add_nc_u32 v2, v0, v2 :: v_dual_min_i32 v3, v3, v28
	ds_bpermute_b32 v9, v21, v3
	s_wait_dscnt 0x0
	v_min_i32_e32 v3, v9, v3
	ds_bpermute_b32 v9, v22, v3
	s_wait_dscnt 0x0
	v_min_i32_e32 v3, v9, v3
	ds_bpermute_b32 v3, v26, v3
	s_wait_dscnt 0x0
	v_cmp_le_i32_e32 vcc_lo, s5, v3
	s_or_b32 s6, vcc_lo, s6
	s_delay_alu instid0(SALU_CYCLE_1)
	s_and_not1_b32 exec_lo, exec_lo, s6
	s_cbranch_execz .LBB73_24
.LBB73_10:                              ; =>This Loop Header: Depth=1
                                        ;     Child Loop BB73_13 Depth 2
	v_dual_add_nc_u32 v16, v8, v4 :: v_dual_mov_b32 v28, s5
	v_mov_b32_e32 v29, v19
	s_mov_b32 s20, exec_lo
	ds_store_b8 v18, v1 offset:2048
	ds_store_b64 v24, v[12:13]
	s_wait_dscnt 0x0
	v_cmpx_lt_i32_e64 v16, v19
	s_cbranch_execz .LBB73_18
; %bb.11:                               ;   in Loop: Header=BB73_10 Depth=1
	v_dual_mov_b32 v28, s5 :: v_dual_ashrrev_i32 v9, 31, v8
	v_mul_lo_u32 v17, v3, s7
	v_mov_b32_e32 v29, v19
	s_mov_b32 s21, 0
	s_delay_alu instid0(VALU_DEP_3) | instskip(NEXT) | instid1(VALU_DEP_1)
	v_add_nc_u64_e32 v[14:15], v[4:5], v[8:9]
	v_lshl_add_u64 v[8:9], v[14:15], 2, s[10:11]
	v_lshl_add_u64 v[14:15], v[14:15], 3, s[8:9]
	s_branch .LBB73_13
.LBB73_12:                              ;   in Loop: Header=BB73_13 Depth=2
	s_wait_xcnt 0x0
	s_or_b32 exec_lo, exec_lo, s0
	v_add_nc_u32_e32 v16, 4, v16
	s_xor_b32 s22, vcc_lo, -1
	v_add_nc_u64_e32 v[8:9], 16, v[8:9]
	v_add_nc_u64_e32 v[14:15], 32, v[14:15]
	s_delay_alu instid0(VALU_DEP_3) | instskip(SKIP_1) | instid1(SALU_CYCLE_1)
	v_cmp_ge_i32_e64 s0, v16, v19
	s_or_b32 s0, s22, s0
	s_and_b32 s0, exec_lo, s0
	s_delay_alu instid0(SALU_CYCLE_1) | instskip(NEXT) | instid1(SALU_CYCLE_1)
	s_or_b32 s21, s0, s21
	s_and_not1_b32 exec_lo, exec_lo, s21
	s_cbranch_execz .LBB73_17
.LBB73_13:                              ;   Parent Loop BB73_10 Depth=1
                                        ; =>  This Inner Loop Header: Depth=2
	global_load_b32 v0, v[8:9], off
	s_wait_loadcnt 0x0
	v_subrev_nc_u32_e32 v30, s16, v0
	s_delay_alu instid0(VALU_DEP_1) | instskip(NEXT) | instid1(VALU_DEP_1)
	v_sub_nc_u32_e32 v0, 0, v30
	v_max_i32_e32 v0, v30, v0
	s_delay_alu instid0(VALU_DEP_1) | instskip(NEXT) | instid1(VALU_DEP_1)
	v_mul_u64_e32 v[32:33], s[12:13], v[0:1]
	v_mul_lo_u32 v31, v33, s19
	s_delay_alu instid0(VALU_DEP_1) | instskip(NEXT) | instid1(VALU_DEP_1)
	v_dual_sub_nc_u32 v0, v0, v31 :: v_dual_add_nc_u32 v31, 1, v33
	v_cmp_le_u32_e32 vcc_lo, s19, v0
	s_delay_alu instid0(VALU_DEP_2) | instskip(SKIP_1) | instid1(VALU_DEP_1)
	v_dual_cndmask_b32 v31, v33, v31, vcc_lo :: v_dual_ashrrev_i32 v33, 31, v30
	v_subrev_nc_u32_e32 v32, s19, v0
	v_dual_cndmask_b32 v0, v0, v32, vcc_lo :: v_dual_add_nc_u32 v32, 1, v31
	s_delay_alu instid0(VALU_DEP_1) | instskip(NEXT) | instid1(VALU_DEP_2)
	v_cmp_le_u32_e32 vcc_lo, s19, v0
	v_dual_cndmask_b32 v0, v31, v32, vcc_lo :: v_dual_bitop2_b32 v33, s1, v33 bitop3:0x14
	s_delay_alu instid0(VALU_DEP_1) | instskip(NEXT) | instid1(VALU_DEP_1)
	v_xor_b32_e32 v0, v0, v33
	v_dual_mov_b32 v0, v29 :: v_dual_sub_nc_u32 v31, v0, v33
	s_delay_alu instid0(VALU_DEP_1) | instskip(SKIP_3) | instid1(SALU_CYCLE_1)
	v_cmp_ne_u32_e64 s0, v31, v3
	v_cmp_eq_u32_e32 vcc_lo, v31, v3
	s_wait_xcnt 0x0
	s_and_saveexec_b32 s22, s0
	s_xor_b32 s0, exec_lo, s22
; %bb.14:                               ;   in Loop: Header=BB73_13 Depth=2
	v_min_i32_e32 v28, v31, v28
                                        ; implicit-def: $vgpr30
                                        ; implicit-def: $vgpr0
; %bb.15:                               ;   in Loop: Header=BB73_13 Depth=2
	s_or_saveexec_b32 s0, s0
	v_mov_b32_e32 v29, v16
	s_xor_b32 exec_lo, exec_lo, s0
	s_cbranch_execz .LBB73_12
; %bb.16:                               ;   in Loop: Header=BB73_13 Depth=2
	global_load_b64 v[32:33], v[14:15], off
	v_sub_nc_u32_e32 v29, v30, v17
	s_delay_alu instid0(VALU_DEP_1)
	v_lshl_add_u32 v30, v29, 3, v20
	v_mov_b32_e32 v29, v0
	ds_store_b8 v18, v27 offset:2048
	s_wait_loadcnt 0x0
	ds_store_b64 v30, v[32:33]
	s_branch .LBB73_12
.LBB73_17:                              ;   in Loop: Header=BB73_10 Depth=1
	s_or_b32 exec_lo, exec_lo, s21
.LBB73_18:                              ;   in Loop: Header=BB73_10 Depth=1
	s_delay_alu instid0(SALU_CYCLE_1)
	s_or_b32 exec_lo, exec_lo, s20
	ds_bpermute_b32 v0, v21, v29
	s_wait_dscnt 0x0
	ds_load_u8 v9, v18 offset:2048
	v_min_i32_e32 v0, v0, v29
	ds_bpermute_b32 v8, v22, v0
	s_wait_dscnt 0x0
	v_min_i32_e32 v0, v8, v0
	ds_bpermute_b32 v8, v23, v0
	v_and_b32_e32 v0, 1, v9
	s_delay_alu instid0(VALU_DEP_1)
	v_cmp_eq_u32_e32 vcc_lo, 1, v0
	v_mov_b32_e32 v0, 0
	s_and_saveexec_b32 s0, vcc_lo
	s_cbranch_execz .LBB73_9
; %bb.19:                               ;   in Loop: Header=BB73_10 Depth=1
	v_add_nc_u32_e32 v0, s17, v3
	global_store_b32 v2, v0, s[2:3] scale_offset
	s_wait_xcnt 0x0
	s_and_saveexec_b32 s20, s4
	s_cbranch_execz .LBB73_8
; %bb.20:                               ;   in Loop: Header=BB73_10 Depth=1
	v_ashrrev_i32_e32 v3, 31, v2
	ds_load_b64 v[16:17], v24
	s_and_b32 vcc_lo, exec_lo, s18
	v_mul_u64_e32 v[14:15], s[14:15], v[2:3]
	s_cbranch_vccz .LBB73_22
; %bb.21:                               ;   in Loop: Header=BB73_10 Depth=1
	s_delay_alu instid0(VALU_DEP_1)
	v_lshl_add_u64 v[30:31], v[14:15], 3, v[6:7]
	s_wait_dscnt 0x0
	global_store_b64 v[30:31], v[16:17], off
	s_cbranch_execnz .LBB73_8
	s_branch .LBB73_23
.LBB73_22:                              ;   in Loop: Header=BB73_10 Depth=1
.LBB73_23:                              ;   in Loop: Header=BB73_10 Depth=1
	s_delay_alu instid0(VALU_DEP_1)
	v_lshl_add_u64 v[14:15], v[14:15], 3, v[10:11]
	s_wait_dscnt 0x0
	global_store_b64 v[14:15], v[16:17], off
	s_branch .LBB73_8
.LBB73_24:
	s_endpgm
	.section	.rodata,"a",@progbits
	.p2align	6, 0x0
	.amdhsa_kernel _ZN9rocsparseL44csr2gebsr_wavefront_per_row_multipass_kernelILi256ELi2ELi4ELi8EdEEv20rocsparse_direction_iiiiii21rocsparse_index_base_PKT3_PKiS7_S2_PS3_PiS9_
		.amdhsa_group_segment_fixed_size 2080
		.amdhsa_private_segment_fixed_size 0
		.amdhsa_kernarg_size 88
		.amdhsa_user_sgpr_count 2
		.amdhsa_user_sgpr_dispatch_ptr 0
		.amdhsa_user_sgpr_queue_ptr 0
		.amdhsa_user_sgpr_kernarg_segment_ptr 1
		.amdhsa_user_sgpr_dispatch_id 0
		.amdhsa_user_sgpr_kernarg_preload_length 0
		.amdhsa_user_sgpr_kernarg_preload_offset 0
		.amdhsa_user_sgpr_private_segment_size 0
		.amdhsa_wavefront_size32 1
		.amdhsa_uses_dynamic_stack 0
		.amdhsa_enable_private_segment 0
		.amdhsa_system_sgpr_workgroup_id_x 1
		.amdhsa_system_sgpr_workgroup_id_y 0
		.amdhsa_system_sgpr_workgroup_id_z 0
		.amdhsa_system_sgpr_workgroup_info 0
		.amdhsa_system_vgpr_workitem_id 0
		.amdhsa_next_free_vgpr 34
		.amdhsa_next_free_sgpr 23
		.amdhsa_named_barrier_count 0
		.amdhsa_reserve_vcc 1
		.amdhsa_float_round_mode_32 0
		.amdhsa_float_round_mode_16_64 0
		.amdhsa_float_denorm_mode_32 3
		.amdhsa_float_denorm_mode_16_64 3
		.amdhsa_fp16_overflow 0
		.amdhsa_memory_ordered 1
		.amdhsa_forward_progress 1
		.amdhsa_inst_pref_size 11
		.amdhsa_round_robin_scheduling 0
		.amdhsa_exception_fp_ieee_invalid_op 0
		.amdhsa_exception_fp_denorm_src 0
		.amdhsa_exception_fp_ieee_div_zero 0
		.amdhsa_exception_fp_ieee_overflow 0
		.amdhsa_exception_fp_ieee_underflow 0
		.amdhsa_exception_fp_ieee_inexact 0
		.amdhsa_exception_int_div_zero 0
	.end_amdhsa_kernel
	.section	.text._ZN9rocsparseL44csr2gebsr_wavefront_per_row_multipass_kernelILi256ELi2ELi4ELi8EdEEv20rocsparse_direction_iiiiii21rocsparse_index_base_PKT3_PKiS7_S2_PS3_PiS9_,"axG",@progbits,_ZN9rocsparseL44csr2gebsr_wavefront_per_row_multipass_kernelILi256ELi2ELi4ELi8EdEEv20rocsparse_direction_iiiiii21rocsparse_index_base_PKT3_PKiS7_S2_PS3_PiS9_,comdat
.Lfunc_end73:
	.size	_ZN9rocsparseL44csr2gebsr_wavefront_per_row_multipass_kernelILi256ELi2ELi4ELi8EdEEv20rocsparse_direction_iiiiii21rocsparse_index_base_PKT3_PKiS7_S2_PS3_PiS9_, .Lfunc_end73-_ZN9rocsparseL44csr2gebsr_wavefront_per_row_multipass_kernelILi256ELi2ELi4ELi8EdEEv20rocsparse_direction_iiiiii21rocsparse_index_base_PKT3_PKiS7_S2_PS3_PiS9_
                                        ; -- End function
	.set _ZN9rocsparseL44csr2gebsr_wavefront_per_row_multipass_kernelILi256ELi2ELi4ELi8EdEEv20rocsparse_direction_iiiiii21rocsparse_index_base_PKT3_PKiS7_S2_PS3_PiS9_.num_vgpr, 34
	.set _ZN9rocsparseL44csr2gebsr_wavefront_per_row_multipass_kernelILi256ELi2ELi4ELi8EdEEv20rocsparse_direction_iiiiii21rocsparse_index_base_PKT3_PKiS7_S2_PS3_PiS9_.num_agpr, 0
	.set _ZN9rocsparseL44csr2gebsr_wavefront_per_row_multipass_kernelILi256ELi2ELi4ELi8EdEEv20rocsparse_direction_iiiiii21rocsparse_index_base_PKT3_PKiS7_S2_PS3_PiS9_.numbered_sgpr, 23
	.set _ZN9rocsparseL44csr2gebsr_wavefront_per_row_multipass_kernelILi256ELi2ELi4ELi8EdEEv20rocsparse_direction_iiiiii21rocsparse_index_base_PKT3_PKiS7_S2_PS3_PiS9_.num_named_barrier, 0
	.set _ZN9rocsparseL44csr2gebsr_wavefront_per_row_multipass_kernelILi256ELi2ELi4ELi8EdEEv20rocsparse_direction_iiiiii21rocsparse_index_base_PKT3_PKiS7_S2_PS3_PiS9_.private_seg_size, 0
	.set _ZN9rocsparseL44csr2gebsr_wavefront_per_row_multipass_kernelILi256ELi2ELi4ELi8EdEEv20rocsparse_direction_iiiiii21rocsparse_index_base_PKT3_PKiS7_S2_PS3_PiS9_.uses_vcc, 1
	.set _ZN9rocsparseL44csr2gebsr_wavefront_per_row_multipass_kernelILi256ELi2ELi4ELi8EdEEv20rocsparse_direction_iiiiii21rocsparse_index_base_PKT3_PKiS7_S2_PS3_PiS9_.uses_flat_scratch, 0
	.set _ZN9rocsparseL44csr2gebsr_wavefront_per_row_multipass_kernelILi256ELi2ELi4ELi8EdEEv20rocsparse_direction_iiiiii21rocsparse_index_base_PKT3_PKiS7_S2_PS3_PiS9_.has_dyn_sized_stack, 0
	.set _ZN9rocsparseL44csr2gebsr_wavefront_per_row_multipass_kernelILi256ELi2ELi4ELi8EdEEv20rocsparse_direction_iiiiii21rocsparse_index_base_PKT3_PKiS7_S2_PS3_PiS9_.has_recursion, 0
	.set _ZN9rocsparseL44csr2gebsr_wavefront_per_row_multipass_kernelILi256ELi2ELi4ELi8EdEEv20rocsparse_direction_iiiiii21rocsparse_index_base_PKT3_PKiS7_S2_PS3_PiS9_.has_indirect_call, 0
	.section	.AMDGPU.csdata,"",@progbits
; Kernel info:
; codeLenInByte = 1352
; TotalNumSgprs: 25
; NumVgprs: 34
; ScratchSize: 0
; MemoryBound: 0
; FloatMode: 240
; IeeeMode: 1
; LDSByteSize: 2080 bytes/workgroup (compile time only)
; SGPRBlocks: 0
; VGPRBlocks: 2
; NumSGPRsForWavesPerEU: 25
; NumVGPRsForWavesPerEU: 34
; NamedBarCnt: 0
; Occupancy: 16
; WaveLimiterHint : 0
; COMPUTE_PGM_RSRC2:SCRATCH_EN: 0
; COMPUTE_PGM_RSRC2:USER_SGPR: 2
; COMPUTE_PGM_RSRC2:TRAP_HANDLER: 0
; COMPUTE_PGM_RSRC2:TGID_X_EN: 1
; COMPUTE_PGM_RSRC2:TGID_Y_EN: 0
; COMPUTE_PGM_RSRC2:TGID_Z_EN: 0
; COMPUTE_PGM_RSRC2:TIDIG_COMP_CNT: 0
	.section	.text._ZN9rocsparseL44csr2gebsr_wavefront_per_row_multipass_kernelILi256ELi2ELi8ELi16EdEEv20rocsparse_direction_iiiiii21rocsparse_index_base_PKT3_PKiS7_S2_PS3_PiS9_,"axG",@progbits,_ZN9rocsparseL44csr2gebsr_wavefront_per_row_multipass_kernelILi256ELi2ELi8ELi16EdEEv20rocsparse_direction_iiiiii21rocsparse_index_base_PKT3_PKiS7_S2_PS3_PiS9_,comdat
	.globl	_ZN9rocsparseL44csr2gebsr_wavefront_per_row_multipass_kernelILi256ELi2ELi8ELi16EdEEv20rocsparse_direction_iiiiii21rocsparse_index_base_PKT3_PKiS7_S2_PS3_PiS9_ ; -- Begin function _ZN9rocsparseL44csr2gebsr_wavefront_per_row_multipass_kernelILi256ELi2ELi8ELi16EdEEv20rocsparse_direction_iiiiii21rocsparse_index_base_PKT3_PKiS7_S2_PS3_PiS9_
	.p2align	8
	.type	_ZN9rocsparseL44csr2gebsr_wavefront_per_row_multipass_kernelILi256ELi2ELi8ELi16EdEEv20rocsparse_direction_iiiiii21rocsparse_index_base_PKT3_PKiS7_S2_PS3_PiS9_,@function
_ZN9rocsparseL44csr2gebsr_wavefront_per_row_multipass_kernelILi256ELi2ELi8ELi16EdEEv20rocsparse_direction_iiiiii21rocsparse_index_base_PKT3_PKiS7_S2_PS3_PiS9_: ; @_ZN9rocsparseL44csr2gebsr_wavefront_per_row_multipass_kernelILi256ELi2ELi8ELi16EdEEv20rocsparse_direction_iiiiii21rocsparse_index_base_PKT3_PKiS7_S2_PS3_PiS9_
; %bb.0:
	s_clause 0x1
	s_load_b128 s[4:7], s[0:1], 0xc
	s_load_b64 s[12:13], s[0:1], 0x0
	s_bfe_u32 s2, ttmp6, 0x4000c
	s_and_b32 s3, ttmp6, 15
	s_add_co_i32 s2, s2, 1
	s_getreg_b32 s8, hwreg(HW_REG_IB_STS2, 6, 4)
	s_mul_i32 s2, ttmp9, s2
	v_dual_lshrrev_b32 v18, 4, v0 :: v_dual_mov_b32 v2, 0
	s_add_co_i32 s3, s3, s2
	s_cmp_eq_u32 s8, 0
	v_bfe_u32 v1, v0, 3, 1
	s_cselect_b32 s2, ttmp9, s3
	s_clause 0x1
	s_load_b32 s16, s[0:1], 0x1c
	s_load_b64 s[8:9], s[0:1], 0x28
	v_lshl_or_b32 v3, s2, 4, v18
	v_mov_b32_e32 v6, 0
	s_wait_kmcnt 0x0
	s_delay_alu instid0(VALU_DEP_2) | instskip(SKIP_1) | instid1(VALU_DEP_2)
	v_mad_u32 v4, v3, s6, v1
	v_cmp_gt_i32_e32 vcc_lo, s6, v1
	v_cmp_gt_i32_e64 s2, s13, v4
	s_and_b32 s2, vcc_lo, s2
	s_delay_alu instid0(SALU_CYCLE_1)
	s_and_saveexec_b32 s3, s2
	s_cbranch_execz .LBB74_2
; %bb.1:
	global_load_b32 v5, v4, s[8:9] scale_offset
	s_wait_loadcnt 0x0
	v_subrev_nc_u32_e32 v6, s16, v5
.LBB74_2:
	s_or_b32 exec_lo, exec_lo, s3
	v_mov_b32_e32 v19, 0
	s_and_saveexec_b32 s3, s2
	s_cbranch_execz .LBB74_4
; %bb.3:
	global_load_b32 v4, v4, s[8:9] offset:4 scale_offset
	s_wait_loadcnt 0x0
	v_subrev_nc_u32_e32 v19, s16, v4
.LBB74_4:
	s_or_b32 exec_lo, exec_lo, s3
	s_load_b32 s17, s[0:1], 0x38
	s_mov_b32 s3, exec_lo
	v_cmpx_gt_i32_e64 s4, v3
	s_cbranch_execz .LBB74_6
; %bb.5:
	s_load_b64 s[8:9], s[0:1], 0x48
	s_wait_kmcnt 0x0
	global_load_b32 v2, v3, s[8:9] scale_offset
	s_wait_loadcnt 0x0
	v_subrev_nc_u32_e32 v2, s17, v2
.LBB74_6:
	s_or_b32 exec_lo, exec_lo, s3
	s_cmp_lt_i32 s5, 1
	s_cbranch_scc1 .LBB74_24
; %bb.7:
	v_mbcnt_lo_u32_b32 v3, -1, 0
	v_lshlrev_b32_e32 v5, 6, v1
	v_and_b32_e32 v4, 0xf0, v0
	s_clause 0x3
	s_load_b64 s[2:3], s[0:1], 0x50
	s_load_b64 s[14:15], s[0:1], 0x40
	;; [unrolled: 1-line block ×4, first 2 shown]
	v_mul_lo_u32 v12, s7, v1
	v_xor_b32_e32 v7, 4, v3
	s_mov_b32 s13, 0
	v_lshl_or_b32 v20, v4, 3, v5
	v_mov_b32_e32 v28, 1
	s_wait_xcnt 0x0
	v_cmp_gt_i32_e64 s0, 32, v7
	s_delay_alu instid0(VALU_DEP_1) | instskip(SKIP_1) | instid1(VALU_DEP_2)
	v_dual_cndmask_b32 v4, v3, v7, s0 :: v_dual_bitop2_b32 v0, 7, v0 bitop3:0x40
	v_xor_b32_e32 v8, 2, v3
	v_dual_lshlrev_b32 v10, 3, v0 :: v_dual_bitop2_b32 v7, 1, v3 bitop3:0x14
	v_ashrrev_i32_e32 v13, 31, v12
	s_delay_alu instid0(VALU_DEP_4) | instskip(NEXT) | instid1(VALU_DEP_4)
	v_lshlrev_b32_e32 v21, 2, v4
	v_cmp_gt_i32_e64 s0, 32, v8
	s_delay_alu instid0(VALU_DEP_4)
	v_cmp_gt_i32_e64 s1, 32, v7
	v_mul_lo_u32 v4, s6, v0
	v_or_b32_e32 v25, v20, v10
	s_wait_kmcnt 0x0
	v_lshl_add_u64 v[12:13], v[12:13], 3, s[14:15]
	v_cndmask_b32_e64 v5, v3, v8, s0
	v_cmp_gt_u32_e64 s0, s7, v0
	s_delay_alu instid0(VALU_DEP_2)
	v_dual_lshlrev_b32 v22, 2, v5 :: v_dual_cndmask_b32 v5, v3, v7, s1
	s_and_b32 s4, vcc_lo, s0
	s_cmp_lg_u32 s12, 0
	v_lshlrev_b32_e32 v7, 2, v3
	s_cselect_b32 s18, -1, 0
	s_abs_i32 s19, s7
	v_lshlrev_b32_e32 v23, 2, v5
	s_cvt_f32_u32 s0, s19
	v_mov_b32_e32 v5, 0
	s_mov_b32 s12, s6
	v_or_b32_e32 v24, 28, v7
	v_rcp_iflag_f32_e32 v11, s0
	v_or_b32_e32 v27, 60, v7
	v_lshl_add_u64 v[8:9], v[4:5], 3, s[14:15]
	v_dual_lshlrev_b32 v4, 3, v1 :: v_dual_bitop2_b32 v1, 8, v3 bitop3:0x14
	s_sub_co_i32 s14, 0, s19
	s_ashr_i32 s1, s7, 31
	s_delay_alu instid0(TRANS32_DEP_1)
	v_readfirstlane_b32 s6, v11
	v_mov_b32_e32 v11, v5
	v_cmp_gt_i32_e32 vcc_lo, 32, v1
	v_add_nc_u64_e32 v[8:9], v[8:9], v[4:5]
	s_mov_b32 s0, s7
	s_mul_f32 s6, s6, 0x4f7ffffe
	v_add_nc_u64_e32 v[10:11], v[12:13], v[10:11]
	v_dual_cndmask_b32 v3, v3, v1, vcc_lo :: v_dual_mov_b32 v1, v5
	s_delay_alu instid0(SALU_CYCLE_1) | instskip(SKIP_1) | instid1(VALU_DEP_2)
	s_cvt_u32_f32 s6, s6
	v_mov_b64_e32 v[12:13], 0
	v_lshlrev_b32_e32 v26, 2, v3
	s_delay_alu instid0(SALU_CYCLE_1)
	s_mul_i32 s14, s14, s6
	v_mov_b32_e32 v3, 0
	s_mul_hi_u32 s20, s6, s14
	s_mul_u64 s[14:15], s[0:1], s[12:13]
	s_add_co_i32 s12, s6, s20
	s_mov_b32 s6, s13
	s_branch .LBB74_10
.LBB74_8:                               ;   in Loop: Header=BB74_10 Depth=1
	s_wait_xcnt 0x0
	s_or_b32 exec_lo, exec_lo, s20
	v_mov_b32_e32 v4, 1
.LBB74_9:                               ;   in Loop: Header=BB74_10 Depth=1
	s_or_b32 exec_lo, exec_lo, s0
	ds_bpermute_b32 v3, v26, v29
	s_wait_storecnt_dscnt 0x0
	v_dual_add_nc_u32 v2, v4, v2 :: v_dual_min_i32 v3, v3, v29
	ds_bpermute_b32 v7, v21, v3
	s_wait_dscnt 0x0
	v_min_i32_e32 v3, v7, v3
	ds_bpermute_b32 v7, v22, v3
	s_wait_dscnt 0x0
	v_min_i32_e32 v3, v7, v3
	;; [unrolled: 3-line block ×3, first 2 shown]
	ds_bpermute_b32 v3, v27, v3
	s_wait_dscnt 0x0
	v_cmp_le_i32_e32 vcc_lo, s5, v3
	s_or_b32 s6, vcc_lo, s6
	s_delay_alu instid0(SALU_CYCLE_1)
	s_and_not1_b32 exec_lo, exec_lo, s6
	s_cbranch_execz .LBB74_24
.LBB74_10:                              ; =>This Loop Header: Depth=1
                                        ;     Child Loop BB74_13 Depth 2
	v_dual_mov_b32 v29, s5 :: v_dual_add_nc_u32 v16, v6, v0
	v_mov_b32_e32 v30, v19
	s_mov_b32 s20, exec_lo
	ds_store_b8 v18, v5 offset:2048
	ds_store_b64 v25, v[12:13]
	s_wait_dscnt 0x0
	v_cmpx_lt_i32_e64 v16, v19
	s_cbranch_execz .LBB74_18
; %bb.11:                               ;   in Loop: Header=BB74_10 Depth=1
	v_dual_ashrrev_i32 v7, 31, v6 :: v_dual_mov_b32 v29, s5
	v_mul_lo_u32 v17, v3, s7
	v_mov_b32_e32 v30, v19
	s_mov_b32 s21, 0
	s_delay_alu instid0(VALU_DEP_3) | instskip(NEXT) | instid1(VALU_DEP_1)
	v_add_nc_u64_e32 v[14:15], v[0:1], v[6:7]
	v_lshl_add_u64 v[6:7], v[14:15], 2, s[10:11]
	v_lshl_add_u64 v[14:15], v[14:15], 3, s[8:9]
	s_branch .LBB74_13
.LBB74_12:                              ;   in Loop: Header=BB74_13 Depth=2
	s_wait_xcnt 0x0
	s_or_b32 exec_lo, exec_lo, s0
	v_add_nc_u32_e32 v16, 8, v16
	s_xor_b32 s22, vcc_lo, -1
	v_add_nc_u64_e32 v[6:7], 32, v[6:7]
	v_add_nc_u64_e32 v[14:15], 64, v[14:15]
	s_delay_alu instid0(VALU_DEP_3) | instskip(SKIP_1) | instid1(SALU_CYCLE_1)
	v_cmp_ge_i32_e64 s0, v16, v19
	s_or_b32 s0, s22, s0
	s_and_b32 s0, exec_lo, s0
	s_delay_alu instid0(SALU_CYCLE_1) | instskip(NEXT) | instid1(SALU_CYCLE_1)
	s_or_b32 s21, s0, s21
	s_and_not1_b32 exec_lo, exec_lo, s21
	s_cbranch_execz .LBB74_17
.LBB74_13:                              ;   Parent Loop BB74_10 Depth=1
                                        ; =>  This Inner Loop Header: Depth=2
	global_load_b32 v4, v[6:7], off
	s_wait_loadcnt 0x0
	v_subrev_nc_u32_e32 v31, s16, v4
	s_delay_alu instid0(VALU_DEP_1) | instskip(NEXT) | instid1(VALU_DEP_1)
	v_sub_nc_u32_e32 v4, 0, v31
	v_max_i32_e32 v4, v31, v4
	s_delay_alu instid0(VALU_DEP_1) | instskip(NEXT) | instid1(VALU_DEP_1)
	v_mul_u64_e32 v[32:33], s[12:13], v[4:5]
	v_mul_lo_u32 v32, v33, s19
	s_delay_alu instid0(VALU_DEP_1) | instskip(NEXT) | instid1(VALU_DEP_1)
	v_dual_sub_nc_u32 v4, v4, v32 :: v_dual_add_nc_u32 v32, 1, v33
	v_cmp_le_u32_e32 vcc_lo, s19, v4
	s_delay_alu instid0(VALU_DEP_2) | instskip(SKIP_1) | instid1(VALU_DEP_1)
	v_cndmask_b32_e32 v32, v33, v32, vcc_lo
	v_subrev_nc_u32_e32 v34, s19, v4
	v_dual_cndmask_b32 v4, v4, v34 :: v_dual_ashrrev_i32 v33, 31, v31
	s_delay_alu instid0(VALU_DEP_3) | instskip(NEXT) | instid1(VALU_DEP_2)
	v_add_nc_u32_e32 v34, 1, v32
	v_cmp_le_u32_e32 vcc_lo, s19, v4
	s_delay_alu instid0(VALU_DEP_2) | instskip(NEXT) | instid1(VALU_DEP_1)
	v_dual_cndmask_b32 v4, v32, v34, vcc_lo :: v_dual_bitop2_b32 v33, s1, v33 bitop3:0x14
	v_xor_b32_e32 v4, v4, v33
	s_delay_alu instid0(VALU_DEP_1) | instskip(NEXT) | instid1(VALU_DEP_1)
	v_dual_sub_nc_u32 v32, v4, v33 :: v_dual_mov_b32 v4, v30
	v_cmp_ne_u32_e64 s0, v32, v3
	v_cmp_eq_u32_e32 vcc_lo, v32, v3
	s_wait_xcnt 0x0
	s_and_saveexec_b32 s22, s0
	s_delay_alu instid0(SALU_CYCLE_1)
	s_xor_b32 s0, exec_lo, s22
; %bb.14:                               ;   in Loop: Header=BB74_13 Depth=2
	v_min_i32_e32 v29, v32, v29
                                        ; implicit-def: $vgpr31
                                        ; implicit-def: $vgpr4
; %bb.15:                               ;   in Loop: Header=BB74_13 Depth=2
	s_or_saveexec_b32 s0, s0
	v_mov_b32_e32 v30, v16
	s_xor_b32 exec_lo, exec_lo, s0
	s_cbranch_execz .LBB74_12
; %bb.16:                               ;   in Loop: Header=BB74_13 Depth=2
	global_load_b64 v[32:33], v[14:15], off
	v_sub_nc_u32_e32 v30, v31, v17
	s_delay_alu instid0(VALU_DEP_1)
	v_lshl_add_u32 v31, v30, 3, v20
	v_mov_b32_e32 v30, v4
	ds_store_b8 v18, v28 offset:2048
	s_wait_loadcnt 0x0
	ds_store_b64 v31, v[32:33]
	s_branch .LBB74_12
.LBB74_17:                              ;   in Loop: Header=BB74_10 Depth=1
	s_or_b32 exec_lo, exec_lo, s21
.LBB74_18:                              ;   in Loop: Header=BB74_10 Depth=1
	s_delay_alu instid0(SALU_CYCLE_1)
	s_or_b32 exec_lo, exec_lo, s20
	ds_bpermute_b32 v4, v21, v30
	s_wait_dscnt 0x0
	ds_load_u8 v7, v18 offset:2048
	v_min_i32_e32 v4, v4, v30
	ds_bpermute_b32 v6, v22, v4
	s_wait_dscnt 0x0
	v_min_i32_e32 v4, v6, v4
	ds_bpermute_b32 v6, v23, v4
	s_wait_dscnt 0x0
	v_min_i32_e32 v4, v6, v4
	ds_bpermute_b32 v6, v24, v4
	v_and_b32_e32 v4, 1, v7
	s_delay_alu instid0(VALU_DEP_1)
	v_cmp_eq_u32_e32 vcc_lo, 1, v4
	v_mov_b32_e32 v4, 0
	s_and_saveexec_b32 s0, vcc_lo
	s_cbranch_execz .LBB74_9
; %bb.19:                               ;   in Loop: Header=BB74_10 Depth=1
	v_add_nc_u32_e32 v3, s17, v3
	global_store_b32 v2, v3, s[2:3] scale_offset
	s_wait_xcnt 0x0
	s_and_saveexec_b32 s20, s4
	s_cbranch_execz .LBB74_8
; %bb.20:                               ;   in Loop: Header=BB74_10 Depth=1
	v_ashrrev_i32_e32 v3, 31, v2
	ds_load_b64 v[16:17], v25
	s_and_b32 vcc_lo, exec_lo, s18
	v_mul_u64_e32 v[14:15], s[14:15], v[2:3]
	s_cbranch_vccz .LBB74_22
; %bb.21:                               ;   in Loop: Header=BB74_10 Depth=1
	s_delay_alu instid0(VALU_DEP_1)
	v_lshl_add_u64 v[30:31], v[14:15], 3, v[8:9]
	s_wait_dscnt 0x0
	global_store_b64 v[30:31], v[16:17], off
	s_cbranch_execnz .LBB74_8
	s_branch .LBB74_23
.LBB74_22:                              ;   in Loop: Header=BB74_10 Depth=1
.LBB74_23:                              ;   in Loop: Header=BB74_10 Depth=1
	s_delay_alu instid0(VALU_DEP_1)
	v_lshl_add_u64 v[14:15], v[14:15], 3, v[10:11]
	s_wait_dscnt 0x0
	global_store_b64 v[14:15], v[16:17], off
	s_branch .LBB74_8
.LBB74_24:
	s_endpgm
	.section	.rodata,"a",@progbits
	.p2align	6, 0x0
	.amdhsa_kernel _ZN9rocsparseL44csr2gebsr_wavefront_per_row_multipass_kernelILi256ELi2ELi8ELi16EdEEv20rocsparse_direction_iiiiii21rocsparse_index_base_PKT3_PKiS7_S2_PS3_PiS9_
		.amdhsa_group_segment_fixed_size 2064
		.amdhsa_private_segment_fixed_size 0
		.amdhsa_kernarg_size 88
		.amdhsa_user_sgpr_count 2
		.amdhsa_user_sgpr_dispatch_ptr 0
		.amdhsa_user_sgpr_queue_ptr 0
		.amdhsa_user_sgpr_kernarg_segment_ptr 1
		.amdhsa_user_sgpr_dispatch_id 0
		.amdhsa_user_sgpr_kernarg_preload_length 0
		.amdhsa_user_sgpr_kernarg_preload_offset 0
		.amdhsa_user_sgpr_private_segment_size 0
		.amdhsa_wavefront_size32 1
		.amdhsa_uses_dynamic_stack 0
		.amdhsa_enable_private_segment 0
		.amdhsa_system_sgpr_workgroup_id_x 1
		.amdhsa_system_sgpr_workgroup_id_y 0
		.amdhsa_system_sgpr_workgroup_id_z 0
		.amdhsa_system_sgpr_workgroup_info 0
		.amdhsa_system_vgpr_workitem_id 0
		.amdhsa_next_free_vgpr 35
		.amdhsa_next_free_sgpr 23
		.amdhsa_named_barrier_count 0
		.amdhsa_reserve_vcc 1
		.amdhsa_float_round_mode_32 0
		.amdhsa_float_round_mode_16_64 0
		.amdhsa_float_denorm_mode_32 3
		.amdhsa_float_denorm_mode_16_64 3
		.amdhsa_fp16_overflow 0
		.amdhsa_memory_ordered 1
		.amdhsa_forward_progress 1
		.amdhsa_inst_pref_size 12
		.amdhsa_round_robin_scheduling 0
		.amdhsa_exception_fp_ieee_invalid_op 0
		.amdhsa_exception_fp_denorm_src 0
		.amdhsa_exception_fp_ieee_div_zero 0
		.amdhsa_exception_fp_ieee_overflow 0
		.amdhsa_exception_fp_ieee_underflow 0
		.amdhsa_exception_fp_ieee_inexact 0
		.amdhsa_exception_int_div_zero 0
	.end_amdhsa_kernel
	.section	.text._ZN9rocsparseL44csr2gebsr_wavefront_per_row_multipass_kernelILi256ELi2ELi8ELi16EdEEv20rocsparse_direction_iiiiii21rocsparse_index_base_PKT3_PKiS7_S2_PS3_PiS9_,"axG",@progbits,_ZN9rocsparseL44csr2gebsr_wavefront_per_row_multipass_kernelILi256ELi2ELi8ELi16EdEEv20rocsparse_direction_iiiiii21rocsparse_index_base_PKT3_PKiS7_S2_PS3_PiS9_,comdat
.Lfunc_end74:
	.size	_ZN9rocsparseL44csr2gebsr_wavefront_per_row_multipass_kernelILi256ELi2ELi8ELi16EdEEv20rocsparse_direction_iiiiii21rocsparse_index_base_PKT3_PKiS7_S2_PS3_PiS9_, .Lfunc_end74-_ZN9rocsparseL44csr2gebsr_wavefront_per_row_multipass_kernelILi256ELi2ELi8ELi16EdEEv20rocsparse_direction_iiiiii21rocsparse_index_base_PKT3_PKiS7_S2_PS3_PiS9_
                                        ; -- End function
	.set _ZN9rocsparseL44csr2gebsr_wavefront_per_row_multipass_kernelILi256ELi2ELi8ELi16EdEEv20rocsparse_direction_iiiiii21rocsparse_index_base_PKT3_PKiS7_S2_PS3_PiS9_.num_vgpr, 35
	.set _ZN9rocsparseL44csr2gebsr_wavefront_per_row_multipass_kernelILi256ELi2ELi8ELi16EdEEv20rocsparse_direction_iiiiii21rocsparse_index_base_PKT3_PKiS7_S2_PS3_PiS9_.num_agpr, 0
	.set _ZN9rocsparseL44csr2gebsr_wavefront_per_row_multipass_kernelILi256ELi2ELi8ELi16EdEEv20rocsparse_direction_iiiiii21rocsparse_index_base_PKT3_PKiS7_S2_PS3_PiS9_.numbered_sgpr, 23
	.set _ZN9rocsparseL44csr2gebsr_wavefront_per_row_multipass_kernelILi256ELi2ELi8ELi16EdEEv20rocsparse_direction_iiiiii21rocsparse_index_base_PKT3_PKiS7_S2_PS3_PiS9_.num_named_barrier, 0
	.set _ZN9rocsparseL44csr2gebsr_wavefront_per_row_multipass_kernelILi256ELi2ELi8ELi16EdEEv20rocsparse_direction_iiiiii21rocsparse_index_base_PKT3_PKiS7_S2_PS3_PiS9_.private_seg_size, 0
	.set _ZN9rocsparseL44csr2gebsr_wavefront_per_row_multipass_kernelILi256ELi2ELi8ELi16EdEEv20rocsparse_direction_iiiiii21rocsparse_index_base_PKT3_PKiS7_S2_PS3_PiS9_.uses_vcc, 1
	.set _ZN9rocsparseL44csr2gebsr_wavefront_per_row_multipass_kernelILi256ELi2ELi8ELi16EdEEv20rocsparse_direction_iiiiii21rocsparse_index_base_PKT3_PKiS7_S2_PS3_PiS9_.uses_flat_scratch, 0
	.set _ZN9rocsparseL44csr2gebsr_wavefront_per_row_multipass_kernelILi256ELi2ELi8ELi16EdEEv20rocsparse_direction_iiiiii21rocsparse_index_base_PKT3_PKiS7_S2_PS3_PiS9_.has_dyn_sized_stack, 0
	.set _ZN9rocsparseL44csr2gebsr_wavefront_per_row_multipass_kernelILi256ELi2ELi8ELi16EdEEv20rocsparse_direction_iiiiii21rocsparse_index_base_PKT3_PKiS7_S2_PS3_PiS9_.has_recursion, 0
	.set _ZN9rocsparseL44csr2gebsr_wavefront_per_row_multipass_kernelILi256ELi2ELi8ELi16EdEEv20rocsparse_direction_iiiiii21rocsparse_index_base_PKT3_PKiS7_S2_PS3_PiS9_.has_indirect_call, 0
	.section	.AMDGPU.csdata,"",@progbits
; Kernel info:
; codeLenInByte = 1416
; TotalNumSgprs: 25
; NumVgprs: 35
; ScratchSize: 0
; MemoryBound: 0
; FloatMode: 240
; IeeeMode: 1
; LDSByteSize: 2064 bytes/workgroup (compile time only)
; SGPRBlocks: 0
; VGPRBlocks: 2
; NumSGPRsForWavesPerEU: 25
; NumVGPRsForWavesPerEU: 35
; NamedBarCnt: 0
; Occupancy: 16
; WaveLimiterHint : 0
; COMPUTE_PGM_RSRC2:SCRATCH_EN: 0
; COMPUTE_PGM_RSRC2:USER_SGPR: 2
; COMPUTE_PGM_RSRC2:TRAP_HANDLER: 0
; COMPUTE_PGM_RSRC2:TGID_X_EN: 1
; COMPUTE_PGM_RSRC2:TGID_Y_EN: 0
; COMPUTE_PGM_RSRC2:TGID_Z_EN: 0
; COMPUTE_PGM_RSRC2:TIDIG_COMP_CNT: 0
	.section	.text._ZN9rocsparseL44csr2gebsr_wavefront_per_row_multipass_kernelILi256ELi2ELi16ELi32EdEEv20rocsparse_direction_iiiiii21rocsparse_index_base_PKT3_PKiS7_S2_PS3_PiS9_,"axG",@progbits,_ZN9rocsparseL44csr2gebsr_wavefront_per_row_multipass_kernelILi256ELi2ELi16ELi32EdEEv20rocsparse_direction_iiiiii21rocsparse_index_base_PKT3_PKiS7_S2_PS3_PiS9_,comdat
	.globl	_ZN9rocsparseL44csr2gebsr_wavefront_per_row_multipass_kernelILi256ELi2ELi16ELi32EdEEv20rocsparse_direction_iiiiii21rocsparse_index_base_PKT3_PKiS7_S2_PS3_PiS9_ ; -- Begin function _ZN9rocsparseL44csr2gebsr_wavefront_per_row_multipass_kernelILi256ELi2ELi16ELi32EdEEv20rocsparse_direction_iiiiii21rocsparse_index_base_PKT3_PKiS7_S2_PS3_PiS9_
	.p2align	8
	.type	_ZN9rocsparseL44csr2gebsr_wavefront_per_row_multipass_kernelILi256ELi2ELi16ELi32EdEEv20rocsparse_direction_iiiiii21rocsparse_index_base_PKT3_PKiS7_S2_PS3_PiS9_,@function
_ZN9rocsparseL44csr2gebsr_wavefront_per_row_multipass_kernelILi256ELi2ELi16ELi32EdEEv20rocsparse_direction_iiiiii21rocsparse_index_base_PKT3_PKiS7_S2_PS3_PiS9_: ; @_ZN9rocsparseL44csr2gebsr_wavefront_per_row_multipass_kernelILi256ELi2ELi16ELi32EdEEv20rocsparse_direction_iiiiii21rocsparse_index_base_PKT3_PKiS7_S2_PS3_PiS9_
; %bb.0:
	s_clause 0x1
	s_load_b128 s[4:7], s[0:1], 0xc
	s_load_b64 s[12:13], s[0:1], 0x0
	s_bfe_u32 s2, ttmp6, 0x4000c
	s_and_b32 s3, ttmp6, 15
	s_add_co_i32 s2, s2, 1
	s_getreg_b32 s8, hwreg(HW_REG_IB_STS2, 6, 4)
	s_mul_i32 s2, ttmp9, s2
	v_dual_lshrrev_b32 v18, 5, v0 :: v_dual_mov_b32 v2, 0
	s_add_co_i32 s3, s3, s2
	s_cmp_eq_u32 s8, 0
	v_bfe_u32 v1, v0, 4, 1
	s_cselect_b32 s2, ttmp9, s3
	s_clause 0x1
	s_load_b32 s16, s[0:1], 0x1c
	s_load_b64 s[8:9], s[0:1], 0x28
	v_lshl_or_b32 v3, s2, 3, v18
	v_mov_b32_e32 v6, 0
	s_wait_kmcnt 0x0
	s_delay_alu instid0(VALU_DEP_2) | instskip(SKIP_1) | instid1(VALU_DEP_2)
	v_mad_u32 v4, v3, s6, v1
	v_cmp_gt_i32_e32 vcc_lo, s6, v1
	v_cmp_gt_i32_e64 s2, s13, v4
	s_and_b32 s2, vcc_lo, s2
	s_delay_alu instid0(SALU_CYCLE_1)
	s_and_saveexec_b32 s3, s2
	s_cbranch_execz .LBB75_2
; %bb.1:
	global_load_b32 v5, v4, s[8:9] scale_offset
	s_wait_loadcnt 0x0
	v_subrev_nc_u32_e32 v6, s16, v5
.LBB75_2:
	s_or_b32 exec_lo, exec_lo, s3
	v_mov_b32_e32 v19, 0
	s_and_saveexec_b32 s3, s2
	s_cbranch_execz .LBB75_4
; %bb.3:
	global_load_b32 v4, v4, s[8:9] offset:4 scale_offset
	s_wait_loadcnt 0x0
	v_subrev_nc_u32_e32 v19, s16, v4
.LBB75_4:
	s_or_b32 exec_lo, exec_lo, s3
	s_load_b32 s17, s[0:1], 0x38
	s_mov_b32 s3, exec_lo
	v_cmpx_gt_i32_e64 s4, v3
	s_cbranch_execz .LBB75_6
; %bb.5:
	s_load_b64 s[8:9], s[0:1], 0x48
	s_wait_kmcnt 0x0
	global_load_b32 v2, v3, s[8:9] scale_offset
	s_wait_loadcnt 0x0
	v_subrev_nc_u32_e32 v2, s17, v2
.LBB75_6:
	s_or_b32 exec_lo, exec_lo, s3
	s_cmp_lt_i32 s5, 1
	s_cbranch_scc1 .LBB75_24
; %bb.7:
	v_and_b32_e32 v3, 0xe0, v0
	v_dual_lshlrev_b32 v4, 7, v1 :: v_dual_bitop2_b32 v0, 15, v0 bitop3:0x40
	v_mbcnt_lo_u32_b32 v7, -1, 0
	s_clause 0x3
	s_load_b64 s[2:3], s[0:1], 0x50
	s_load_b64 s[14:15], s[0:1], 0x40
	;; [unrolled: 1-line block ×4, first 2 shown]
	v_mul_lo_u32 v12, s7, v1
	v_lshl_or_b32 v20, v3, 3, v4
	v_dual_mov_b32 v28, 0x7c :: v_dual_mov_b32 v29, 1
	v_xor_b32_e32 v4, 2, v7
	v_xor_b32_e32 v5, 8, v7
	v_lshl_or_b32 v25, v7, 2, 60
	s_mov_b32 s13, 0
	v_lshlrev_b32_e32 v10, 3, v0
	s_wait_xcnt 0x0
	v_cmp_gt_i32_e64 s0, 32, v5
	v_dual_ashrrev_i32 v13, 31, v12 :: v_dual_bitop2_b32 v3, 4, v7 bitop3:0x14
	s_delay_alu instid0(VALU_DEP_2) | instskip(NEXT) | instid1(VALU_DEP_2)
	v_dual_cndmask_b32 v5, v7, v5, s0 :: v_dual_bitop2_b32 v26, v20, v10 bitop3:0x54
	v_cmp_gt_i32_e64 s0, 32, v3
	s_delay_alu instid0(VALU_DEP_1) | instskip(SKIP_1) | instid1(VALU_DEP_1)
	v_dual_lshlrev_b32 v21, 2, v5 :: v_dual_cndmask_b32 v3, v7, v3, s0
	v_cmp_gt_i32_e64 s0, 32, v4
	v_dual_cndmask_b32 v4, v7, v4, s0 :: v_dual_bitop2_b32 v5, 1, v7 bitop3:0x14
	v_cmp_gt_u32_e64 s0, s7, v0
	s_delay_alu instid0(VALU_DEP_2)
	v_lshlrev_b32_e32 v23, 2, v4
	s_and_b32 s4, vcc_lo, s0
	v_cmp_gt_i32_e32 vcc_lo, 32, v5
	s_cmp_lg_u32 s12, 0
	v_lshlrev_b32_e32 v22, 2, v3
	s_cselect_b32 s18, -1, 0
	s_abs_i32 s19, s7
	v_cndmask_b32_e32 v3, v7, v5, vcc_lo
	v_mul_lo_u32 v4, s6, v0
	s_cvt_f32_u32 s0, s19
	v_mov_b32_e32 v5, 0
	s_mov_b32 s12, s6
	v_lshlrev_b32_e32 v24, 2, v3
	v_rcp_iflag_f32_e32 v3, s0
	s_ashr_i32 s1, s7, 31
	s_mov_b32 s0, s7
	s_wait_kmcnt 0x0
	s_delay_alu instid0(VALU_DEP_3) | instskip(SKIP_1) | instid1(TRANS32_DEP_1)
	v_lshl_add_u64 v[8:9], v[4:5], 3, s[14:15]
	v_dual_lshlrev_b32 v4, 3, v1 :: v_dual_bitop2_b32 v1, 16, v7 bitop3:0x14
	v_readfirstlane_b32 s6, v3
	v_lshl_add_u64 v[12:13], v[12:13], 3, s[14:15]
	s_sub_co_i32 s14, 0, s19
	v_add_nc_u64_e32 v[8:9], v[8:9], v[4:5]
	v_cmp_gt_i32_e32 vcc_lo, 32, v1
	s_mul_f32 s6, s6, 0x4f7ffffe
	v_dual_mov_b32 v11, v5 :: v_dual_cndmask_b32 v3, v7, v1, vcc_lo
	s_delay_alu instid0(SALU_CYCLE_2) | instskip(NEXT) | instid1(VALU_DEP_1)
	s_cvt_u32_f32 s6, s6
	v_add_nc_u64_e32 v[10:11], v[12:13], v[10:11]
	v_mov_b64_e32 v[12:13], 0
	s_delay_alu instid0(VALU_DEP_3)
	v_dual_mov_b32 v1, v5 :: v_dual_lshlrev_b32 v27, 2, v3
	s_mul_i32 s14, s14, s6
	v_mov_b32_e32 v3, 0
	s_mul_hi_u32 s20, s6, s14
	s_mul_u64 s[14:15], s[0:1], s[12:13]
	s_add_co_i32 s12, s6, s20
	s_mov_b32 s6, s13
	s_branch .LBB75_10
.LBB75_8:                               ;   in Loop: Header=BB75_10 Depth=1
	s_wait_xcnt 0x0
	s_or_b32 exec_lo, exec_lo, s20
	v_mov_b32_e32 v4, 1
.LBB75_9:                               ;   in Loop: Header=BB75_10 Depth=1
	s_or_b32 exec_lo, exec_lo, s0
	ds_bpermute_b32 v3, v27, v30
	s_wait_storecnt_dscnt 0x0
	v_add_nc_u32_e32 v2, v4, v2
	v_min_i32_e32 v3, v3, v30
	ds_bpermute_b32 v7, v21, v3
	s_wait_dscnt 0x0
	v_min_i32_e32 v3, v7, v3
	ds_bpermute_b32 v7, v22, v3
	s_wait_dscnt 0x0
	;; [unrolled: 3-line block ×5, first 2 shown]
	v_cmp_le_i32_e32 vcc_lo, s5, v3
	s_or_b32 s6, vcc_lo, s6
	s_delay_alu instid0(SALU_CYCLE_1)
	s_and_not1_b32 exec_lo, exec_lo, s6
	s_cbranch_execz .LBB75_24
.LBB75_10:                              ; =>This Loop Header: Depth=1
                                        ;     Child Loop BB75_13 Depth 2
	v_dual_add_nc_u32 v16, v6, v0 :: v_dual_mov_b32 v30, s5
	v_mov_b32_e32 v31, v19
	s_mov_b32 s20, exec_lo
	ds_store_b8 v18, v5 offset:2048
	ds_store_b64 v26, v[12:13]
	s_wait_dscnt 0x0
	v_cmpx_lt_i32_e64 v16, v19
	s_cbranch_execz .LBB75_18
; %bb.11:                               ;   in Loop: Header=BB75_10 Depth=1
	v_dual_mov_b32 v30, s5 :: v_dual_ashrrev_i32 v7, 31, v6
	v_mul_lo_u32 v17, v3, s7
	v_mov_b32_e32 v31, v19
	s_mov_b32 s21, 0
	s_delay_alu instid0(VALU_DEP_3) | instskip(NEXT) | instid1(VALU_DEP_1)
	v_add_nc_u64_e32 v[14:15], v[0:1], v[6:7]
	v_lshl_add_u64 v[6:7], v[14:15], 2, s[10:11]
	v_lshl_add_u64 v[14:15], v[14:15], 3, s[8:9]
	s_branch .LBB75_13
.LBB75_12:                              ;   in Loop: Header=BB75_13 Depth=2
	s_wait_xcnt 0x0
	s_or_b32 exec_lo, exec_lo, s0
	v_add_nc_u32_e32 v16, 16, v16
	s_xor_b32 s22, vcc_lo, -1
	v_add_nc_u64_e32 v[6:7], 64, v[6:7]
	v_add_nc_u64_e32 v[14:15], 0x80, v[14:15]
	s_delay_alu instid0(VALU_DEP_3) | instskip(SKIP_1) | instid1(SALU_CYCLE_1)
	v_cmp_ge_i32_e64 s0, v16, v19
	s_or_b32 s0, s22, s0
	s_and_b32 s0, exec_lo, s0
	s_delay_alu instid0(SALU_CYCLE_1) | instskip(NEXT) | instid1(SALU_CYCLE_1)
	s_or_b32 s21, s0, s21
	s_and_not1_b32 exec_lo, exec_lo, s21
	s_cbranch_execz .LBB75_17
.LBB75_13:                              ;   Parent Loop BB75_10 Depth=1
                                        ; =>  This Inner Loop Header: Depth=2
	global_load_b32 v4, v[6:7], off
	s_wait_loadcnt 0x0
	v_subrev_nc_u32_e32 v32, s16, v4
	s_delay_alu instid0(VALU_DEP_1) | instskip(NEXT) | instid1(VALU_DEP_1)
	v_sub_nc_u32_e32 v4, 0, v32
	v_max_i32_e32 v4, v32, v4
	s_delay_alu instid0(VALU_DEP_1) | instskip(NEXT) | instid1(VALU_DEP_1)
	v_mul_u64_e32 v[34:35], s[12:13], v[4:5]
	v_mul_lo_u32 v33, v35, s19
	s_delay_alu instid0(VALU_DEP_1) | instskip(NEXT) | instid1(VALU_DEP_1)
	v_dual_sub_nc_u32 v4, v4, v33 :: v_dual_add_nc_u32 v33, 1, v35
	v_cmp_le_u32_e32 vcc_lo, s19, v4
	s_delay_alu instid0(VALU_DEP_2) | instskip(SKIP_1) | instid1(VALU_DEP_1)
	v_dual_cndmask_b32 v33, v35, v33, vcc_lo :: v_dual_ashrrev_i32 v35, 31, v32
	v_subrev_nc_u32_e32 v34, s19, v4
	v_dual_cndmask_b32 v4, v4, v34, vcc_lo :: v_dual_add_nc_u32 v34, 1, v33
	s_delay_alu instid0(VALU_DEP_1) | instskip(NEXT) | instid1(VALU_DEP_2)
	v_cmp_le_u32_e32 vcc_lo, s19, v4
	v_dual_cndmask_b32 v4, v33, v34, vcc_lo :: v_dual_bitop2_b32 v35, s1, v35 bitop3:0x14
	s_delay_alu instid0(VALU_DEP_1) | instskip(NEXT) | instid1(VALU_DEP_1)
	v_xor_b32_e32 v4, v4, v35
	v_dual_mov_b32 v4, v31 :: v_dual_sub_nc_u32 v33, v4, v35
	s_delay_alu instid0(VALU_DEP_1) | instskip(SKIP_3) | instid1(SALU_CYCLE_1)
	v_cmp_ne_u32_e64 s0, v33, v3
	v_cmp_eq_u32_e32 vcc_lo, v33, v3
	s_wait_xcnt 0x0
	s_and_saveexec_b32 s22, s0
	s_xor_b32 s0, exec_lo, s22
; %bb.14:                               ;   in Loop: Header=BB75_13 Depth=2
	v_min_i32_e32 v30, v33, v30
                                        ; implicit-def: $vgpr32
                                        ; implicit-def: $vgpr4
; %bb.15:                               ;   in Loop: Header=BB75_13 Depth=2
	s_or_saveexec_b32 s0, s0
	v_mov_b32_e32 v31, v16
	s_xor_b32 exec_lo, exec_lo, s0
	s_cbranch_execz .LBB75_12
; %bb.16:                               ;   in Loop: Header=BB75_13 Depth=2
	global_load_b64 v[34:35], v[14:15], off
	v_sub_nc_u32_e32 v31, v32, v17
	s_delay_alu instid0(VALU_DEP_1)
	v_lshl_add_u32 v32, v31, 3, v20
	v_mov_b32_e32 v31, v4
	ds_store_b8 v18, v29 offset:2048
	s_wait_loadcnt 0x0
	ds_store_b64 v32, v[34:35]
	s_branch .LBB75_12
.LBB75_17:                              ;   in Loop: Header=BB75_10 Depth=1
	s_or_b32 exec_lo, exec_lo, s21
.LBB75_18:                              ;   in Loop: Header=BB75_10 Depth=1
	s_delay_alu instid0(SALU_CYCLE_1)
	s_or_b32 exec_lo, exec_lo, s20
	ds_bpermute_b32 v4, v21, v31
	s_wait_dscnt 0x0
	ds_load_u8 v7, v18 offset:2048
	v_min_i32_e32 v4, v4, v31
	ds_bpermute_b32 v6, v22, v4
	s_wait_dscnt 0x0
	v_min_i32_e32 v4, v6, v4
	ds_bpermute_b32 v6, v23, v4
	s_wait_dscnt 0x0
	;; [unrolled: 3-line block ×3, first 2 shown]
	v_min_i32_e32 v4, v6, v4
	ds_bpermute_b32 v6, v25, v4
	v_and_b32_e32 v4, 1, v7
	s_delay_alu instid0(VALU_DEP_1)
	v_cmp_eq_u32_e32 vcc_lo, 1, v4
	v_mov_b32_e32 v4, 0
	s_and_saveexec_b32 s0, vcc_lo
	s_cbranch_execz .LBB75_9
; %bb.19:                               ;   in Loop: Header=BB75_10 Depth=1
	v_add_nc_u32_e32 v3, s17, v3
	global_store_b32 v2, v3, s[2:3] scale_offset
	s_wait_xcnt 0x0
	s_and_saveexec_b32 s20, s4
	s_cbranch_execz .LBB75_8
; %bb.20:                               ;   in Loop: Header=BB75_10 Depth=1
	v_ashrrev_i32_e32 v3, 31, v2
	ds_load_b64 v[16:17], v26
	s_and_b32 vcc_lo, exec_lo, s18
	v_mul_u64_e32 v[14:15], s[14:15], v[2:3]
	s_cbranch_vccz .LBB75_22
; %bb.21:                               ;   in Loop: Header=BB75_10 Depth=1
	s_delay_alu instid0(VALU_DEP_1)
	v_lshl_add_u64 v[32:33], v[14:15], 3, v[8:9]
	s_wait_dscnt 0x0
	global_store_b64 v[32:33], v[16:17], off
	s_cbranch_execnz .LBB75_8
	s_branch .LBB75_23
.LBB75_22:                              ;   in Loop: Header=BB75_10 Depth=1
.LBB75_23:                              ;   in Loop: Header=BB75_10 Depth=1
	s_delay_alu instid0(VALU_DEP_1)
	v_lshl_add_u64 v[14:15], v[14:15], 3, v[10:11]
	s_wait_dscnt 0x0
	global_store_b64 v[14:15], v[16:17], off
	s_branch .LBB75_8
.LBB75_24:
	s_endpgm
	.section	.rodata,"a",@progbits
	.p2align	6, 0x0
	.amdhsa_kernel _ZN9rocsparseL44csr2gebsr_wavefront_per_row_multipass_kernelILi256ELi2ELi16ELi32EdEEv20rocsparse_direction_iiiiii21rocsparse_index_base_PKT3_PKiS7_S2_PS3_PiS9_
		.amdhsa_group_segment_fixed_size 2056
		.amdhsa_private_segment_fixed_size 0
		.amdhsa_kernarg_size 88
		.amdhsa_user_sgpr_count 2
		.amdhsa_user_sgpr_dispatch_ptr 0
		.amdhsa_user_sgpr_queue_ptr 0
		.amdhsa_user_sgpr_kernarg_segment_ptr 1
		.amdhsa_user_sgpr_dispatch_id 0
		.amdhsa_user_sgpr_kernarg_preload_length 0
		.amdhsa_user_sgpr_kernarg_preload_offset 0
		.amdhsa_user_sgpr_private_segment_size 0
		.amdhsa_wavefront_size32 1
		.amdhsa_uses_dynamic_stack 0
		.amdhsa_enable_private_segment 0
		.amdhsa_system_sgpr_workgroup_id_x 1
		.amdhsa_system_sgpr_workgroup_id_y 0
		.amdhsa_system_sgpr_workgroup_id_z 0
		.amdhsa_system_sgpr_workgroup_info 0
		.amdhsa_system_vgpr_workitem_id 0
		.amdhsa_next_free_vgpr 36
		.amdhsa_next_free_sgpr 23
		.amdhsa_named_barrier_count 0
		.amdhsa_reserve_vcc 1
		.amdhsa_float_round_mode_32 0
		.amdhsa_float_round_mode_16_64 0
		.amdhsa_float_denorm_mode_32 3
		.amdhsa_float_denorm_mode_16_64 3
		.amdhsa_fp16_overflow 0
		.amdhsa_memory_ordered 1
		.amdhsa_forward_progress 1
		.amdhsa_inst_pref_size 12
		.amdhsa_round_robin_scheduling 0
		.amdhsa_exception_fp_ieee_invalid_op 0
		.amdhsa_exception_fp_denorm_src 0
		.amdhsa_exception_fp_ieee_div_zero 0
		.amdhsa_exception_fp_ieee_overflow 0
		.amdhsa_exception_fp_ieee_underflow 0
		.amdhsa_exception_fp_ieee_inexact 0
		.amdhsa_exception_int_div_zero 0
	.end_amdhsa_kernel
	.section	.text._ZN9rocsparseL44csr2gebsr_wavefront_per_row_multipass_kernelILi256ELi2ELi16ELi32EdEEv20rocsparse_direction_iiiiii21rocsparse_index_base_PKT3_PKiS7_S2_PS3_PiS9_,"axG",@progbits,_ZN9rocsparseL44csr2gebsr_wavefront_per_row_multipass_kernelILi256ELi2ELi16ELi32EdEEv20rocsparse_direction_iiiiii21rocsparse_index_base_PKT3_PKiS7_S2_PS3_PiS9_,comdat
.Lfunc_end75:
	.size	_ZN9rocsparseL44csr2gebsr_wavefront_per_row_multipass_kernelILi256ELi2ELi16ELi32EdEEv20rocsparse_direction_iiiiii21rocsparse_index_base_PKT3_PKiS7_S2_PS3_PiS9_, .Lfunc_end75-_ZN9rocsparseL44csr2gebsr_wavefront_per_row_multipass_kernelILi256ELi2ELi16ELi32EdEEv20rocsparse_direction_iiiiii21rocsparse_index_base_PKT3_PKiS7_S2_PS3_PiS9_
                                        ; -- End function
	.set _ZN9rocsparseL44csr2gebsr_wavefront_per_row_multipass_kernelILi256ELi2ELi16ELi32EdEEv20rocsparse_direction_iiiiii21rocsparse_index_base_PKT3_PKiS7_S2_PS3_PiS9_.num_vgpr, 36
	.set _ZN9rocsparseL44csr2gebsr_wavefront_per_row_multipass_kernelILi256ELi2ELi16ELi32EdEEv20rocsparse_direction_iiiiii21rocsparse_index_base_PKT3_PKiS7_S2_PS3_PiS9_.num_agpr, 0
	.set _ZN9rocsparseL44csr2gebsr_wavefront_per_row_multipass_kernelILi256ELi2ELi16ELi32EdEEv20rocsparse_direction_iiiiii21rocsparse_index_base_PKT3_PKiS7_S2_PS3_PiS9_.numbered_sgpr, 23
	.set _ZN9rocsparseL44csr2gebsr_wavefront_per_row_multipass_kernelILi256ELi2ELi16ELi32EdEEv20rocsparse_direction_iiiiii21rocsparse_index_base_PKT3_PKiS7_S2_PS3_PiS9_.num_named_barrier, 0
	.set _ZN9rocsparseL44csr2gebsr_wavefront_per_row_multipass_kernelILi256ELi2ELi16ELi32EdEEv20rocsparse_direction_iiiiii21rocsparse_index_base_PKT3_PKiS7_S2_PS3_PiS9_.private_seg_size, 0
	.set _ZN9rocsparseL44csr2gebsr_wavefront_per_row_multipass_kernelILi256ELi2ELi16ELi32EdEEv20rocsparse_direction_iiiiii21rocsparse_index_base_PKT3_PKiS7_S2_PS3_PiS9_.uses_vcc, 1
	.set _ZN9rocsparseL44csr2gebsr_wavefront_per_row_multipass_kernelILi256ELi2ELi16ELi32EdEEv20rocsparse_direction_iiiiii21rocsparse_index_base_PKT3_PKiS7_S2_PS3_PiS9_.uses_flat_scratch, 0
	.set _ZN9rocsparseL44csr2gebsr_wavefront_per_row_multipass_kernelILi256ELi2ELi16ELi32EdEEv20rocsparse_direction_iiiiii21rocsparse_index_base_PKT3_PKiS7_S2_PS3_PiS9_.has_dyn_sized_stack, 0
	.set _ZN9rocsparseL44csr2gebsr_wavefront_per_row_multipass_kernelILi256ELi2ELi16ELi32EdEEv20rocsparse_direction_iiiiii21rocsparse_index_base_PKT3_PKiS7_S2_PS3_PiS9_.has_recursion, 0
	.set _ZN9rocsparseL44csr2gebsr_wavefront_per_row_multipass_kernelILi256ELi2ELi16ELi32EdEEv20rocsparse_direction_iiiiii21rocsparse_index_base_PKT3_PKiS7_S2_PS3_PiS9_.has_indirect_call, 0
	.section	.AMDGPU.csdata,"",@progbits
; Kernel info:
; codeLenInByte = 1472
; TotalNumSgprs: 25
; NumVgprs: 36
; ScratchSize: 0
; MemoryBound: 0
; FloatMode: 240
; IeeeMode: 1
; LDSByteSize: 2056 bytes/workgroup (compile time only)
; SGPRBlocks: 0
; VGPRBlocks: 2
; NumSGPRsForWavesPerEU: 25
; NumVGPRsForWavesPerEU: 36
; NamedBarCnt: 0
; Occupancy: 16
; WaveLimiterHint : 0
; COMPUTE_PGM_RSRC2:SCRATCH_EN: 0
; COMPUTE_PGM_RSRC2:USER_SGPR: 2
; COMPUTE_PGM_RSRC2:TRAP_HANDLER: 0
; COMPUTE_PGM_RSRC2:TGID_X_EN: 1
; COMPUTE_PGM_RSRC2:TGID_Y_EN: 0
; COMPUTE_PGM_RSRC2:TGID_Z_EN: 0
; COMPUTE_PGM_RSRC2:TIDIG_COMP_CNT: 0
	.section	.text._ZN9rocsparseL44csr2gebsr_wavefront_per_row_multipass_kernelILi256ELi2ELi32ELi64EdEEv20rocsparse_direction_iiiiii21rocsparse_index_base_PKT3_PKiS7_S2_PS3_PiS9_,"axG",@progbits,_ZN9rocsparseL44csr2gebsr_wavefront_per_row_multipass_kernelILi256ELi2ELi32ELi64EdEEv20rocsparse_direction_iiiiii21rocsparse_index_base_PKT3_PKiS7_S2_PS3_PiS9_,comdat
	.globl	_ZN9rocsparseL44csr2gebsr_wavefront_per_row_multipass_kernelILi256ELi2ELi32ELi64EdEEv20rocsparse_direction_iiiiii21rocsparse_index_base_PKT3_PKiS7_S2_PS3_PiS9_ ; -- Begin function _ZN9rocsparseL44csr2gebsr_wavefront_per_row_multipass_kernelILi256ELi2ELi32ELi64EdEEv20rocsparse_direction_iiiiii21rocsparse_index_base_PKT3_PKiS7_S2_PS3_PiS9_
	.p2align	8
	.type	_ZN9rocsparseL44csr2gebsr_wavefront_per_row_multipass_kernelILi256ELi2ELi32ELi64EdEEv20rocsparse_direction_iiiiii21rocsparse_index_base_PKT3_PKiS7_S2_PS3_PiS9_,@function
_ZN9rocsparseL44csr2gebsr_wavefront_per_row_multipass_kernelILi256ELi2ELi32ELi64EdEEv20rocsparse_direction_iiiiii21rocsparse_index_base_PKT3_PKiS7_S2_PS3_PiS9_: ; @_ZN9rocsparseL44csr2gebsr_wavefront_per_row_multipass_kernelILi256ELi2ELi32ELi64EdEEv20rocsparse_direction_iiiiii21rocsparse_index_base_PKT3_PKiS7_S2_PS3_PiS9_
; %bb.0:
	s_clause 0x1
	s_load_b128 s[4:7], s[0:1], 0xc
	s_load_b64 s[12:13], s[0:1], 0x0
	s_bfe_u32 s2, ttmp6, 0x4000c
	s_and_b32 s3, ttmp6, 15
	s_add_co_i32 s2, s2, 1
	s_getreg_b32 s8, hwreg(HW_REG_IB_STS2, 6, 4)
	s_mul_i32 s2, ttmp9, s2
	v_dual_lshrrev_b32 v18, 6, v0 :: v_dual_mov_b32 v2, 0
	s_add_co_i32 s3, s3, s2
	s_cmp_eq_u32 s8, 0
	v_bfe_u32 v3, v0, 5, 1
	s_cselect_b32 s2, ttmp9, s3
	s_clause 0x1
	s_load_b32 s16, s[0:1], 0x1c
	s_load_b64 s[8:9], s[0:1], 0x28
	v_lshl_or_b32 v1, s2, 2, v18
	v_mov_b32_e32 v6, 0
	s_wait_kmcnt 0x0
	s_delay_alu instid0(VALU_DEP_2) | instskip(SKIP_1) | instid1(VALU_DEP_2)
	v_mad_u32 v4, v1, s6, v3
	v_cmp_gt_i32_e32 vcc_lo, s6, v3
	v_cmp_gt_i32_e64 s2, s13, v4
	s_and_b32 s2, vcc_lo, s2
	s_delay_alu instid0(SALU_CYCLE_1)
	s_and_saveexec_b32 s3, s2
	s_cbranch_execz .LBB76_2
; %bb.1:
	global_load_b32 v5, v4, s[8:9] scale_offset
	s_wait_loadcnt 0x0
	v_subrev_nc_u32_e32 v6, s16, v5
.LBB76_2:
	s_or_b32 exec_lo, exec_lo, s3
	v_mov_b32_e32 v19, 0
	s_and_saveexec_b32 s3, s2
	s_cbranch_execz .LBB76_4
; %bb.3:
	global_load_b32 v4, v4, s[8:9] offset:4 scale_offset
	s_wait_loadcnt 0x0
	v_subrev_nc_u32_e32 v19, s16, v4
.LBB76_4:
	s_or_b32 exec_lo, exec_lo, s3
	s_load_b32 s17, s[0:1], 0x38
	s_mov_b32 s3, exec_lo
	v_cmpx_gt_i32_e64 s4, v1
	s_cbranch_execz .LBB76_6
; %bb.5:
	s_load_b64 s[8:9], s[0:1], 0x48
	s_wait_kmcnt 0x0
	global_load_b32 v1, v1, s[8:9] scale_offset
	s_wait_loadcnt 0x0
	v_subrev_nc_u32_e32 v2, s17, v1
.LBB76_6:
	s_or_b32 exec_lo, exec_lo, s3
	s_cmp_lt_i32 s5, 1
	s_cbranch_scc1 .LBB76_24
; %bb.7:
	v_mbcnt_lo_u32_b32 v5, -1, 0
	s_clause 0x3
	s_load_b64 s[2:3], s[0:1], 0x50
	s_load_b64 s[14:15], s[0:1], 0x40
	;; [unrolled: 1-line block ×4, first 2 shown]
	v_mul_lo_u32 v12, s7, v3
	v_mov_b32_e32 v26, 0x7c
	v_bfrev_b32_e32 v29, 0.5
	v_dual_lshlrev_b32 v7, 8, v3 :: v_dual_bitop2_b32 v1, 16, v5 bitop3:0x14
	s_mov_b32 s13, 0
	v_mov_b32_e32 v30, 1
	s_wait_xcnt 0x0
	s_delay_alu instid0(VALU_DEP_2) | instskip(SKIP_2) | instid1(VALU_DEP_3)
	v_cmp_gt_i32_e64 s0, 32, v1
	v_and_b32_e32 v4, 31, v0
	v_and_b32_e32 v0, 0xc0, v0
	v_dual_ashrrev_i32 v13, 31, v12 :: v_dual_cndmask_b32 v1, v5, v1, s0
	s_delay_alu instid0(VALU_DEP_2) | instskip(SKIP_2) | instid1(VALU_DEP_4)
	v_lshl_or_b32 v20, v0, 3, v7
	v_xor_b32_e32 v0, 4, v5
	v_xor_b32_e32 v8, 8, v5
	v_lshlrev_b32_e32 v21, 2, v1
	s_delay_alu instid0(VALU_DEP_2) | instskip(NEXT) | instid1(VALU_DEP_1)
	v_cmp_gt_i32_e64 s0, 32, v8
	v_dual_cndmask_b32 v7, v5, v8, s0 :: v_dual_bitop2_b32 v1, 2, v5 bitop3:0x14
	v_cmp_gt_i32_e64 s0, 32, v0
	s_delay_alu instid0(VALU_DEP_1) | instskip(NEXT) | instid1(VALU_DEP_3)
	v_dual_lshlrev_b32 v22, 2, v7 :: v_dual_cndmask_b32 v0, v5, v0, s0
	v_cmp_gt_i32_e64 s0, 32, v1
	s_delay_alu instid0(VALU_DEP_2) | instskip(NEXT) | instid1(VALU_DEP_2)
	v_dual_lshlrev_b32 v23, 2, v0 :: v_dual_bitop2_b32 v7, 1, v5 bitop3:0x14
	v_cndmask_b32_e64 v1, v5, v1, s0
	v_cmp_gt_u32_e64 s0, s7, v4
	v_mul_lo_u32 v0, s6, v4
	s_and_b32 s4, vcc_lo, s0
	v_cmp_gt_i32_e32 vcc_lo, 32, v7
	s_cmp_lg_u32 s12, 0
	v_lshlrev_b32_e32 v24, 2, v1
	s_cselect_b32 s18, -1, 0
	s_abs_i32 s19, s7
	v_cndmask_b32_e32 v1, v5, v7, vcc_lo
	s_cvt_f32_u32 s0, s19
	v_lshlrev_b32_e32 v10, 3, v4
	s_mov_b32 s12, s6
	s_ashr_i32 s1, s7, 31
	v_rcp_iflag_f32_e32 v7, s0
	v_dual_lshlrev_b32 v25, 2, v1 :: v_dual_mov_b32 v1, 0
	v_or_b32_e32 v27, v20, v10
	s_mov_b32 s0, s7
	s_wait_kmcnt 0x0
	s_delay_alu instid0(VALU_DEP_2) | instskip(SKIP_4) | instid1(VALU_DEP_4)
	v_lshl_add_u64 v[8:9], v[0:1], 3, s[14:15]
	v_dual_lshlrev_b32 v0, 3, v3 :: v_dual_bitop2_b32 v3, 32, v5 bitop3:0x54
	v_readfirstlane_b32 s6, v7
	v_lshl_add_u64 v[12:13], v[12:13], 3, s[14:15]
	v_mov_b32_e32 v11, v1
	v_add_nc_u64_e32 v[8:9], v[8:9], v[0:1]
	v_cmp_gt_i32_e32 vcc_lo, 32, v3
	s_mul_f32 s6, s6, 0x4f7ffffe
	s_sub_co_i32 s14, 0, s19
	v_cndmask_b32_e32 v0, v5, v3, vcc_lo
	s_delay_alu instid0(SALU_CYCLE_1)
	s_cvt_u32_f32 s6, s6
	v_mov_b32_e32 v5, v1
	v_add_nc_u64_e32 v[10:11], v[12:13], v[10:11]
	v_mov_b64_e32 v[12:13], 0
	s_mul_i32 s14, s14, s6
	v_dual_mov_b32 v3, 0 :: v_dual_lshlrev_b32 v28, 2, v0
	s_mul_hi_u32 s20, s6, s14
	s_mul_u64 s[14:15], s[0:1], s[12:13]
	s_add_co_i32 s12, s6, s20
	s_mov_b32 s6, s13
	s_branch .LBB76_10
.LBB76_8:                               ;   in Loop: Header=BB76_10 Depth=1
	s_wait_xcnt 0x0
	s_or_b32 exec_lo, exec_lo, s20
	v_mov_b32_e32 v0, 1
.LBB76_9:                               ;   in Loop: Header=BB76_10 Depth=1
	s_or_b32 exec_lo, exec_lo, s0
	ds_bpermute_b32 v3, v28, v31
	s_wait_storecnt_dscnt 0x0
	v_dual_add_nc_u32 v2, v0, v2 :: v_dual_min_i32 v3, v3, v31
	ds_bpermute_b32 v7, v21, v3
	s_wait_dscnt 0x0
	v_min_i32_e32 v3, v7, v3
	ds_bpermute_b32 v7, v22, v3
	s_wait_dscnt 0x0
	v_min_i32_e32 v3, v7, v3
	;; [unrolled: 3-line block ×5, first 2 shown]
	ds_bpermute_b32 v3, v29, v3
	s_wait_dscnt 0x0
	v_cmp_le_i32_e32 vcc_lo, s5, v3
	s_or_b32 s6, vcc_lo, s6
	s_delay_alu instid0(SALU_CYCLE_1)
	s_and_not1_b32 exec_lo, exec_lo, s6
	s_cbranch_execz .LBB76_24
.LBB76_10:                              ; =>This Loop Header: Depth=1
                                        ;     Child Loop BB76_13 Depth 2
	v_dual_mov_b32 v31, s5 :: v_dual_add_nc_u32 v16, v6, v4
	v_mov_b32_e32 v32, v19
	s_mov_b32 s20, exec_lo
	ds_store_b8 v18, v1 offset:2048
	ds_store_b64 v27, v[12:13]
	s_wait_dscnt 0x0
	v_cmpx_lt_i32_e64 v16, v19
	s_cbranch_execz .LBB76_18
; %bb.11:                               ;   in Loop: Header=BB76_10 Depth=1
	v_dual_ashrrev_i32 v7, 31, v6 :: v_dual_mov_b32 v31, s5
	v_mul_lo_u32 v17, v3, s7
	v_mov_b32_e32 v32, v19
	s_mov_b32 s21, 0
	s_delay_alu instid0(VALU_DEP_3) | instskip(NEXT) | instid1(VALU_DEP_1)
	v_add_nc_u64_e32 v[14:15], v[4:5], v[6:7]
	v_lshl_add_u64 v[6:7], v[14:15], 2, s[10:11]
	v_lshl_add_u64 v[14:15], v[14:15], 3, s[8:9]
	s_branch .LBB76_13
.LBB76_12:                              ;   in Loop: Header=BB76_13 Depth=2
	s_wait_xcnt 0x0
	s_or_b32 exec_lo, exec_lo, s0
	v_add_nc_u32_e32 v16, 32, v16
	s_xor_b32 s22, vcc_lo, -1
	v_add_nc_u64_e32 v[6:7], 0x80, v[6:7]
	v_add_nc_u64_e32 v[14:15], 0x100, v[14:15]
	s_delay_alu instid0(VALU_DEP_3) | instskip(SKIP_1) | instid1(SALU_CYCLE_1)
	v_cmp_ge_i32_e64 s0, v16, v19
	s_or_b32 s0, s22, s0
	s_and_b32 s0, exec_lo, s0
	s_delay_alu instid0(SALU_CYCLE_1) | instskip(NEXT) | instid1(SALU_CYCLE_1)
	s_or_b32 s21, s0, s21
	s_and_not1_b32 exec_lo, exec_lo, s21
	s_cbranch_execz .LBB76_17
.LBB76_13:                              ;   Parent Loop BB76_10 Depth=1
                                        ; =>  This Inner Loop Header: Depth=2
	global_load_b32 v0, v[6:7], off
	s_wait_loadcnt 0x0
	v_subrev_nc_u32_e32 v33, s16, v0
	s_delay_alu instid0(VALU_DEP_1) | instskip(NEXT) | instid1(VALU_DEP_1)
	v_sub_nc_u32_e32 v0, 0, v33
	v_max_i32_e32 v0, v33, v0
	s_delay_alu instid0(VALU_DEP_1) | instskip(NEXT) | instid1(VALU_DEP_1)
	v_mul_u64_e32 v[34:35], s[12:13], v[0:1]
	v_mul_lo_u32 v34, v35, s19
	s_delay_alu instid0(VALU_DEP_1) | instskip(NEXT) | instid1(VALU_DEP_1)
	v_dual_sub_nc_u32 v0, v0, v34 :: v_dual_add_nc_u32 v34, 1, v35
	v_cmp_le_u32_e32 vcc_lo, s19, v0
	s_delay_alu instid0(VALU_DEP_2) | instskip(SKIP_1) | instid1(VALU_DEP_1)
	v_dual_cndmask_b32 v34, v35, v34 :: v_dual_ashrrev_i32 v35, 31, v33
	v_subrev_nc_u32_e32 v36, s19, v0
	v_dual_cndmask_b32 v0, v0, v36, vcc_lo :: v_dual_add_nc_u32 v36, 1, v34
	s_delay_alu instid0(VALU_DEP_1) | instskip(NEXT) | instid1(VALU_DEP_2)
	v_cmp_le_u32_e32 vcc_lo, s19, v0
	v_dual_cndmask_b32 v0, v34, v36, vcc_lo :: v_dual_bitop2_b32 v35, s1, v35 bitop3:0x14
	s_delay_alu instid0(VALU_DEP_1) | instskip(NEXT) | instid1(VALU_DEP_1)
	v_xor_b32_e32 v0, v0, v35
	v_sub_nc_u32_e32 v34, v0, v35
	v_mov_b32_e32 v0, v32
	s_delay_alu instid0(VALU_DEP_2) | instskip(SKIP_3) | instid1(SALU_CYCLE_1)
	v_cmp_ne_u32_e64 s0, v34, v3
	v_cmp_eq_u32_e32 vcc_lo, v34, v3
	s_wait_xcnt 0x0
	s_and_saveexec_b32 s22, s0
	s_xor_b32 s0, exec_lo, s22
; %bb.14:                               ;   in Loop: Header=BB76_13 Depth=2
	v_min_i32_e32 v31, v34, v31
                                        ; implicit-def: $vgpr33
                                        ; implicit-def: $vgpr0
; %bb.15:                               ;   in Loop: Header=BB76_13 Depth=2
	s_or_saveexec_b32 s0, s0
	v_mov_b32_e32 v32, v16
	s_xor_b32 exec_lo, exec_lo, s0
	s_cbranch_execz .LBB76_12
; %bb.16:                               ;   in Loop: Header=BB76_13 Depth=2
	global_load_b64 v[34:35], v[14:15], off
	v_sub_nc_u32_e32 v32, v33, v17
	s_delay_alu instid0(VALU_DEP_1)
	v_lshl_add_u32 v33, v32, 3, v20
	v_mov_b32_e32 v32, v0
	ds_store_b8 v18, v30 offset:2048
	s_wait_loadcnt 0x0
	ds_store_b64 v33, v[34:35]
	s_branch .LBB76_12
.LBB76_17:                              ;   in Loop: Header=BB76_10 Depth=1
	s_or_b32 exec_lo, exec_lo, s21
.LBB76_18:                              ;   in Loop: Header=BB76_10 Depth=1
	s_delay_alu instid0(SALU_CYCLE_1)
	s_or_b32 exec_lo, exec_lo, s20
	ds_bpermute_b32 v0, v21, v32
	s_wait_dscnt 0x0
	ds_load_u8 v7, v18 offset:2048
	v_min_i32_e32 v0, v0, v32
	ds_bpermute_b32 v6, v22, v0
	s_wait_dscnt 0x0
	v_min_i32_e32 v0, v6, v0
	ds_bpermute_b32 v6, v23, v0
	s_wait_dscnt 0x0
	;; [unrolled: 3-line block ×4, first 2 shown]
	v_min_i32_e32 v0, v6, v0
	ds_bpermute_b32 v6, v26, v0
	v_and_b32_e32 v0, 1, v7
	s_delay_alu instid0(VALU_DEP_1)
	v_cmp_eq_u32_e32 vcc_lo, 1, v0
	v_mov_b32_e32 v0, 0
	s_and_saveexec_b32 s0, vcc_lo
	s_cbranch_execz .LBB76_9
; %bb.19:                               ;   in Loop: Header=BB76_10 Depth=1
	v_add_nc_u32_e32 v0, s17, v3
	global_store_b32 v2, v0, s[2:3] scale_offset
	s_wait_xcnt 0x0
	s_and_saveexec_b32 s20, s4
	s_cbranch_execz .LBB76_8
; %bb.20:                               ;   in Loop: Header=BB76_10 Depth=1
	v_ashrrev_i32_e32 v3, 31, v2
	ds_load_b64 v[16:17], v27
	s_and_b32 vcc_lo, exec_lo, s18
	v_mul_u64_e32 v[14:15], s[14:15], v[2:3]
	s_cbranch_vccz .LBB76_22
; %bb.21:                               ;   in Loop: Header=BB76_10 Depth=1
	s_delay_alu instid0(VALU_DEP_1)
	v_lshl_add_u64 v[32:33], v[14:15], 3, v[8:9]
	s_wait_dscnt 0x0
	global_store_b64 v[32:33], v[16:17], off
	s_cbranch_execnz .LBB76_8
	s_branch .LBB76_23
.LBB76_22:                              ;   in Loop: Header=BB76_10 Depth=1
.LBB76_23:                              ;   in Loop: Header=BB76_10 Depth=1
	s_delay_alu instid0(VALU_DEP_1)
	v_lshl_add_u64 v[14:15], v[14:15], 3, v[10:11]
	s_wait_dscnt 0x0
	global_store_b64 v[14:15], v[16:17], off
	s_branch .LBB76_8
.LBB76_24:
	s_endpgm
	.section	.rodata,"a",@progbits
	.p2align	6, 0x0
	.amdhsa_kernel _ZN9rocsparseL44csr2gebsr_wavefront_per_row_multipass_kernelILi256ELi2ELi32ELi64EdEEv20rocsparse_direction_iiiiii21rocsparse_index_base_PKT3_PKiS7_S2_PS3_PiS9_
		.amdhsa_group_segment_fixed_size 2056
		.amdhsa_private_segment_fixed_size 0
		.amdhsa_kernarg_size 88
		.amdhsa_user_sgpr_count 2
		.amdhsa_user_sgpr_dispatch_ptr 0
		.amdhsa_user_sgpr_queue_ptr 0
		.amdhsa_user_sgpr_kernarg_segment_ptr 1
		.amdhsa_user_sgpr_dispatch_id 0
		.amdhsa_user_sgpr_kernarg_preload_length 0
		.amdhsa_user_sgpr_kernarg_preload_offset 0
		.amdhsa_user_sgpr_private_segment_size 0
		.amdhsa_wavefront_size32 1
		.amdhsa_uses_dynamic_stack 0
		.amdhsa_enable_private_segment 0
		.amdhsa_system_sgpr_workgroup_id_x 1
		.amdhsa_system_sgpr_workgroup_id_y 0
		.amdhsa_system_sgpr_workgroup_id_z 0
		.amdhsa_system_sgpr_workgroup_info 0
		.amdhsa_system_vgpr_workitem_id 0
		.amdhsa_next_free_vgpr 37
		.amdhsa_next_free_sgpr 23
		.amdhsa_named_barrier_count 0
		.amdhsa_reserve_vcc 1
		.amdhsa_float_round_mode_32 0
		.amdhsa_float_round_mode_16_64 0
		.amdhsa_float_denorm_mode_32 3
		.amdhsa_float_denorm_mode_16_64 3
		.amdhsa_fp16_overflow 0
		.amdhsa_memory_ordered 1
		.amdhsa_forward_progress 1
		.amdhsa_inst_pref_size 12
		.amdhsa_round_robin_scheduling 0
		.amdhsa_exception_fp_ieee_invalid_op 0
		.amdhsa_exception_fp_denorm_src 0
		.amdhsa_exception_fp_ieee_div_zero 0
		.amdhsa_exception_fp_ieee_overflow 0
		.amdhsa_exception_fp_ieee_underflow 0
		.amdhsa_exception_fp_ieee_inexact 0
		.amdhsa_exception_int_div_zero 0
	.end_amdhsa_kernel
	.section	.text._ZN9rocsparseL44csr2gebsr_wavefront_per_row_multipass_kernelILi256ELi2ELi32ELi64EdEEv20rocsparse_direction_iiiiii21rocsparse_index_base_PKT3_PKiS7_S2_PS3_PiS9_,"axG",@progbits,_ZN9rocsparseL44csr2gebsr_wavefront_per_row_multipass_kernelILi256ELi2ELi32ELi64EdEEv20rocsparse_direction_iiiiii21rocsparse_index_base_PKT3_PKiS7_S2_PS3_PiS9_,comdat
.Lfunc_end76:
	.size	_ZN9rocsparseL44csr2gebsr_wavefront_per_row_multipass_kernelILi256ELi2ELi32ELi64EdEEv20rocsparse_direction_iiiiii21rocsparse_index_base_PKT3_PKiS7_S2_PS3_PiS9_, .Lfunc_end76-_ZN9rocsparseL44csr2gebsr_wavefront_per_row_multipass_kernelILi256ELi2ELi32ELi64EdEEv20rocsparse_direction_iiiiii21rocsparse_index_base_PKT3_PKiS7_S2_PS3_PiS9_
                                        ; -- End function
	.set _ZN9rocsparseL44csr2gebsr_wavefront_per_row_multipass_kernelILi256ELi2ELi32ELi64EdEEv20rocsparse_direction_iiiiii21rocsparse_index_base_PKT3_PKiS7_S2_PS3_PiS9_.num_vgpr, 37
	.set _ZN9rocsparseL44csr2gebsr_wavefront_per_row_multipass_kernelILi256ELi2ELi32ELi64EdEEv20rocsparse_direction_iiiiii21rocsparse_index_base_PKT3_PKiS7_S2_PS3_PiS9_.num_agpr, 0
	.set _ZN9rocsparseL44csr2gebsr_wavefront_per_row_multipass_kernelILi256ELi2ELi32ELi64EdEEv20rocsparse_direction_iiiiii21rocsparse_index_base_PKT3_PKiS7_S2_PS3_PiS9_.numbered_sgpr, 23
	.set _ZN9rocsparseL44csr2gebsr_wavefront_per_row_multipass_kernelILi256ELi2ELi32ELi64EdEEv20rocsparse_direction_iiiiii21rocsparse_index_base_PKT3_PKiS7_S2_PS3_PiS9_.num_named_barrier, 0
	.set _ZN9rocsparseL44csr2gebsr_wavefront_per_row_multipass_kernelILi256ELi2ELi32ELi64EdEEv20rocsparse_direction_iiiiii21rocsparse_index_base_PKT3_PKiS7_S2_PS3_PiS9_.private_seg_size, 0
	.set _ZN9rocsparseL44csr2gebsr_wavefront_per_row_multipass_kernelILi256ELi2ELi32ELi64EdEEv20rocsparse_direction_iiiiii21rocsparse_index_base_PKT3_PKiS7_S2_PS3_PiS9_.uses_vcc, 1
	.set _ZN9rocsparseL44csr2gebsr_wavefront_per_row_multipass_kernelILi256ELi2ELi32ELi64EdEEv20rocsparse_direction_iiiiii21rocsparse_index_base_PKT3_PKiS7_S2_PS3_PiS9_.uses_flat_scratch, 0
	.set _ZN9rocsparseL44csr2gebsr_wavefront_per_row_multipass_kernelILi256ELi2ELi32ELi64EdEEv20rocsparse_direction_iiiiii21rocsparse_index_base_PKT3_PKiS7_S2_PS3_PiS9_.has_dyn_sized_stack, 0
	.set _ZN9rocsparseL44csr2gebsr_wavefront_per_row_multipass_kernelILi256ELi2ELi32ELi64EdEEv20rocsparse_direction_iiiiii21rocsparse_index_base_PKT3_PKiS7_S2_PS3_PiS9_.has_recursion, 0
	.set _ZN9rocsparseL44csr2gebsr_wavefront_per_row_multipass_kernelILi256ELi2ELi32ELi64EdEEv20rocsparse_direction_iiiiii21rocsparse_index_base_PKT3_PKiS7_S2_PS3_PiS9_.has_indirect_call, 0
	.section	.AMDGPU.csdata,"",@progbits
; Kernel info:
; codeLenInByte = 1528
; TotalNumSgprs: 25
; NumVgprs: 37
; ScratchSize: 0
; MemoryBound: 0
; FloatMode: 240
; IeeeMode: 1
; LDSByteSize: 2056 bytes/workgroup (compile time only)
; SGPRBlocks: 0
; VGPRBlocks: 2
; NumSGPRsForWavesPerEU: 25
; NumVGPRsForWavesPerEU: 37
; NamedBarCnt: 0
; Occupancy: 16
; WaveLimiterHint : 0
; COMPUTE_PGM_RSRC2:SCRATCH_EN: 0
; COMPUTE_PGM_RSRC2:USER_SGPR: 2
; COMPUTE_PGM_RSRC2:TRAP_HANDLER: 0
; COMPUTE_PGM_RSRC2:TGID_X_EN: 1
; COMPUTE_PGM_RSRC2:TGID_Y_EN: 0
; COMPUTE_PGM_RSRC2:TGID_Z_EN: 0
; COMPUTE_PGM_RSRC2:TIDIG_COMP_CNT: 0
	.section	.text._ZN9rocsparseL44csr2gebsr_wavefront_per_row_multipass_kernelILi256ELi2ELi32ELi32EdEEv20rocsparse_direction_iiiiii21rocsparse_index_base_PKT3_PKiS7_S2_PS3_PiS9_,"axG",@progbits,_ZN9rocsparseL44csr2gebsr_wavefront_per_row_multipass_kernelILi256ELi2ELi32ELi32EdEEv20rocsparse_direction_iiiiii21rocsparse_index_base_PKT3_PKiS7_S2_PS3_PiS9_,comdat
	.globl	_ZN9rocsparseL44csr2gebsr_wavefront_per_row_multipass_kernelILi256ELi2ELi32ELi32EdEEv20rocsparse_direction_iiiiii21rocsparse_index_base_PKT3_PKiS7_S2_PS3_PiS9_ ; -- Begin function _ZN9rocsparseL44csr2gebsr_wavefront_per_row_multipass_kernelILi256ELi2ELi32ELi32EdEEv20rocsparse_direction_iiiiii21rocsparse_index_base_PKT3_PKiS7_S2_PS3_PiS9_
	.p2align	8
	.type	_ZN9rocsparseL44csr2gebsr_wavefront_per_row_multipass_kernelILi256ELi2ELi32ELi32EdEEv20rocsparse_direction_iiiiii21rocsparse_index_base_PKT3_PKiS7_S2_PS3_PiS9_,@function
_ZN9rocsparseL44csr2gebsr_wavefront_per_row_multipass_kernelILi256ELi2ELi32ELi32EdEEv20rocsparse_direction_iiiiii21rocsparse_index_base_PKT3_PKiS7_S2_PS3_PiS9_: ; @_ZN9rocsparseL44csr2gebsr_wavefront_per_row_multipass_kernelILi256ELi2ELi32ELi32EdEEv20rocsparse_direction_iiiiii21rocsparse_index_base_PKT3_PKiS7_S2_PS3_PiS9_
; %bb.0:
	s_clause 0x1
	s_load_b128 s[4:7], s[0:1], 0xc
	s_load_b64 s[12:13], s[0:1], 0x0
	s_bfe_u32 s2, ttmp6, 0x4000c
	s_and_b32 s3, ttmp6, 15
	s_add_co_i32 s2, s2, 1
	s_getreg_b32 s8, hwreg(HW_REG_IB_STS2, 6, 4)
	s_mul_i32 s2, ttmp9, s2
	v_dual_lshrrev_b32 v20, 5, v0 :: v_dual_mov_b32 v2, 0
	s_add_co_i32 s3, s3, s2
	s_cmp_eq_u32 s8, 0
	v_bfe_u32 v3, v0, 4, 1
	s_cselect_b32 s2, ttmp9, s3
	s_clause 0x1
	s_load_b32 s18, s[0:1], 0x1c
	s_load_b64 s[8:9], s[0:1], 0x28
	v_lshl_or_b32 v1, s2, 3, v20
	v_mov_b32_e32 v31, 0
	s_wait_kmcnt 0x0
	s_delay_alu instid0(VALU_DEP_2) | instskip(SKIP_1) | instid1(VALU_DEP_2)
	v_mad_u32 v4, v1, s6, v3
	v_cmp_gt_i32_e32 vcc_lo, s6, v3
	v_cmp_gt_i32_e64 s2, s13, v4
	s_and_b32 s2, vcc_lo, s2
	s_delay_alu instid0(SALU_CYCLE_1)
	s_and_saveexec_b32 s3, s2
	s_cbranch_execz .LBB77_2
; %bb.1:
	global_load_b32 v5, v4, s[8:9] scale_offset
	s_wait_loadcnt 0x0
	v_subrev_nc_u32_e32 v31, s18, v5
.LBB77_2:
	s_or_b32 exec_lo, exec_lo, s3
	v_mov_b32_e32 v21, 0
	s_and_saveexec_b32 s3, s2
	s_cbranch_execz .LBB77_4
; %bb.3:
	global_load_b32 v4, v4, s[8:9] offset:4 scale_offset
	s_wait_loadcnt 0x0
	v_subrev_nc_u32_e32 v21, s18, v4
.LBB77_4:
	s_or_b32 exec_lo, exec_lo, s3
	s_load_b32 s19, s[0:1], 0x38
	s_mov_b32 s3, exec_lo
	v_cmpx_gt_i32_e64 s4, v1
	s_cbranch_execz .LBB77_6
; %bb.5:
	s_load_b64 s[8:9], s[0:1], 0x48
	s_wait_kmcnt 0x0
	global_load_b32 v1, v1, s[8:9] scale_offset
	s_wait_loadcnt 0x0
	v_subrev_nc_u32_e32 v2, s19, v1
.LBB77_6:
	s_or_b32 exec_lo, exec_lo, s3
	s_cmp_lt_i32 s5, 1
	s_cbranch_scc1 .LBB77_31
; %bb.7:
	v_mbcnt_lo_u32_b32 v6, -1, 0
	v_lshlrev_b32_e32 v1, 8, v3
	s_clause 0x3
	s_load_b64 s[2:3], s[0:1], 0x50
	s_load_b64 s[20:21], s[0:1], 0x40
	;; [unrolled: 1-line block ×4, first 2 shown]
	v_and_b32_e32 v22, 15, v0
	s_cmp_lg_u32 s12, 0
	v_xor_b32_e32 v4, 8, v6
	v_lshl_or_b32 v23, v20, 9, v1
	v_xor_b32_e32 v5, 1, v6
	v_xor_b32_e32 v1, 2, v6
	s_mov_b32 s13, 0
	s_wait_xcnt 0x0
	v_cmp_gt_i32_e64 s0, 32, v4
	v_xor_b32_e32 v0, 4, v6
	s_cselect_b32 s4, -1, 0
	s_mov_b32 s12, s6
	s_ashr_i32 s15, s7, 31
	v_cndmask_b32_e64 v4, v6, v4, s0
	v_cmp_gt_i32_e64 s0, 32, v0
	s_mov_b32 s14, s7
	v_xor_b32_e32 v7, 16, v6
	s_mul_u64 s[16:17], s[14:15], s[12:13]
	s_abs_i32 s14, s7
	v_cndmask_b32_e64 v0, v6, v0, s0
	v_cmp_gt_i32_e64 s0, 32, v1
	v_lshl_or_b32 v28, v6, 2, 60
	v_mov_b64_e32 v[12:13], 0
	v_dual_mov_b32 v34, 1 :: v_dual_mov_b32 v36, 0
	s_delay_alu instid0(VALU_DEP_4) | instskip(SKIP_3) | instid1(VALU_DEP_4)
	v_cndmask_b32_e64 v1, v6, v1, s0
	v_cmp_gt_i32_e64 s0, 32, v5
	v_lshlrev_b32_e32 v24, 2, v4
	v_mul_lo_u32 v4, s7, v3
	v_dual_lshlrev_b32 v8, 3, v22 :: v_dual_lshlrev_b32 v26, 2, v1
	s_delay_alu instid0(VALU_DEP_4) | instskip(SKIP_3) | instid1(SALU_CYCLE_1)
	v_cndmask_b32_e64 v5, v6, v5, s0
	s_cvt_f32_u32 s0, s14
	v_dual_lshlrev_b32 v25, 2, v0 :: v_dual_lshlrev_b32 v0, 3, v3
	v_mov_b32_e32 v1, 0
	v_rcp_iflag_f32_e32 v3, s0
	v_lshlrev_b32_e32 v27, 2, v5
	v_cmp_gt_i32_e64 s0, 32, v7
	v_ashrrev_i32_e32 v5, 31, v4
	v_dual_mov_b32 v9, v1 :: v_dual_bitop2_b32 v29, v23, v8 bitop3:0x54
	v_mov_b32_e32 v32, 0x7c
	s_delay_alu instid0(VALU_DEP_4)
	v_cndmask_b32_e64 v7, v6, v7, s0
	v_mul_lo_u32 v6, v22, s6
	v_readfirstlane_b32 s0, v3
	s_wait_kmcnt 0x0
	v_lshl_add_u64 v[10:11], v[4:5], 3, s[20:21]
	v_add_nc_u64_e32 v[4:5], s[20:21], v[0:1]
	v_dual_lshlrev_b32 v30, 2, v7 :: v_dual_bitop2_b32 v0, 16, v22 bitop3:0x54
	s_mul_f32 s12, s0, 0x4f7ffffe
	v_cmp_gt_u32_e64 s0, s7, v22
	v_add_nc_u64_e32 v[8:9], v[10:11], v[8:9]
	v_mov_b32_e32 v7, v1
	s_cvt_u32_f32 s12, s12
	v_lshl_add_u32 v10, s6, 4, v6
	s_sub_co_i32 s6, 0, s14
	v_cmp_gt_u32_e64 s1, s7, v0
	s_mul_i32 s20, s6, s12
	v_dual_mov_b32 v11, v1 :: v_dual_bitop2_b32 v33, -16, v22 bitop3:0x54
	s_and_b32 s6, s0, vcc_lo
	s_mul_hi_u32 s0, s12, s20
	s_and_b32 s1, vcc_lo, s1
	s_add_co_i32 s12, s12, s0
	s_mov_b32 s20, s13
	s_branch .LBB77_10
.LBB77_8:                               ;   in Loop: Header=BB77_10 Depth=1
	s_wait_xcnt 0x0
	s_or_b32 exec_lo, exec_lo, s21
	v_mov_b32_e32 v0, 1
.LBB77_9:                               ;   in Loop: Header=BB77_10 Depth=1
	s_or_b32 exec_lo, exec_lo, s0
	ds_bpermute_b32 v3, v30, v35
	s_wait_storecnt_dscnt 0x0
	v_dual_add_nc_u32 v2, v0, v2 :: v_dual_min_i32 v3, v3, v35
	ds_bpermute_b32 v14, v24, v3
	s_wait_dscnt 0x0
	v_min_i32_e32 v3, v14, v3
	ds_bpermute_b32 v14, v25, v3
	s_wait_dscnt 0x0
	v_min_i32_e32 v3, v14, v3
	;; [unrolled: 3-line block ×4, first 2 shown]
	ds_bpermute_b32 v36, v32, v3
	s_wait_dscnt 0x0
	v_cmp_le_i32_e32 vcc_lo, s5, v36
	s_or_b32 s20, vcc_lo, s20
	s_delay_alu instid0(SALU_CYCLE_1)
	s_and_not1_b32 exec_lo, exec_lo, s20
	s_cbranch_execz .LBB77_31
.LBB77_10:                              ; =>This Loop Header: Depth=1
                                        ;     Child Loop BB77_11 Depth 2
                                        ;     Child Loop BB77_15 Depth 2
	v_dual_mov_b32 v0, v29 :: v_dual_mov_b32 v3, v33
	s_mov_b32 s0, 0
	ds_store_b8 v20, v1 offset:4096
.LBB77_11:                              ;   Parent Loop BB77_10 Depth=1
                                        ; =>  This Inner Loop Header: Depth=2
	v_add_co_u32 v3, s21, v3, 16
	s_xor_b32 s21, s21, -1
	ds_store_b64 v0, v[12:13]
	v_add_nc_u32_e32 v0, 0x80, v0
	s_and_b32 s21, exec_lo, s21
	s_delay_alu instid0(SALU_CYCLE_1) | instskip(NEXT) | instid1(SALU_CYCLE_1)
	s_or_b32 s0, s21, s0
	s_and_not1_b32 exec_lo, exec_lo, s0
	s_cbranch_execnz .LBB77_11
; %bb.12:                               ;   in Loop: Header=BB77_10 Depth=1
	s_or_b32 exec_lo, exec_lo, s0
	v_dual_mov_b32 v35, s5 :: v_dual_add_nc_u32 v14, v31, v22
	v_mov_b32_e32 v15, v21
	s_mov_b32 s21, exec_lo
	s_wait_dscnt 0x0
	s_delay_alu instid0(VALU_DEP_2)
	v_cmpx_lt_i32_e64 v14, v21
	s_cbranch_execz .LBB77_20
; %bb.13:                               ;   in Loop: Header=BB77_10 Depth=1
	v_mul_lo_u32 v3, v36, s7
	v_dual_ashrrev_i32 v15, 31, v14 :: v_dual_mov_b32 v35, s5
	s_mov_b32 s22, 0
	s_delay_alu instid0(VALU_DEP_1)
	v_lshl_add_u64 v[16:17], v[14:15], 2, s[10:11]
	v_lshl_add_u64 v[18:19], v[14:15], 3, s[8:9]
	v_mov_b32_e32 v15, v21
	s_branch .LBB77_15
.LBB77_14:                              ;   in Loop: Header=BB77_15 Depth=2
	s_wait_xcnt 0x0
	s_or_b32 exec_lo, exec_lo, s0
	v_add_nc_u32_e32 v14, 16, v14
	s_xor_b32 s23, vcc_lo, -1
	v_add_nc_u64_e32 v[16:17], 64, v[16:17]
	v_add_nc_u64_e32 v[18:19], 0x80, v[18:19]
	s_delay_alu instid0(VALU_DEP_3) | instskip(SKIP_1) | instid1(SALU_CYCLE_1)
	v_cmp_ge_i32_e64 s0, v14, v21
	s_or_b32 s0, s23, s0
	s_and_b32 s0, exec_lo, s0
	s_delay_alu instid0(SALU_CYCLE_1) | instskip(NEXT) | instid1(SALU_CYCLE_1)
	s_or_b32 s22, s0, s22
	s_and_not1_b32 exec_lo, exec_lo, s22
	s_cbranch_execz .LBB77_19
.LBB77_15:                              ;   Parent Loop BB77_10 Depth=1
                                        ; =>  This Inner Loop Header: Depth=2
	global_load_b32 v0, v[16:17], off
	s_wait_loadcnt 0x0
	v_subrev_nc_u32_e32 v31, s18, v0
	s_delay_alu instid0(VALU_DEP_1) | instskip(NEXT) | instid1(VALU_DEP_1)
	v_sub_nc_u32_e32 v0, 0, v31
	v_max_i32_e32 v0, v31, v0
	s_delay_alu instid0(VALU_DEP_1) | instskip(NEXT) | instid1(VALU_DEP_1)
	v_mul_u64_e32 v[38:39], s[12:13], v[0:1]
	v_mul_lo_u32 v37, v39, s14
	s_delay_alu instid0(VALU_DEP_1) | instskip(NEXT) | instid1(VALU_DEP_1)
	v_dual_sub_nc_u32 v0, v0, v37 :: v_dual_add_nc_u32 v37, 1, v39
	v_cmp_le_u32_e32 vcc_lo, s14, v0
	s_delay_alu instid0(VALU_DEP_2) | instskip(SKIP_1) | instid1(VALU_DEP_1)
	v_dual_cndmask_b32 v37, v39, v37, vcc_lo :: v_dual_ashrrev_i32 v39, 31, v31
	v_subrev_nc_u32_e32 v38, s14, v0
	v_dual_cndmask_b32 v0, v0, v38, vcc_lo :: v_dual_add_nc_u32 v38, 1, v37
	s_delay_alu instid0(VALU_DEP_1) | instskip(NEXT) | instid1(VALU_DEP_2)
	v_cmp_le_u32_e32 vcc_lo, s14, v0
	v_dual_cndmask_b32 v0, v37, v38, vcc_lo :: v_dual_bitop2_b32 v39, s15, v39 bitop3:0x14
	s_delay_alu instid0(VALU_DEP_1) | instskip(NEXT) | instid1(VALU_DEP_1)
	v_xor_b32_e32 v0, v0, v39
	v_dual_mov_b32 v0, v15 :: v_dual_sub_nc_u32 v37, v0, v39
	s_delay_alu instid0(VALU_DEP_1) | instskip(SKIP_3) | instid1(SALU_CYCLE_1)
	v_cmp_ne_u32_e64 s0, v37, v36
	v_cmp_eq_u32_e32 vcc_lo, v37, v36
	s_wait_xcnt 0x0
	s_and_saveexec_b32 s23, s0
	s_xor_b32 s0, exec_lo, s23
; %bb.16:                               ;   in Loop: Header=BB77_15 Depth=2
	v_min_i32_e32 v35, v37, v35
                                        ; implicit-def: $vgpr31
                                        ; implicit-def: $vgpr0
; %bb.17:                               ;   in Loop: Header=BB77_15 Depth=2
	s_or_saveexec_b32 s0, s0
	v_mov_b32_e32 v15, v14
	s_xor_b32 exec_lo, exec_lo, s0
	s_cbranch_execz .LBB77_14
; %bb.18:                               ;   in Loop: Header=BB77_15 Depth=2
	global_load_b64 v[38:39], v[18:19], off
	v_sub_nc_u32_e32 v15, v31, v3
	s_delay_alu instid0(VALU_DEP_1)
	v_lshl_add_u32 v31, v15, 3, v23
	v_mov_b32_e32 v15, v0
	ds_store_b8 v20, v34 offset:4096
	s_wait_loadcnt 0x0
	ds_store_b64 v31, v[38:39]
	s_branch .LBB77_14
.LBB77_19:                              ;   in Loop: Header=BB77_10 Depth=1
	s_or_b32 exec_lo, exec_lo, s22
.LBB77_20:                              ;   in Loop: Header=BB77_10 Depth=1
	s_delay_alu instid0(SALU_CYCLE_1)
	s_or_b32 exec_lo, exec_lo, s21
	ds_bpermute_b32 v0, v24, v15
	s_wait_dscnt 0x0
	ds_load_u8 v14, v20 offset:4096
	v_min_i32_e32 v0, v0, v15
	ds_bpermute_b32 v3, v25, v0
	s_wait_dscnt 0x0
	v_min_i32_e32 v0, v3, v0
	ds_bpermute_b32 v3, v26, v0
	s_wait_dscnt 0x0
	;; [unrolled: 3-line block ×3, first 2 shown]
	v_min_i32_e32 v0, v3, v0
	ds_bpermute_b32 v31, v28, v0
	v_and_b32_e32 v0, 1, v14
	s_delay_alu instid0(VALU_DEP_1)
	v_cmp_eq_u32_e32 vcc_lo, 1, v0
	v_mov_b32_e32 v0, 0
	s_and_saveexec_b32 s0, vcc_lo
	s_cbranch_execz .LBB77_9
; %bb.21:                               ;   in Loop: Header=BB77_10 Depth=1
	v_dual_ashrrev_i32 v3, 31, v2 :: v_dual_add_nc_u32 v0, s19, v36
	s_delay_alu instid0(VALU_DEP_1) | instskip(SKIP_2) | instid1(VALU_DEP_1)
	v_mul_u64_e32 v[14:15], s[16:17], v[2:3]
	global_store_b32 v2, v0, s[2:3] scale_offset
	v_lshlrev_b64_e32 v[14:15], 3, v[14:15]
	v_add_nc_u64_e32 v[16:17], v[4:5], v[14:15]
	v_add_nc_u64_e32 v[14:15], v[8:9], v[14:15]
	s_wait_xcnt 0x0
	s_and_saveexec_b32 s21, s6
	s_cbranch_execz .LBB77_25
; %bb.22:                               ;   in Loop: Header=BB77_10 Depth=1
	ds_load_b64 v[18:19], v29
	s_and_b32 vcc_lo, exec_lo, s4
	s_cbranch_vccz .LBB77_28
; %bb.23:                               ;   in Loop: Header=BB77_10 Depth=1
	v_lshl_add_u64 v[36:37], v[6:7], 3, v[16:17]
	s_wait_dscnt 0x0
	global_store_b64 v[36:37], v[18:19], off
	s_cbranch_execnz .LBB77_25
.LBB77_24:                              ;   in Loop: Header=BB77_10 Depth=1
	s_wait_dscnt 0x0
	global_store_b64 v[14:15], v[18:19], off
.LBB77_25:                              ;   in Loop: Header=BB77_10 Depth=1
	s_wait_xcnt 0x0
	s_or_b32 exec_lo, exec_lo, s21
	s_and_saveexec_b32 s21, s1
	s_cbranch_execz .LBB77_8
; %bb.26:                               ;   in Loop: Header=BB77_10 Depth=1
	s_and_not1_b32 vcc_lo, exec_lo, s4
	s_cbranch_vccnz .LBB77_29
; %bb.27:                               ;   in Loop: Header=BB77_10 Depth=1
	s_wait_dscnt 0x0
	ds_load_b64 v[18:19], v29 offset:128
	v_lshl_add_u64 v[16:17], v[10:11], 3, v[16:17]
	s_wait_dscnt 0x0
	global_store_b64 v[16:17], v[18:19], off
	s_cbranch_execnz .LBB77_8
	s_branch .LBB77_30
.LBB77_28:                              ;   in Loop: Header=BB77_10 Depth=1
	s_branch .LBB77_24
.LBB77_29:                              ;   in Loop: Header=BB77_10 Depth=1
.LBB77_30:                              ;   in Loop: Header=BB77_10 Depth=1
	s_wait_xcnt 0x0
	ds_load_b64 v[16:17], v29 offset:128
	s_wait_dscnt 0x0
	global_store_b64 v[14:15], v[16:17], off offset:128
	s_branch .LBB77_8
.LBB77_31:
	s_endpgm
	.section	.rodata,"a",@progbits
	.p2align	6, 0x0
	.amdhsa_kernel _ZN9rocsparseL44csr2gebsr_wavefront_per_row_multipass_kernelILi256ELi2ELi32ELi32EdEEv20rocsparse_direction_iiiiii21rocsparse_index_base_PKT3_PKiS7_S2_PS3_PiS9_
		.amdhsa_group_segment_fixed_size 4104
		.amdhsa_private_segment_fixed_size 0
		.amdhsa_kernarg_size 88
		.amdhsa_user_sgpr_count 2
		.amdhsa_user_sgpr_dispatch_ptr 0
		.amdhsa_user_sgpr_queue_ptr 0
		.amdhsa_user_sgpr_kernarg_segment_ptr 1
		.amdhsa_user_sgpr_dispatch_id 0
		.amdhsa_user_sgpr_kernarg_preload_length 0
		.amdhsa_user_sgpr_kernarg_preload_offset 0
		.amdhsa_user_sgpr_private_segment_size 0
		.amdhsa_wavefront_size32 1
		.amdhsa_uses_dynamic_stack 0
		.amdhsa_enable_private_segment 0
		.amdhsa_system_sgpr_workgroup_id_x 1
		.amdhsa_system_sgpr_workgroup_id_y 0
		.amdhsa_system_sgpr_workgroup_id_z 0
		.amdhsa_system_sgpr_workgroup_info 0
		.amdhsa_system_vgpr_workitem_id 0
		.amdhsa_next_free_vgpr 40
		.amdhsa_next_free_sgpr 24
		.amdhsa_named_barrier_count 0
		.amdhsa_reserve_vcc 1
		.amdhsa_float_round_mode_32 0
		.amdhsa_float_round_mode_16_64 0
		.amdhsa_float_denorm_mode_32 3
		.amdhsa_float_denorm_mode_16_64 3
		.amdhsa_fp16_overflow 0
		.amdhsa_memory_ordered 1
		.amdhsa_forward_progress 1
		.amdhsa_inst_pref_size 13
		.amdhsa_round_robin_scheduling 0
		.amdhsa_exception_fp_ieee_invalid_op 0
		.amdhsa_exception_fp_denorm_src 0
		.amdhsa_exception_fp_ieee_div_zero 0
		.amdhsa_exception_fp_ieee_overflow 0
		.amdhsa_exception_fp_ieee_underflow 0
		.amdhsa_exception_fp_ieee_inexact 0
		.amdhsa_exception_int_div_zero 0
	.end_amdhsa_kernel
	.section	.text._ZN9rocsparseL44csr2gebsr_wavefront_per_row_multipass_kernelILi256ELi2ELi32ELi32EdEEv20rocsparse_direction_iiiiii21rocsparse_index_base_PKT3_PKiS7_S2_PS3_PiS9_,"axG",@progbits,_ZN9rocsparseL44csr2gebsr_wavefront_per_row_multipass_kernelILi256ELi2ELi32ELi32EdEEv20rocsparse_direction_iiiiii21rocsparse_index_base_PKT3_PKiS7_S2_PS3_PiS9_,comdat
.Lfunc_end77:
	.size	_ZN9rocsparseL44csr2gebsr_wavefront_per_row_multipass_kernelILi256ELi2ELi32ELi32EdEEv20rocsparse_direction_iiiiii21rocsparse_index_base_PKT3_PKiS7_S2_PS3_PiS9_, .Lfunc_end77-_ZN9rocsparseL44csr2gebsr_wavefront_per_row_multipass_kernelILi256ELi2ELi32ELi32EdEEv20rocsparse_direction_iiiiii21rocsparse_index_base_PKT3_PKiS7_S2_PS3_PiS9_
                                        ; -- End function
	.set _ZN9rocsparseL44csr2gebsr_wavefront_per_row_multipass_kernelILi256ELi2ELi32ELi32EdEEv20rocsparse_direction_iiiiii21rocsparse_index_base_PKT3_PKiS7_S2_PS3_PiS9_.num_vgpr, 40
	.set _ZN9rocsparseL44csr2gebsr_wavefront_per_row_multipass_kernelILi256ELi2ELi32ELi32EdEEv20rocsparse_direction_iiiiii21rocsparse_index_base_PKT3_PKiS7_S2_PS3_PiS9_.num_agpr, 0
	.set _ZN9rocsparseL44csr2gebsr_wavefront_per_row_multipass_kernelILi256ELi2ELi32ELi32EdEEv20rocsparse_direction_iiiiii21rocsparse_index_base_PKT3_PKiS7_S2_PS3_PiS9_.numbered_sgpr, 24
	.set _ZN9rocsparseL44csr2gebsr_wavefront_per_row_multipass_kernelILi256ELi2ELi32ELi32EdEEv20rocsparse_direction_iiiiii21rocsparse_index_base_PKT3_PKiS7_S2_PS3_PiS9_.num_named_barrier, 0
	.set _ZN9rocsparseL44csr2gebsr_wavefront_per_row_multipass_kernelILi256ELi2ELi32ELi32EdEEv20rocsparse_direction_iiiiii21rocsparse_index_base_PKT3_PKiS7_S2_PS3_PiS9_.private_seg_size, 0
	.set _ZN9rocsparseL44csr2gebsr_wavefront_per_row_multipass_kernelILi256ELi2ELi32ELi32EdEEv20rocsparse_direction_iiiiii21rocsparse_index_base_PKT3_PKiS7_S2_PS3_PiS9_.uses_vcc, 1
	.set _ZN9rocsparseL44csr2gebsr_wavefront_per_row_multipass_kernelILi256ELi2ELi32ELi32EdEEv20rocsparse_direction_iiiiii21rocsparse_index_base_PKT3_PKiS7_S2_PS3_PiS9_.uses_flat_scratch, 0
	.set _ZN9rocsparseL44csr2gebsr_wavefront_per_row_multipass_kernelILi256ELi2ELi32ELi32EdEEv20rocsparse_direction_iiiiii21rocsparse_index_base_PKT3_PKiS7_S2_PS3_PiS9_.has_dyn_sized_stack, 0
	.set _ZN9rocsparseL44csr2gebsr_wavefront_per_row_multipass_kernelILi256ELi2ELi32ELi32EdEEv20rocsparse_direction_iiiiii21rocsparse_index_base_PKT3_PKiS7_S2_PS3_PiS9_.has_recursion, 0
	.set _ZN9rocsparseL44csr2gebsr_wavefront_per_row_multipass_kernelILi256ELi2ELi32ELi32EdEEv20rocsparse_direction_iiiiii21rocsparse_index_base_PKT3_PKiS7_S2_PS3_PiS9_.has_indirect_call, 0
	.section	.AMDGPU.csdata,"",@progbits
; Kernel info:
; codeLenInByte = 1656
; TotalNumSgprs: 26
; NumVgprs: 40
; ScratchSize: 0
; MemoryBound: 0
; FloatMode: 240
; IeeeMode: 1
; LDSByteSize: 4104 bytes/workgroup (compile time only)
; SGPRBlocks: 0
; VGPRBlocks: 2
; NumSGPRsForWavesPerEU: 26
; NumVGPRsForWavesPerEU: 40
; NamedBarCnt: 0
; Occupancy: 16
; WaveLimiterHint : 0
; COMPUTE_PGM_RSRC2:SCRATCH_EN: 0
; COMPUTE_PGM_RSRC2:USER_SGPR: 2
; COMPUTE_PGM_RSRC2:TRAP_HANDLER: 0
; COMPUTE_PGM_RSRC2:TGID_X_EN: 1
; COMPUTE_PGM_RSRC2:TGID_Y_EN: 0
; COMPUTE_PGM_RSRC2:TGID_Z_EN: 0
; COMPUTE_PGM_RSRC2:TIDIG_COMP_CNT: 0
	.section	.text._ZN9rocsparseL44csr2gebsr_wavefront_per_row_multipass_kernelILi256ELi2ELi64ELi64EdEEv20rocsparse_direction_iiiiii21rocsparse_index_base_PKT3_PKiS7_S2_PS3_PiS9_,"axG",@progbits,_ZN9rocsparseL44csr2gebsr_wavefront_per_row_multipass_kernelILi256ELi2ELi64ELi64EdEEv20rocsparse_direction_iiiiii21rocsparse_index_base_PKT3_PKiS7_S2_PS3_PiS9_,comdat
	.globl	_ZN9rocsparseL44csr2gebsr_wavefront_per_row_multipass_kernelILi256ELi2ELi64ELi64EdEEv20rocsparse_direction_iiiiii21rocsparse_index_base_PKT3_PKiS7_S2_PS3_PiS9_ ; -- Begin function _ZN9rocsparseL44csr2gebsr_wavefront_per_row_multipass_kernelILi256ELi2ELi64ELi64EdEEv20rocsparse_direction_iiiiii21rocsparse_index_base_PKT3_PKiS7_S2_PS3_PiS9_
	.p2align	8
	.type	_ZN9rocsparseL44csr2gebsr_wavefront_per_row_multipass_kernelILi256ELi2ELi64ELi64EdEEv20rocsparse_direction_iiiiii21rocsparse_index_base_PKT3_PKiS7_S2_PS3_PiS9_,@function
_ZN9rocsparseL44csr2gebsr_wavefront_per_row_multipass_kernelILi256ELi2ELi64ELi64EdEEv20rocsparse_direction_iiiiii21rocsparse_index_base_PKT3_PKiS7_S2_PS3_PiS9_: ; @_ZN9rocsparseL44csr2gebsr_wavefront_per_row_multipass_kernelILi256ELi2ELi64ELi64EdEEv20rocsparse_direction_iiiiii21rocsparse_index_base_PKT3_PKiS7_S2_PS3_PiS9_
; %bb.0:
	s_clause 0x1
	s_load_b128 s[4:7], s[0:1], 0xc
	s_load_b64 s[12:13], s[0:1], 0x0
	s_bfe_u32 s2, ttmp6, 0x4000c
	s_and_b32 s3, ttmp6, 15
	s_add_co_i32 s2, s2, 1
	s_getreg_b32 s8, hwreg(HW_REG_IB_STS2, 6, 4)
	s_mul_i32 s2, ttmp9, s2
	v_dual_lshrrev_b32 v20, 6, v0 :: v_dual_mov_b32 v2, 0
	s_add_co_i32 s3, s3, s2
	s_cmp_eq_u32 s8, 0
	v_bfe_u32 v3, v0, 5, 1
	s_cselect_b32 s2, ttmp9, s3
	s_clause 0x1
	s_load_b32 s18, s[0:1], 0x1c
	s_load_b64 s[8:9], s[0:1], 0x28
	v_lshl_or_b32 v1, s2, 2, v20
	v_mov_b32_e32 v31, 0
	s_wait_kmcnt 0x0
	s_delay_alu instid0(VALU_DEP_2) | instskip(SKIP_1) | instid1(VALU_DEP_2)
	v_mad_u32 v4, v1, s6, v3
	v_cmp_gt_i32_e32 vcc_lo, s6, v3
	v_cmp_gt_i32_e64 s2, s13, v4
	s_and_b32 s2, vcc_lo, s2
	s_delay_alu instid0(SALU_CYCLE_1)
	s_and_saveexec_b32 s3, s2
	s_cbranch_execz .LBB78_2
; %bb.1:
	global_load_b32 v5, v4, s[8:9] scale_offset
	s_wait_loadcnt 0x0
	v_subrev_nc_u32_e32 v31, s18, v5
.LBB78_2:
	s_or_b32 exec_lo, exec_lo, s3
	v_mov_b32_e32 v21, 0
	s_and_saveexec_b32 s3, s2
	s_cbranch_execz .LBB78_4
; %bb.3:
	global_load_b32 v4, v4, s[8:9] offset:4 scale_offset
	s_wait_loadcnt 0x0
	v_subrev_nc_u32_e32 v21, s18, v4
.LBB78_4:
	s_or_b32 exec_lo, exec_lo, s3
	s_load_b32 s19, s[0:1], 0x38
	s_mov_b32 s3, exec_lo
	v_cmpx_gt_i32_e64 s4, v1
	s_cbranch_execz .LBB78_6
; %bb.5:
	s_load_b64 s[8:9], s[0:1], 0x48
	s_wait_kmcnt 0x0
	global_load_b32 v1, v1, s[8:9] scale_offset
	s_wait_loadcnt 0x0
	v_subrev_nc_u32_e32 v2, s19, v1
.LBB78_6:
	s_or_b32 exec_lo, exec_lo, s3
	s_cmp_lt_i32 s5, 1
	s_cbranch_scc1 .LBB78_31
; %bb.7:
	v_mbcnt_lo_u32_b32 v6, -1, 0
	v_lshlrev_b32_e32 v1, 9, v3
	s_clause 0x3
	s_load_b64 s[2:3], s[0:1], 0x50
	s_load_b64 s[20:21], s[0:1], 0x40
	s_load_b64 s[8:9], s[0:1], 0x20
	s_load_b64 s[10:11], s[0:1], 0x30
	v_and_b32_e32 v22, 31, v0
	s_cmp_lg_u32 s12, 0
	v_xor_b32_e32 v4, 16, v6
	v_lshl_or_b32 v23, v20, 10, v1
	v_xor_b32_e32 v5, 2, v6
	s_mov_b32 s13, 0
	s_cselect_b32 s4, -1, 0
	s_wait_xcnt 0x0
	v_cmp_gt_i32_e64 s0, 32, v4
	v_xor_b32_e32 v0, 8, v6
	s_mov_b32 s12, s6
	s_ashr_i32 s15, s7, 31
	s_mov_b32 s14, s7
	v_dual_cndmask_b32 v1, v6, v4, s0 :: v_dual_bitop2_b32 v4, 4, v6 bitop3:0x14
	v_cmp_gt_i32_e64 s0, 32, v0
	v_xor_b32_e32 v7, 1, v6
	s_mul_u64 s[16:17], s[14:15], s[12:13]
	v_lshlrev_b32_e32 v24, 2, v1
	s_abs_i32 s14, s7
	v_cndmask_b32_e64 v0, v6, v0, s0
	v_cmp_gt_i32_e64 s0, 32, v4
	v_mov_b64_e32 v[12:13], 0
	v_bfrev_b32_e32 v33, 0.5
	v_or_b32_e32 v34, 0xffffffe0, v22
	v_dual_mov_b32 v35, 1 :: v_dual_mov_b32 v37, 0
	v_cndmask_b32_e64 v4, v6, v4, s0
	v_cmp_gt_i32_e64 s0, 32, v5
	v_dual_lshlrev_b32 v25, 2, v0 :: v_dual_lshlrev_b32 v0, 3, v3
	v_mov_b32_e32 v29, 0x7c
	s_delay_alu instid0(VALU_DEP_3) | instskip(SKIP_3) | instid1(VALU_DEP_4)
	v_dual_mov_b32 v1, 0 :: v_dual_cndmask_b32 v5, v6, v5, s0
	v_cmp_gt_i32_e64 s0, 32, v7
	v_lshlrev_b32_e32 v26, 2, v4
	v_mul_lo_u32 v4, s7, v3
	v_dual_lshlrev_b32 v8, 3, v22 :: v_dual_lshlrev_b32 v27, 2, v5
	s_delay_alu instid0(VALU_DEP_4) | instskip(SKIP_1) | instid1(VALU_DEP_1)
	v_cndmask_b32_e64 v7, v6, v7, s0
	s_cvt_f32_u32 s0, s14
	v_dual_lshlrev_b32 v28, 2, v7 :: v_dual_bitop2_b32 v7, 32, v6 bitop3:0x54
	s_delay_alu instid0(SALU_CYCLE_2) | instskip(NEXT) | instid1(VALU_DEP_4)
	v_rcp_iflag_f32_e32 v3, s0
	v_ashrrev_i32_e32 v5, 31, v4
	v_or_b32_e32 v30, v23, v8
	s_delay_alu instid0(VALU_DEP_3)
	v_cmp_gt_i32_e64 s0, 32, v7
	v_mov_b32_e32 v9, v1
	s_wait_kmcnt 0x0
	v_lshl_add_u64 v[10:11], v[4:5], 3, s[20:21]
	v_add_nc_u64_e32 v[4:5], s[20:21], v[0:1]
	v_dual_cndmask_b32 v7, v6, v7, s0 :: v_dual_bitop2_b32 v0, 32, v22 bitop3:0x54
	v_mul_lo_u32 v6, v22, s6
	v_readfirstlane_b32 s0, v3
	v_add_nc_u64_e32 v[8:9], v[10:11], v[8:9]
	s_delay_alu instid0(VALU_DEP_4)
	v_cmp_gt_u32_e64 s1, s7, v0
	v_dual_mov_b32 v7, v1 :: v_dual_lshlrev_b32 v32, 2, v7
	v_mov_b32_e32 v11, v1
	s_mul_f32 s12, s0, 0x4f7ffffe
	v_cmp_gt_u32_e64 s0, s7, v22
	s_and_b32 s1, vcc_lo, s1
	s_delay_alu instid0(SALU_CYCLE_1) | instskip(SKIP_2) | instid1(SALU_CYCLE_1)
	s_cvt_u32_f32 s12, s12
	v_lshl_add_u32 v10, s6, 5, v6
	s_sub_co_i32 s6, 0, s14
	s_mul_i32 s20, s6, s12
	s_and_b32 s6, s0, vcc_lo
	s_mul_hi_u32 s0, s12, s20
	s_mov_b32 s20, s13
	s_add_co_i32 s12, s12, s0
	s_branch .LBB78_10
.LBB78_8:                               ;   in Loop: Header=BB78_10 Depth=1
	s_wait_xcnt 0x0
	s_or_b32 exec_lo, exec_lo, s21
	v_mov_b32_e32 v0, 1
.LBB78_9:                               ;   in Loop: Header=BB78_10 Depth=1
	s_or_b32 exec_lo, exec_lo, s0
	ds_bpermute_b32 v3, v32, v36
	s_wait_storecnt_dscnt 0x0
	v_dual_add_nc_u32 v2, v0, v2 :: v_dual_min_i32 v3, v3, v36
	ds_bpermute_b32 v14, v24, v3
	s_wait_dscnt 0x0
	v_min_i32_e32 v3, v14, v3
	ds_bpermute_b32 v14, v25, v3
	s_wait_dscnt 0x0
	v_min_i32_e32 v3, v14, v3
	ds_bpermute_b32 v14, v26, v3
	s_wait_dscnt 0x0
	v_min_i32_e32 v3, v14, v3
	ds_bpermute_b32 v14, v27, v3
	s_wait_dscnt 0x0
	v_min_i32_e32 v3, v14, v3
	ds_bpermute_b32 v14, v28, v3
	s_wait_dscnt 0x0
	v_min_i32_e32 v3, v14, v3
	ds_bpermute_b32 v37, v33, v3
	s_wait_dscnt 0x0
	v_cmp_le_i32_e32 vcc_lo, s5, v37
	s_or_b32 s20, vcc_lo, s20
	s_delay_alu instid0(SALU_CYCLE_1)
	s_and_not1_b32 exec_lo, exec_lo, s20
	s_cbranch_execz .LBB78_31
.LBB78_10:                              ; =>This Loop Header: Depth=1
                                        ;     Child Loop BB78_11 Depth 2
                                        ;     Child Loop BB78_15 Depth 2
	v_dual_mov_b32 v0, v30 :: v_dual_mov_b32 v3, v34
	s_mov_b32 s0, 0
	ds_store_b8 v20, v1 offset:4096
.LBB78_11:                              ;   Parent Loop BB78_10 Depth=1
                                        ; =>  This Inner Loop Header: Depth=2
	v_add_co_u32 v3, s21, v3, 32
	s_xor_b32 s21, s21, -1
	ds_store_b64 v0, v[12:13]
	v_add_nc_u32_e32 v0, 0x100, v0
	s_and_b32 s21, exec_lo, s21
	s_delay_alu instid0(SALU_CYCLE_1) | instskip(NEXT) | instid1(SALU_CYCLE_1)
	s_or_b32 s0, s21, s0
	s_and_not1_b32 exec_lo, exec_lo, s0
	s_cbranch_execnz .LBB78_11
; %bb.12:                               ;   in Loop: Header=BB78_10 Depth=1
	s_or_b32 exec_lo, exec_lo, s0
	v_dual_add_nc_u32 v14, v31, v22 :: v_dual_mov_b32 v36, s5
	v_mov_b32_e32 v15, v21
	s_mov_b32 s21, exec_lo
	s_wait_dscnt 0x0
	s_delay_alu instid0(VALU_DEP_2)
	v_cmpx_lt_i32_e64 v14, v21
	s_cbranch_execz .LBB78_20
; %bb.13:                               ;   in Loop: Header=BB78_10 Depth=1
	v_mul_lo_u32 v3, v37, s7
	v_dual_mov_b32 v36, s5 :: v_dual_ashrrev_i32 v15, 31, v14
	s_mov_b32 s22, 0
	s_delay_alu instid0(VALU_DEP_1)
	v_lshl_add_u64 v[16:17], v[14:15], 2, s[10:11]
	v_lshl_add_u64 v[18:19], v[14:15], 3, s[8:9]
	v_mov_b32_e32 v15, v21
	s_branch .LBB78_15
.LBB78_14:                              ;   in Loop: Header=BB78_15 Depth=2
	s_wait_xcnt 0x0
	s_or_b32 exec_lo, exec_lo, s0
	v_add_nc_u32_e32 v14, 32, v14
	s_xor_b32 s23, vcc_lo, -1
	v_add_nc_u64_e32 v[16:17], 0x80, v[16:17]
	v_add_nc_u64_e32 v[18:19], 0x100, v[18:19]
	s_delay_alu instid0(VALU_DEP_3) | instskip(SKIP_1) | instid1(SALU_CYCLE_1)
	v_cmp_ge_i32_e64 s0, v14, v21
	s_or_b32 s0, s23, s0
	s_and_b32 s0, exec_lo, s0
	s_delay_alu instid0(SALU_CYCLE_1) | instskip(NEXT) | instid1(SALU_CYCLE_1)
	s_or_b32 s22, s0, s22
	s_and_not1_b32 exec_lo, exec_lo, s22
	s_cbranch_execz .LBB78_19
.LBB78_15:                              ;   Parent Loop BB78_10 Depth=1
                                        ; =>  This Inner Loop Header: Depth=2
	global_load_b32 v0, v[16:17], off
	s_wait_loadcnt 0x0
	v_subrev_nc_u32_e32 v31, s18, v0
	s_delay_alu instid0(VALU_DEP_1) | instskip(NEXT) | instid1(VALU_DEP_1)
	v_sub_nc_u32_e32 v0, 0, v31
	v_max_i32_e32 v0, v31, v0
	s_delay_alu instid0(VALU_DEP_1) | instskip(NEXT) | instid1(VALU_DEP_1)
	v_mul_u64_e32 v[38:39], s[12:13], v[0:1]
	v_mul_lo_u32 v38, v39, s14
	s_delay_alu instid0(VALU_DEP_1) | instskip(NEXT) | instid1(VALU_DEP_1)
	v_dual_sub_nc_u32 v0, v0, v38 :: v_dual_add_nc_u32 v38, 1, v39
	v_cmp_le_u32_e32 vcc_lo, s14, v0
	s_delay_alu instid0(VALU_DEP_2) | instskip(SKIP_1) | instid1(VALU_DEP_1)
	v_dual_cndmask_b32 v38, v39, v38 :: v_dual_ashrrev_i32 v39, 31, v31
	v_subrev_nc_u32_e32 v40, s14, v0
	v_dual_cndmask_b32 v0, v0, v40, vcc_lo :: v_dual_add_nc_u32 v40, 1, v38
	s_delay_alu instid0(VALU_DEP_1) | instskip(NEXT) | instid1(VALU_DEP_2)
	v_cmp_le_u32_e32 vcc_lo, s14, v0
	v_dual_cndmask_b32 v0, v38, v40, vcc_lo :: v_dual_bitop2_b32 v39, s15, v39 bitop3:0x14
	s_delay_alu instid0(VALU_DEP_1) | instskip(NEXT) | instid1(VALU_DEP_1)
	v_xor_b32_e32 v0, v0, v39
	v_dual_sub_nc_u32 v38, v0, v39 :: v_dual_mov_b32 v0, v15
	s_delay_alu instid0(VALU_DEP_1) | instskip(SKIP_3) | instid1(SALU_CYCLE_1)
	v_cmp_ne_u32_e64 s0, v38, v37
	v_cmp_eq_u32_e32 vcc_lo, v38, v37
	s_wait_xcnt 0x0
	s_and_saveexec_b32 s23, s0
	s_xor_b32 s0, exec_lo, s23
; %bb.16:                               ;   in Loop: Header=BB78_15 Depth=2
	v_min_i32_e32 v36, v38, v36
                                        ; implicit-def: $vgpr31
                                        ; implicit-def: $vgpr0
; %bb.17:                               ;   in Loop: Header=BB78_15 Depth=2
	s_or_saveexec_b32 s0, s0
	v_mov_b32_e32 v15, v14
	s_xor_b32 exec_lo, exec_lo, s0
	s_cbranch_execz .LBB78_14
; %bb.18:                               ;   in Loop: Header=BB78_15 Depth=2
	global_load_b64 v[38:39], v[18:19], off
	v_sub_nc_u32_e32 v15, v31, v3
	s_delay_alu instid0(VALU_DEP_1)
	v_lshl_add_u32 v31, v15, 3, v23
	v_mov_b32_e32 v15, v0
	ds_store_b8 v20, v35 offset:4096
	s_wait_loadcnt 0x0
	ds_store_b64 v31, v[38:39]
	s_branch .LBB78_14
.LBB78_19:                              ;   in Loop: Header=BB78_10 Depth=1
	s_or_b32 exec_lo, exec_lo, s22
.LBB78_20:                              ;   in Loop: Header=BB78_10 Depth=1
	s_delay_alu instid0(SALU_CYCLE_1)
	s_or_b32 exec_lo, exec_lo, s21
	ds_bpermute_b32 v0, v24, v15
	s_wait_dscnt 0x0
	ds_load_u8 v14, v20 offset:4096
	v_min_i32_e32 v0, v0, v15
	ds_bpermute_b32 v3, v25, v0
	s_wait_dscnt 0x0
	v_min_i32_e32 v0, v3, v0
	ds_bpermute_b32 v3, v26, v0
	s_wait_dscnt 0x0
	;; [unrolled: 3-line block ×4, first 2 shown]
	v_min_i32_e32 v0, v3, v0
	ds_bpermute_b32 v31, v29, v0
	v_and_b32_e32 v0, 1, v14
	s_delay_alu instid0(VALU_DEP_1)
	v_cmp_eq_u32_e32 vcc_lo, 1, v0
	v_mov_b32_e32 v0, 0
	s_and_saveexec_b32 s0, vcc_lo
	s_cbranch_execz .LBB78_9
; %bb.21:                               ;   in Loop: Header=BB78_10 Depth=1
	v_dual_ashrrev_i32 v3, 31, v2 :: v_dual_add_nc_u32 v0, s19, v37
	s_delay_alu instid0(VALU_DEP_1) | instskip(SKIP_2) | instid1(VALU_DEP_1)
	v_mul_u64_e32 v[14:15], s[16:17], v[2:3]
	global_store_b32 v2, v0, s[2:3] scale_offset
	v_lshlrev_b64_e32 v[14:15], 3, v[14:15]
	v_add_nc_u64_e32 v[16:17], v[4:5], v[14:15]
	v_add_nc_u64_e32 v[14:15], v[8:9], v[14:15]
	s_wait_xcnt 0x0
	s_and_saveexec_b32 s21, s6
	s_cbranch_execz .LBB78_25
; %bb.22:                               ;   in Loop: Header=BB78_10 Depth=1
	ds_load_b64 v[18:19], v30
	s_and_b32 vcc_lo, exec_lo, s4
	s_cbranch_vccz .LBB78_28
; %bb.23:                               ;   in Loop: Header=BB78_10 Depth=1
	v_lshl_add_u64 v[38:39], v[6:7], 3, v[16:17]
	s_wait_dscnt 0x0
	global_store_b64 v[38:39], v[18:19], off
	s_cbranch_execnz .LBB78_25
.LBB78_24:                              ;   in Loop: Header=BB78_10 Depth=1
	s_wait_dscnt 0x0
	global_store_b64 v[14:15], v[18:19], off
.LBB78_25:                              ;   in Loop: Header=BB78_10 Depth=1
	s_wait_xcnt 0x0
	s_or_b32 exec_lo, exec_lo, s21
	s_and_saveexec_b32 s21, s1
	s_cbranch_execz .LBB78_8
; %bb.26:                               ;   in Loop: Header=BB78_10 Depth=1
	s_and_not1_b32 vcc_lo, exec_lo, s4
	s_cbranch_vccnz .LBB78_29
; %bb.27:                               ;   in Loop: Header=BB78_10 Depth=1
	s_wait_dscnt 0x0
	ds_load_b64 v[18:19], v30 offset:256
	v_lshl_add_u64 v[16:17], v[10:11], 3, v[16:17]
	s_wait_dscnt 0x0
	global_store_b64 v[16:17], v[18:19], off
	s_cbranch_execnz .LBB78_8
	s_branch .LBB78_30
.LBB78_28:                              ;   in Loop: Header=BB78_10 Depth=1
	s_branch .LBB78_24
.LBB78_29:                              ;   in Loop: Header=BB78_10 Depth=1
.LBB78_30:                              ;   in Loop: Header=BB78_10 Depth=1
	s_wait_xcnt 0x0
	ds_load_b64 v[16:17], v30 offset:256
	s_wait_dscnt 0x0
	global_store_b64 v[14:15], v[16:17], off offset:256
	s_branch .LBB78_8
.LBB78_31:
	s_endpgm
	.section	.rodata,"a",@progbits
	.p2align	6, 0x0
	.amdhsa_kernel _ZN9rocsparseL44csr2gebsr_wavefront_per_row_multipass_kernelILi256ELi2ELi64ELi64EdEEv20rocsparse_direction_iiiiii21rocsparse_index_base_PKT3_PKiS7_S2_PS3_PiS9_
		.amdhsa_group_segment_fixed_size 4104
		.amdhsa_private_segment_fixed_size 0
		.amdhsa_kernarg_size 88
		.amdhsa_user_sgpr_count 2
		.amdhsa_user_sgpr_dispatch_ptr 0
		.amdhsa_user_sgpr_queue_ptr 0
		.amdhsa_user_sgpr_kernarg_segment_ptr 1
		.amdhsa_user_sgpr_dispatch_id 0
		.amdhsa_user_sgpr_kernarg_preload_length 0
		.amdhsa_user_sgpr_kernarg_preload_offset 0
		.amdhsa_user_sgpr_private_segment_size 0
		.amdhsa_wavefront_size32 1
		.amdhsa_uses_dynamic_stack 0
		.amdhsa_enable_private_segment 0
		.amdhsa_system_sgpr_workgroup_id_x 1
		.amdhsa_system_sgpr_workgroup_id_y 0
		.amdhsa_system_sgpr_workgroup_id_z 0
		.amdhsa_system_sgpr_workgroup_info 0
		.amdhsa_system_vgpr_workitem_id 0
		.amdhsa_next_free_vgpr 41
		.amdhsa_next_free_sgpr 24
		.amdhsa_named_barrier_count 0
		.amdhsa_reserve_vcc 1
		.amdhsa_float_round_mode_32 0
		.amdhsa_float_round_mode_16_64 0
		.amdhsa_float_denorm_mode_32 3
		.amdhsa_float_denorm_mode_16_64 3
		.amdhsa_fp16_overflow 0
		.amdhsa_memory_ordered 1
		.amdhsa_forward_progress 1
		.amdhsa_inst_pref_size 14
		.amdhsa_round_robin_scheduling 0
		.amdhsa_exception_fp_ieee_invalid_op 0
		.amdhsa_exception_fp_denorm_src 0
		.amdhsa_exception_fp_ieee_div_zero 0
		.amdhsa_exception_fp_ieee_overflow 0
		.amdhsa_exception_fp_ieee_underflow 0
		.amdhsa_exception_fp_ieee_inexact 0
		.amdhsa_exception_int_div_zero 0
	.end_amdhsa_kernel
	.section	.text._ZN9rocsparseL44csr2gebsr_wavefront_per_row_multipass_kernelILi256ELi2ELi64ELi64EdEEv20rocsparse_direction_iiiiii21rocsparse_index_base_PKT3_PKiS7_S2_PS3_PiS9_,"axG",@progbits,_ZN9rocsparseL44csr2gebsr_wavefront_per_row_multipass_kernelILi256ELi2ELi64ELi64EdEEv20rocsparse_direction_iiiiii21rocsparse_index_base_PKT3_PKiS7_S2_PS3_PiS9_,comdat
.Lfunc_end78:
	.size	_ZN9rocsparseL44csr2gebsr_wavefront_per_row_multipass_kernelILi256ELi2ELi64ELi64EdEEv20rocsparse_direction_iiiiii21rocsparse_index_base_PKT3_PKiS7_S2_PS3_PiS9_, .Lfunc_end78-_ZN9rocsparseL44csr2gebsr_wavefront_per_row_multipass_kernelILi256ELi2ELi64ELi64EdEEv20rocsparse_direction_iiiiii21rocsparse_index_base_PKT3_PKiS7_S2_PS3_PiS9_
                                        ; -- End function
	.set _ZN9rocsparseL44csr2gebsr_wavefront_per_row_multipass_kernelILi256ELi2ELi64ELi64EdEEv20rocsparse_direction_iiiiii21rocsparse_index_base_PKT3_PKiS7_S2_PS3_PiS9_.num_vgpr, 41
	.set _ZN9rocsparseL44csr2gebsr_wavefront_per_row_multipass_kernelILi256ELi2ELi64ELi64EdEEv20rocsparse_direction_iiiiii21rocsparse_index_base_PKT3_PKiS7_S2_PS3_PiS9_.num_agpr, 0
	.set _ZN9rocsparseL44csr2gebsr_wavefront_per_row_multipass_kernelILi256ELi2ELi64ELi64EdEEv20rocsparse_direction_iiiiii21rocsparse_index_base_PKT3_PKiS7_S2_PS3_PiS9_.numbered_sgpr, 24
	.set _ZN9rocsparseL44csr2gebsr_wavefront_per_row_multipass_kernelILi256ELi2ELi64ELi64EdEEv20rocsparse_direction_iiiiii21rocsparse_index_base_PKT3_PKiS7_S2_PS3_PiS9_.num_named_barrier, 0
	.set _ZN9rocsparseL44csr2gebsr_wavefront_per_row_multipass_kernelILi256ELi2ELi64ELi64EdEEv20rocsparse_direction_iiiiii21rocsparse_index_base_PKT3_PKiS7_S2_PS3_PiS9_.private_seg_size, 0
	.set _ZN9rocsparseL44csr2gebsr_wavefront_per_row_multipass_kernelILi256ELi2ELi64ELi64EdEEv20rocsparse_direction_iiiiii21rocsparse_index_base_PKT3_PKiS7_S2_PS3_PiS9_.uses_vcc, 1
	.set _ZN9rocsparseL44csr2gebsr_wavefront_per_row_multipass_kernelILi256ELi2ELi64ELi64EdEEv20rocsparse_direction_iiiiii21rocsparse_index_base_PKT3_PKiS7_S2_PS3_PiS9_.uses_flat_scratch, 0
	.set _ZN9rocsparseL44csr2gebsr_wavefront_per_row_multipass_kernelILi256ELi2ELi64ELi64EdEEv20rocsparse_direction_iiiiii21rocsparse_index_base_PKT3_PKiS7_S2_PS3_PiS9_.has_dyn_sized_stack, 0
	.set _ZN9rocsparseL44csr2gebsr_wavefront_per_row_multipass_kernelILi256ELi2ELi64ELi64EdEEv20rocsparse_direction_iiiiii21rocsparse_index_base_PKT3_PKiS7_S2_PS3_PiS9_.has_recursion, 0
	.set _ZN9rocsparseL44csr2gebsr_wavefront_per_row_multipass_kernelILi256ELi2ELi64ELi64EdEEv20rocsparse_direction_iiiiii21rocsparse_index_base_PKT3_PKiS7_S2_PS3_PiS9_.has_indirect_call, 0
	.section	.AMDGPU.csdata,"",@progbits
; Kernel info:
; codeLenInByte = 1720
; TotalNumSgprs: 26
; NumVgprs: 41
; ScratchSize: 0
; MemoryBound: 0
; FloatMode: 240
; IeeeMode: 1
; LDSByteSize: 4104 bytes/workgroup (compile time only)
; SGPRBlocks: 0
; VGPRBlocks: 2
; NumSGPRsForWavesPerEU: 26
; NumVGPRsForWavesPerEU: 41
; NamedBarCnt: 0
; Occupancy: 16
; WaveLimiterHint : 0
; COMPUTE_PGM_RSRC2:SCRATCH_EN: 0
; COMPUTE_PGM_RSRC2:USER_SGPR: 2
; COMPUTE_PGM_RSRC2:TRAP_HANDLER: 0
; COMPUTE_PGM_RSRC2:TGID_X_EN: 1
; COMPUTE_PGM_RSRC2:TGID_Y_EN: 0
; COMPUTE_PGM_RSRC2:TGID_Z_EN: 0
; COMPUTE_PGM_RSRC2:TIDIG_COMP_CNT: 0
	.section	.text._ZN9rocsparseL44csr2gebsr_wavefront_per_row_multipass_kernelILi256ELi2ELi64ELi32EdEEv20rocsparse_direction_iiiiii21rocsparse_index_base_PKT3_PKiS7_S2_PS3_PiS9_,"axG",@progbits,_ZN9rocsparseL44csr2gebsr_wavefront_per_row_multipass_kernelILi256ELi2ELi64ELi32EdEEv20rocsparse_direction_iiiiii21rocsparse_index_base_PKT3_PKiS7_S2_PS3_PiS9_,comdat
	.globl	_ZN9rocsparseL44csr2gebsr_wavefront_per_row_multipass_kernelILi256ELi2ELi64ELi32EdEEv20rocsparse_direction_iiiiii21rocsparse_index_base_PKT3_PKiS7_S2_PS3_PiS9_ ; -- Begin function _ZN9rocsparseL44csr2gebsr_wavefront_per_row_multipass_kernelILi256ELi2ELi64ELi32EdEEv20rocsparse_direction_iiiiii21rocsparse_index_base_PKT3_PKiS7_S2_PS3_PiS9_
	.p2align	8
	.type	_ZN9rocsparseL44csr2gebsr_wavefront_per_row_multipass_kernelILi256ELi2ELi64ELi32EdEEv20rocsparse_direction_iiiiii21rocsparse_index_base_PKT3_PKiS7_S2_PS3_PiS9_,@function
_ZN9rocsparseL44csr2gebsr_wavefront_per_row_multipass_kernelILi256ELi2ELi64ELi32EdEEv20rocsparse_direction_iiiiii21rocsparse_index_base_PKT3_PKiS7_S2_PS3_PiS9_: ; @_ZN9rocsparseL44csr2gebsr_wavefront_per_row_multipass_kernelILi256ELi2ELi64ELi32EdEEv20rocsparse_direction_iiiiii21rocsparse_index_base_PKT3_PKiS7_S2_PS3_PiS9_
; %bb.0:
	s_clause 0x1
	s_load_b128 s[4:7], s[0:1], 0xc
	s_load_b64 s[14:15], s[0:1], 0x0
	s_bfe_u32 s2, ttmp6, 0x4000c
	s_and_b32 s3, ttmp6, 15
	s_add_co_i32 s2, s2, 1
	s_getreg_b32 s8, hwreg(HW_REG_IB_STS2, 6, 4)
	s_mul_i32 s2, ttmp9, s2
	v_dual_lshrrev_b32 v24, 5, v0 :: v_dual_mov_b32 v2, 0
	s_add_co_i32 s3, s3, s2
	s_cmp_eq_u32 s8, 0
	v_bfe_u32 v3, v0, 4, 1
	s_cselect_b32 s2, ttmp9, s3
	s_clause 0x1
	s_load_b32 s20, s[0:1], 0x1c
	s_load_b64 s[8:9], s[0:1], 0x28
	v_lshl_or_b32 v1, s2, 3, v24
	v_mov_b32_e32 v34, 0
	s_wait_kmcnt 0x0
	s_delay_alu instid0(VALU_DEP_2) | instskip(SKIP_1) | instid1(VALU_DEP_2)
	v_mad_u32 v4, v1, s6, v3
	v_cmp_gt_i32_e32 vcc_lo, s6, v3
	v_cmp_gt_i32_e64 s2, s15, v4
	s_and_b32 s2, vcc_lo, s2
	s_delay_alu instid0(SALU_CYCLE_1)
	s_and_saveexec_b32 s3, s2
	s_cbranch_execz .LBB79_2
; %bb.1:
	global_load_b32 v5, v4, s[8:9] scale_offset
	s_wait_loadcnt 0x0
	v_subrev_nc_u32_e32 v34, s20, v5
.LBB79_2:
	s_or_b32 exec_lo, exec_lo, s3
	v_mov_b32_e32 v25, 0
	s_and_saveexec_b32 s3, s2
	s_cbranch_execz .LBB79_4
; %bb.3:
	global_load_b32 v4, v4, s[8:9] offset:4 scale_offset
	s_wait_loadcnt 0x0
	v_subrev_nc_u32_e32 v25, s20, v4
.LBB79_4:
	s_or_b32 exec_lo, exec_lo, s3
	s_load_b32 s21, s[0:1], 0x38
	s_mov_b32 s3, exec_lo
	v_cmpx_gt_i32_e64 s4, v1
	s_cbranch_execz .LBB79_6
; %bb.5:
	s_load_b64 s[8:9], s[0:1], 0x48
	s_wait_kmcnt 0x0
	global_load_b32 v1, v1, s[8:9] scale_offset
	s_wait_loadcnt 0x0
	v_subrev_nc_u32_e32 v2, s21, v1
.LBB79_6:
	s_or_b32 exec_lo, exec_lo, s3
	s_cmp_lt_i32 s5, 1
	s_cbranch_scc1 .LBB79_41
; %bb.7:
	v_mbcnt_lo_u32_b32 v10, -1, 0
	s_clause 0x3
	s_load_b64 s[8:9], s[0:1], 0x50
	s_load_b64 s[2:3], s[0:1], 0x40
	;; [unrolled: 1-line block ×4, first 2 shown]
	s_cmp_lg_u32 s14, 0
	s_mov_b32 s15, 0
	s_cselect_b32 s4, -1, 0
	v_xor_b32_e32 v1, 8, v10
	v_dual_lshlrev_b32 v0, 9, v3 :: v_dual_bitop2_b32 v26, 15, v0 bitop3:0x40
	v_xor_b32_e32 v11, 16, v10
	s_mov_b32 s14, s6
	s_wait_xcnt 0x0
	v_cmp_gt_i32_e64 s0, 32, v1
	s_ashr_i32 s17, s7, 31
	v_lshl_or_b32 v27, v24, 10, v0
	s_mov_b32 s16, s7
	v_lshl_or_b32 v32, v10, 2, 60
	v_dual_cndmask_b32 v1, v10, v1, s0 :: v_dual_bitop2_b32 v4, 4, v10 bitop3:0x14
	s_mul_u64 s[18:19], s[16:17], s[14:15]
	s_abs_i32 s16, s7
	v_mov_b64_e32 v[16:17], 0
	s_delay_alu instid0(VALU_DEP_2)
	v_lshlrev_b32_e32 v28, 2, v1
	v_cmp_gt_i32_e64 s0, 32, v4
	v_xor_b32_e32 v0, 2, v10
	s_cvt_f32_u32 s1, s16
	v_dual_mov_b32 v38, 1 :: v_dual_bitop2_b32 v37, -16, v26 bitop3:0x54
	v_cndmask_b32_e64 v1, v10, v4, s0
	s_delay_alu instid0(VALU_DEP_3) | instskip(SKIP_2) | instid1(VALU_DEP_4)
	v_cmp_gt_i32_e64 s0, 32, v0
	v_xor_b32_e32 v5, 1, v10
	v_mul_lo_u32 v4, s7, v3
	v_dual_lshlrev_b32 v6, 3, v26 :: v_dual_lshlrev_b32 v29, 2, v1
	s_delay_alu instid0(VALU_DEP_4) | instskip(NEXT) | instid1(VALU_DEP_4)
	v_cndmask_b32_e64 v0, v10, v0, s0
	v_cmp_gt_i32_e64 s0, 32, v5
	v_mov_b32_e32 v40, 0
	s_mov_b32 s22, s15
	v_dual_mov_b32 v1, 0 :: v_dual_lshlrev_b32 v30, 2, v0
	v_dual_cndmask_b32 v5, v10, v5, s0 :: v_dual_lshlrev_b32 v0, 3, v3
	v_cmp_gt_i32_e64 s0, 32, v11
	s_delay_alu instid0(VALU_DEP_3) | instskip(NEXT) | instid1(VALU_DEP_3)
	v_dual_mov_b32 v7, v1 :: v_dual_bitop2_b32 v33, v27, v6 bitop3:0x54
	v_dual_lshlrev_b32 v31, 2, v5 :: v_dual_ashrrev_i32 v5, 31, v4
	s_delay_alu instid0(VALU_DEP_3)
	v_cndmask_b32_e64 v3, v10, v11, s0
	v_cmp_gt_u32_e64 s0, s7, v26
	v_dual_mov_b32 v11, v1 :: v_dual_mov_b32 v36, 0x7c
	s_wait_kmcnt 0x0
	v_lshl_add_u64 v[8:9], v[4:5], 3, s[2:3]
	v_lshlrev_b32_e32 v35, 2, v3
	v_rcp_iflag_f32_e32 v3, s1
	v_add_nc_u64_e32 v[4:5], s[2:3], v[0:1]
	v_or_b32_e32 v0, 16, v26
	v_add_nc_u64_e32 v[6:7], v[8:9], v[6:7]
	v_mul_lo_u32 v8, v26, s6
	s_lshl_b32 s6, s6, 4
	v_mov_b32_e32 v9, v1
	v_readfirstlane_b32 s3, v3
	v_cmp_gt_u32_e64 s1, s7, v0
	v_or_b32_e32 v3, 48, v26
	v_dual_mov_b32 v13, v1 :: v_dual_bitop2_b32 v0, 32, v26 bitop3:0x54
	s_mul_f32 s14, s3, 0x4f7ffffe
	s_and_b32 s1, vcc_lo, s1
	s_delay_alu instid0(VALU_DEP_2)
	v_cmp_gt_u32_e64 s3, s7, v3
	v_add_nc_u32_e32 v10, s6, v8
	s_cvt_u32_f32 s14, s14
	v_cmp_gt_u32_e64 s2, s7, v0
	v_mov_b32_e32 v15, v1
	s_and_b32 s3, vcc_lo, s3
	v_add_nc_u32_e32 v12, s6, v10
	s_and_b32 s2, vcc_lo, s2
	s_delay_alu instid0(VALU_DEP_1) | instskip(SKIP_2) | instid1(SALU_CYCLE_1)
	v_add_nc_u32_e32 v14, s6, v12
	s_and_b32 s6, s0, vcc_lo
	s_sub_co_i32 s0, 0, s16
	s_mul_i32 s0, s0, s14
	s_delay_alu instid0(SALU_CYCLE_1) | instskip(NEXT) | instid1(SALU_CYCLE_1)
	s_mul_hi_u32 s0, s14, s0
	s_add_co_i32 s14, s14, s0
	s_branch .LBB79_10
.LBB79_8:                               ;   in Loop: Header=BB79_10 Depth=1
	s_wait_xcnt 0x0
	s_or_b32 exec_lo, exec_lo, s23
	v_mov_b32_e32 v0, 1
.LBB79_9:                               ;   in Loop: Header=BB79_10 Depth=1
	s_or_b32 exec_lo, exec_lo, s0
	ds_bpermute_b32 v3, v35, v39
	s_wait_storecnt_dscnt 0x0
	v_dual_add_nc_u32 v2, v0, v2 :: v_dual_min_i32 v3, v3, v39
	ds_bpermute_b32 v18, v28, v3
	s_wait_dscnt 0x0
	v_min_i32_e32 v3, v18, v3
	ds_bpermute_b32 v18, v29, v3
	s_wait_dscnt 0x0
	v_min_i32_e32 v3, v18, v3
	;; [unrolled: 3-line block ×4, first 2 shown]
	ds_bpermute_b32 v40, v36, v3
	s_wait_dscnt 0x0
	v_cmp_le_i32_e32 vcc_lo, s5, v40
	s_or_b32 s22, vcc_lo, s22
	s_delay_alu instid0(SALU_CYCLE_1)
	s_and_not1_b32 exec_lo, exec_lo, s22
	s_cbranch_execz .LBB79_41
.LBB79_10:                              ; =>This Loop Header: Depth=1
                                        ;     Child Loop BB79_11 Depth 2
                                        ;     Child Loop BB79_15 Depth 2
	v_dual_mov_b32 v0, v33 :: v_dual_mov_b32 v3, v37
	s_mov_b32 s0, 0
	ds_store_b8 v24, v1 offset:8192
.LBB79_11:                              ;   Parent Loop BB79_10 Depth=1
                                        ; =>  This Inner Loop Header: Depth=2
	v_add_nc_u32_e32 v3, 16, v3
	ds_store_b64 v0, v[16:17]
	v_add_nc_u32_e32 v0, 0x80, v0
	v_cmp_lt_u32_e32 vcc_lo, 47, v3
	s_or_b32 s0, vcc_lo, s0
	s_delay_alu instid0(SALU_CYCLE_1)
	s_and_not1_b32 exec_lo, exec_lo, s0
	s_cbranch_execnz .LBB79_11
; %bb.12:                               ;   in Loop: Header=BB79_10 Depth=1
	s_or_b32 exec_lo, exec_lo, s0
	v_dual_mov_b32 v39, s5 :: v_dual_add_nc_u32 v18, v34, v26
	v_mov_b32_e32 v19, v25
	s_mov_b32 s23, exec_lo
	s_wait_dscnt 0x0
	s_delay_alu instid0(VALU_DEP_2)
	v_cmpx_lt_i32_e64 v18, v25
	s_cbranch_execz .LBB79_20
; %bb.13:                               ;   in Loop: Header=BB79_10 Depth=1
	v_mul_lo_u32 v3, v40, s7
	v_dual_ashrrev_i32 v19, 31, v18 :: v_dual_mov_b32 v39, s5
	s_mov_b32 s24, 0
	s_delay_alu instid0(VALU_DEP_1)
	v_lshl_add_u64 v[20:21], v[18:19], 2, s[12:13]
	v_lshl_add_u64 v[22:23], v[18:19], 3, s[10:11]
	v_mov_b32_e32 v19, v25
	s_branch .LBB79_15
.LBB79_14:                              ;   in Loop: Header=BB79_15 Depth=2
	s_wait_xcnt 0x0
	s_or_b32 exec_lo, exec_lo, s0
	v_add_nc_u32_e32 v18, 16, v18
	s_xor_b32 s25, vcc_lo, -1
	v_add_nc_u64_e32 v[20:21], 64, v[20:21]
	v_add_nc_u64_e32 v[22:23], 0x80, v[22:23]
	s_delay_alu instid0(VALU_DEP_3) | instskip(SKIP_1) | instid1(SALU_CYCLE_1)
	v_cmp_ge_i32_e64 s0, v18, v25
	s_or_b32 s0, s25, s0
	s_and_b32 s0, exec_lo, s0
	s_delay_alu instid0(SALU_CYCLE_1) | instskip(NEXT) | instid1(SALU_CYCLE_1)
	s_or_b32 s24, s0, s24
	s_and_not1_b32 exec_lo, exec_lo, s24
	s_cbranch_execz .LBB79_19
.LBB79_15:                              ;   Parent Loop BB79_10 Depth=1
                                        ; =>  This Inner Loop Header: Depth=2
	global_load_b32 v0, v[20:21], off
	s_wait_loadcnt 0x0
	v_subrev_nc_u32_e32 v34, s20, v0
	s_delay_alu instid0(VALU_DEP_1) | instskip(NEXT) | instid1(VALU_DEP_1)
	v_sub_nc_u32_e32 v0, 0, v34
	v_max_i32_e32 v0, v34, v0
	s_delay_alu instid0(VALU_DEP_1) | instskip(NEXT) | instid1(VALU_DEP_1)
	v_mul_u64_e32 v[42:43], s[14:15], v[0:1]
	v_mul_lo_u32 v41, v43, s16
	s_delay_alu instid0(VALU_DEP_1) | instskip(NEXT) | instid1(VALU_DEP_1)
	v_dual_sub_nc_u32 v0, v0, v41 :: v_dual_add_nc_u32 v41, 1, v43
	v_cmp_le_u32_e32 vcc_lo, s16, v0
	s_delay_alu instid0(VALU_DEP_2) | instskip(SKIP_1) | instid1(VALU_DEP_1)
	v_dual_cndmask_b32 v41, v43, v41, vcc_lo :: v_dual_ashrrev_i32 v43, 31, v34
	v_subrev_nc_u32_e32 v42, s16, v0
	v_dual_cndmask_b32 v0, v0, v42, vcc_lo :: v_dual_add_nc_u32 v42, 1, v41
	s_delay_alu instid0(VALU_DEP_1) | instskip(NEXT) | instid1(VALU_DEP_2)
	v_cmp_le_u32_e32 vcc_lo, s16, v0
	v_dual_cndmask_b32 v0, v41, v42, vcc_lo :: v_dual_bitop2_b32 v43, s17, v43 bitop3:0x14
	s_delay_alu instid0(VALU_DEP_1) | instskip(NEXT) | instid1(VALU_DEP_1)
	v_xor_b32_e32 v0, v0, v43
	v_dual_mov_b32 v0, v19 :: v_dual_sub_nc_u32 v41, v0, v43
	s_delay_alu instid0(VALU_DEP_1) | instskip(SKIP_3) | instid1(SALU_CYCLE_1)
	v_cmp_ne_u32_e64 s0, v41, v40
	v_cmp_eq_u32_e32 vcc_lo, v41, v40
	s_wait_xcnt 0x0
	s_and_saveexec_b32 s25, s0
	s_xor_b32 s0, exec_lo, s25
; %bb.16:                               ;   in Loop: Header=BB79_15 Depth=2
	v_min_i32_e32 v39, v41, v39
                                        ; implicit-def: $vgpr34
                                        ; implicit-def: $vgpr0
; %bb.17:                               ;   in Loop: Header=BB79_15 Depth=2
	s_or_saveexec_b32 s0, s0
	v_mov_b32_e32 v19, v18
	s_xor_b32 exec_lo, exec_lo, s0
	s_cbranch_execz .LBB79_14
; %bb.18:                               ;   in Loop: Header=BB79_15 Depth=2
	global_load_b64 v[42:43], v[22:23], off
	v_sub_nc_u32_e32 v19, v34, v3
	s_delay_alu instid0(VALU_DEP_1)
	v_lshl_add_u32 v34, v19, 3, v27
	v_mov_b32_e32 v19, v0
	ds_store_b8 v24, v38 offset:8192
	s_wait_loadcnt 0x0
	ds_store_b64 v34, v[42:43]
	s_branch .LBB79_14
.LBB79_19:                              ;   in Loop: Header=BB79_10 Depth=1
	s_or_b32 exec_lo, exec_lo, s24
.LBB79_20:                              ;   in Loop: Header=BB79_10 Depth=1
	s_delay_alu instid0(SALU_CYCLE_1)
	s_or_b32 exec_lo, exec_lo, s23
	ds_bpermute_b32 v0, v28, v19
	s_wait_dscnt 0x0
	ds_load_u8 v18, v24 offset:8192
	v_min_i32_e32 v0, v0, v19
	ds_bpermute_b32 v3, v29, v0
	s_wait_dscnt 0x0
	v_min_i32_e32 v0, v3, v0
	ds_bpermute_b32 v3, v30, v0
	s_wait_dscnt 0x0
	;; [unrolled: 3-line block ×3, first 2 shown]
	v_min_i32_e32 v0, v3, v0
	ds_bpermute_b32 v34, v32, v0
	v_and_b32_e32 v0, 1, v18
	s_delay_alu instid0(VALU_DEP_1)
	v_cmp_eq_u32_e32 vcc_lo, 1, v0
	v_mov_b32_e32 v0, 0
	s_and_saveexec_b32 s0, vcc_lo
	s_cbranch_execz .LBB79_9
; %bb.21:                               ;   in Loop: Header=BB79_10 Depth=1
	v_dual_ashrrev_i32 v3, 31, v2 :: v_dual_add_nc_u32 v0, s21, v40
	s_delay_alu instid0(VALU_DEP_1) | instskip(SKIP_2) | instid1(VALU_DEP_1)
	v_mul_u64_e32 v[18:19], s[18:19], v[2:3]
	global_store_b32 v2, v0, s[8:9] scale_offset
	v_lshlrev_b64_e32 v[18:19], 3, v[18:19]
	v_add_nc_u64_e32 v[20:21], v[4:5], v[18:19]
	v_add_nc_u64_e32 v[18:19], v[6:7], v[18:19]
	s_wait_xcnt 0x0
	s_and_saveexec_b32 s23, s6
	s_cbranch_execz .LBB79_25
; %bb.22:                               ;   in Loop: Header=BB79_10 Depth=1
	ds_load_b64 v[22:23], v33
	s_and_b32 vcc_lo, exec_lo, s4
	s_cbranch_vccz .LBB79_36
; %bb.23:                               ;   in Loop: Header=BB79_10 Depth=1
	v_lshl_add_u64 v[40:41], v[8:9], 3, v[20:21]
	s_wait_dscnt 0x0
	global_store_b64 v[40:41], v[22:23], off
	s_cbranch_execnz .LBB79_25
.LBB79_24:                              ;   in Loop: Header=BB79_10 Depth=1
	s_wait_dscnt 0x0
	global_store_b64 v[18:19], v[22:23], off
.LBB79_25:                              ;   in Loop: Header=BB79_10 Depth=1
	s_wait_xcnt 0x0
	s_or_b32 exec_lo, exec_lo, s23
	s_and_saveexec_b32 s23, s1
	s_cbranch_execz .LBB79_29
; %bb.26:                               ;   in Loop: Header=BB79_10 Depth=1
	s_and_not1_b32 vcc_lo, exec_lo, s4
	s_cbranch_vccnz .LBB79_37
; %bb.27:                               ;   in Loop: Header=BB79_10 Depth=1
	s_wait_dscnt 0x0
	ds_load_b64 v[22:23], v33 offset:128
	v_lshl_add_u64 v[40:41], v[10:11], 3, v[20:21]
	s_wait_dscnt 0x0
	global_store_b64 v[40:41], v[22:23], off
	s_cbranch_execnz .LBB79_29
.LBB79_28:                              ;   in Loop: Header=BB79_10 Depth=1
	s_wait_dscnt 0x0
	s_wait_xcnt 0x0
	ds_load_b64 v[22:23], v33 offset:128
	s_wait_dscnt 0x0
	global_store_b64 v[18:19], v[22:23], off offset:128
.LBB79_29:                              ;   in Loop: Header=BB79_10 Depth=1
	s_wait_xcnt 0x0
	s_or_b32 exec_lo, exec_lo, s23
	s_and_saveexec_b32 s23, s2
	s_cbranch_execz .LBB79_33
; %bb.30:                               ;   in Loop: Header=BB79_10 Depth=1
	s_and_not1_b32 vcc_lo, exec_lo, s4
	s_cbranch_vccnz .LBB79_38
; %bb.31:                               ;   in Loop: Header=BB79_10 Depth=1
	s_wait_dscnt 0x0
	ds_load_b64 v[22:23], v33 offset:256
	v_lshl_add_u64 v[40:41], v[12:13], 3, v[20:21]
	s_wait_dscnt 0x0
	global_store_b64 v[40:41], v[22:23], off
	s_cbranch_execnz .LBB79_33
.LBB79_32:                              ;   in Loop: Header=BB79_10 Depth=1
	s_wait_dscnt 0x0
	s_wait_xcnt 0x0
	ds_load_b64 v[22:23], v33 offset:256
	s_wait_dscnt 0x0
	global_store_b64 v[18:19], v[22:23], off offset:256
.LBB79_33:                              ;   in Loop: Header=BB79_10 Depth=1
	s_wait_xcnt 0x0
	s_or_b32 exec_lo, exec_lo, s23
	s_and_saveexec_b32 s23, s3
	s_cbranch_execz .LBB79_8
; %bb.34:                               ;   in Loop: Header=BB79_10 Depth=1
	s_and_not1_b32 vcc_lo, exec_lo, s4
	s_cbranch_vccnz .LBB79_39
; %bb.35:                               ;   in Loop: Header=BB79_10 Depth=1
	s_wait_dscnt 0x0
	ds_load_b64 v[22:23], v33 offset:384
	v_lshl_add_u64 v[20:21], v[14:15], 3, v[20:21]
	s_wait_dscnt 0x0
	global_store_b64 v[20:21], v[22:23], off
	s_cbranch_execnz .LBB79_8
	s_branch .LBB79_40
.LBB79_36:                              ;   in Loop: Header=BB79_10 Depth=1
	s_branch .LBB79_24
.LBB79_37:                              ;   in Loop: Header=BB79_10 Depth=1
	s_branch .LBB79_28
.LBB79_38:                              ;   in Loop: Header=BB79_10 Depth=1
	s_branch .LBB79_32
.LBB79_39:                              ;   in Loop: Header=BB79_10 Depth=1
.LBB79_40:                              ;   in Loop: Header=BB79_10 Depth=1
	s_wait_xcnt 0x0
	ds_load_b64 v[20:21], v33 offset:384
	s_wait_dscnt 0x0
	global_store_b64 v[18:19], v[20:21], off offset:384
	s_branch .LBB79_8
.LBB79_41:
	s_endpgm
	.section	.rodata,"a",@progbits
	.p2align	6, 0x0
	.amdhsa_kernel _ZN9rocsparseL44csr2gebsr_wavefront_per_row_multipass_kernelILi256ELi2ELi64ELi32EdEEv20rocsparse_direction_iiiiii21rocsparse_index_base_PKT3_PKiS7_S2_PS3_PiS9_
		.amdhsa_group_segment_fixed_size 8200
		.amdhsa_private_segment_fixed_size 0
		.amdhsa_kernarg_size 88
		.amdhsa_user_sgpr_count 2
		.amdhsa_user_sgpr_dispatch_ptr 0
		.amdhsa_user_sgpr_queue_ptr 0
		.amdhsa_user_sgpr_kernarg_segment_ptr 1
		.amdhsa_user_sgpr_dispatch_id 0
		.amdhsa_user_sgpr_kernarg_preload_length 0
		.amdhsa_user_sgpr_kernarg_preload_offset 0
		.amdhsa_user_sgpr_private_segment_size 0
		.amdhsa_wavefront_size32 1
		.amdhsa_uses_dynamic_stack 0
		.amdhsa_enable_private_segment 0
		.amdhsa_system_sgpr_workgroup_id_x 1
		.amdhsa_system_sgpr_workgroup_id_y 0
		.amdhsa_system_sgpr_workgroup_id_z 0
		.amdhsa_system_sgpr_workgroup_info 0
		.amdhsa_system_vgpr_workitem_id 0
		.amdhsa_next_free_vgpr 44
		.amdhsa_next_free_sgpr 26
		.amdhsa_named_barrier_count 0
		.amdhsa_reserve_vcc 1
		.amdhsa_float_round_mode_32 0
		.amdhsa_float_round_mode_16_64 0
		.amdhsa_float_denorm_mode_32 3
		.amdhsa_float_denorm_mode_16_64 3
		.amdhsa_fp16_overflow 0
		.amdhsa_memory_ordered 1
		.amdhsa_forward_progress 1
		.amdhsa_inst_pref_size 15
		.amdhsa_round_robin_scheduling 0
		.amdhsa_exception_fp_ieee_invalid_op 0
		.amdhsa_exception_fp_denorm_src 0
		.amdhsa_exception_fp_ieee_div_zero 0
		.amdhsa_exception_fp_ieee_overflow 0
		.amdhsa_exception_fp_ieee_underflow 0
		.amdhsa_exception_fp_ieee_inexact 0
		.amdhsa_exception_int_div_zero 0
	.end_amdhsa_kernel
	.section	.text._ZN9rocsparseL44csr2gebsr_wavefront_per_row_multipass_kernelILi256ELi2ELi64ELi32EdEEv20rocsparse_direction_iiiiii21rocsparse_index_base_PKT3_PKiS7_S2_PS3_PiS9_,"axG",@progbits,_ZN9rocsparseL44csr2gebsr_wavefront_per_row_multipass_kernelILi256ELi2ELi64ELi32EdEEv20rocsparse_direction_iiiiii21rocsparse_index_base_PKT3_PKiS7_S2_PS3_PiS9_,comdat
.Lfunc_end79:
	.size	_ZN9rocsparseL44csr2gebsr_wavefront_per_row_multipass_kernelILi256ELi2ELi64ELi32EdEEv20rocsparse_direction_iiiiii21rocsparse_index_base_PKT3_PKiS7_S2_PS3_PiS9_, .Lfunc_end79-_ZN9rocsparseL44csr2gebsr_wavefront_per_row_multipass_kernelILi256ELi2ELi64ELi32EdEEv20rocsparse_direction_iiiiii21rocsparse_index_base_PKT3_PKiS7_S2_PS3_PiS9_
                                        ; -- End function
	.set _ZN9rocsparseL44csr2gebsr_wavefront_per_row_multipass_kernelILi256ELi2ELi64ELi32EdEEv20rocsparse_direction_iiiiii21rocsparse_index_base_PKT3_PKiS7_S2_PS3_PiS9_.num_vgpr, 44
	.set _ZN9rocsparseL44csr2gebsr_wavefront_per_row_multipass_kernelILi256ELi2ELi64ELi32EdEEv20rocsparse_direction_iiiiii21rocsparse_index_base_PKT3_PKiS7_S2_PS3_PiS9_.num_agpr, 0
	.set _ZN9rocsparseL44csr2gebsr_wavefront_per_row_multipass_kernelILi256ELi2ELi64ELi32EdEEv20rocsparse_direction_iiiiii21rocsparse_index_base_PKT3_PKiS7_S2_PS3_PiS9_.numbered_sgpr, 26
	.set _ZN9rocsparseL44csr2gebsr_wavefront_per_row_multipass_kernelILi256ELi2ELi64ELi32EdEEv20rocsparse_direction_iiiiii21rocsparse_index_base_PKT3_PKiS7_S2_PS3_PiS9_.num_named_barrier, 0
	.set _ZN9rocsparseL44csr2gebsr_wavefront_per_row_multipass_kernelILi256ELi2ELi64ELi32EdEEv20rocsparse_direction_iiiiii21rocsparse_index_base_PKT3_PKiS7_S2_PS3_PiS9_.private_seg_size, 0
	.set _ZN9rocsparseL44csr2gebsr_wavefront_per_row_multipass_kernelILi256ELi2ELi64ELi32EdEEv20rocsparse_direction_iiiiii21rocsparse_index_base_PKT3_PKiS7_S2_PS3_PiS9_.uses_vcc, 1
	.set _ZN9rocsparseL44csr2gebsr_wavefront_per_row_multipass_kernelILi256ELi2ELi64ELi32EdEEv20rocsparse_direction_iiiiii21rocsparse_index_base_PKT3_PKiS7_S2_PS3_PiS9_.uses_flat_scratch, 0
	.set _ZN9rocsparseL44csr2gebsr_wavefront_per_row_multipass_kernelILi256ELi2ELi64ELi32EdEEv20rocsparse_direction_iiiiii21rocsparse_index_base_PKT3_PKiS7_S2_PS3_PiS9_.has_dyn_sized_stack, 0
	.set _ZN9rocsparseL44csr2gebsr_wavefront_per_row_multipass_kernelILi256ELi2ELi64ELi32EdEEv20rocsparse_direction_iiiiii21rocsparse_index_base_PKT3_PKiS7_S2_PS3_PiS9_.has_recursion, 0
	.set _ZN9rocsparseL44csr2gebsr_wavefront_per_row_multipass_kernelILi256ELi2ELi64ELi32EdEEv20rocsparse_direction_iiiiii21rocsparse_index_base_PKT3_PKiS7_S2_PS3_PiS9_.has_indirect_call, 0
	.section	.AMDGPU.csdata,"",@progbits
; Kernel info:
; codeLenInByte = 1916
; TotalNumSgprs: 28
; NumVgprs: 44
; ScratchSize: 0
; MemoryBound: 0
; FloatMode: 240
; IeeeMode: 1
; LDSByteSize: 8200 bytes/workgroup (compile time only)
; SGPRBlocks: 0
; VGPRBlocks: 2
; NumSGPRsForWavesPerEU: 28
; NumVGPRsForWavesPerEU: 44
; NamedBarCnt: 0
; Occupancy: 16
; WaveLimiterHint : 0
; COMPUTE_PGM_RSRC2:SCRATCH_EN: 0
; COMPUTE_PGM_RSRC2:USER_SGPR: 2
; COMPUTE_PGM_RSRC2:TRAP_HANDLER: 0
; COMPUTE_PGM_RSRC2:TGID_X_EN: 1
; COMPUTE_PGM_RSRC2:TGID_Y_EN: 0
; COMPUTE_PGM_RSRC2:TGID_Z_EN: 0
; COMPUTE_PGM_RSRC2:TIDIG_COMP_CNT: 0
	.section	.text._ZN9rocsparseL44csr2gebsr_wavefront_per_row_multipass_kernelILi256ELi4ELi2ELi8EdEEv20rocsparse_direction_iiiiii21rocsparse_index_base_PKT3_PKiS7_S2_PS3_PiS9_,"axG",@progbits,_ZN9rocsparseL44csr2gebsr_wavefront_per_row_multipass_kernelILi256ELi4ELi2ELi8EdEEv20rocsparse_direction_iiiiii21rocsparse_index_base_PKT3_PKiS7_S2_PS3_PiS9_,comdat
	.globl	_ZN9rocsparseL44csr2gebsr_wavefront_per_row_multipass_kernelILi256ELi4ELi2ELi8EdEEv20rocsparse_direction_iiiiii21rocsparse_index_base_PKT3_PKiS7_S2_PS3_PiS9_ ; -- Begin function _ZN9rocsparseL44csr2gebsr_wavefront_per_row_multipass_kernelILi256ELi4ELi2ELi8EdEEv20rocsparse_direction_iiiiii21rocsparse_index_base_PKT3_PKiS7_S2_PS3_PiS9_
	.p2align	8
	.type	_ZN9rocsparseL44csr2gebsr_wavefront_per_row_multipass_kernelILi256ELi4ELi2ELi8EdEEv20rocsparse_direction_iiiiii21rocsparse_index_base_PKT3_PKiS7_S2_PS3_PiS9_,@function
_ZN9rocsparseL44csr2gebsr_wavefront_per_row_multipass_kernelILi256ELi4ELi2ELi8EdEEv20rocsparse_direction_iiiiii21rocsparse_index_base_PKT3_PKiS7_S2_PS3_PiS9_: ; @_ZN9rocsparseL44csr2gebsr_wavefront_per_row_multipass_kernelILi256ELi4ELi2ELi8EdEEv20rocsparse_direction_iiiiii21rocsparse_index_base_PKT3_PKiS7_S2_PS3_PiS9_
; %bb.0:
	s_clause 0x1
	s_load_b128 s[4:7], s[0:1], 0xc
	s_load_b64 s[12:13], s[0:1], 0x0
	s_bfe_u32 s2, ttmp6, 0x4000c
	s_and_b32 s3, ttmp6, 15
	s_add_co_i32 s2, s2, 1
	s_getreg_b32 s8, hwreg(HW_REG_IB_STS2, 6, 4)
	s_mul_i32 s2, ttmp9, s2
	v_dual_lshrrev_b32 v18, 3, v0 :: v_dual_mov_b32 v2, 0
	s_add_co_i32 s3, s3, s2
	s_cmp_eq_u32 s8, 0
	v_bfe_u32 v3, v0, 1, 2
	s_cselect_b32 s2, ttmp9, s3
	s_clause 0x1
	s_load_b32 s16, s[0:1], 0x1c
	s_load_b64 s[8:9], s[0:1], 0x28
	v_lshl_or_b32 v1, s2, 5, v18
	v_mov_b32_e32 v8, 0
	s_wait_kmcnt 0x0
	s_delay_alu instid0(VALU_DEP_2) | instskip(SKIP_1) | instid1(VALU_DEP_2)
	v_mad_u32 v4, v1, s6, v3
	v_cmp_gt_i32_e32 vcc_lo, s6, v3
	v_cmp_gt_i32_e64 s2, s13, v4
	s_and_b32 s2, vcc_lo, s2
	s_delay_alu instid0(SALU_CYCLE_1)
	s_and_saveexec_b32 s3, s2
	s_cbranch_execz .LBB80_2
; %bb.1:
	global_load_b32 v5, v4, s[8:9] scale_offset
	s_wait_loadcnt 0x0
	v_subrev_nc_u32_e32 v8, s16, v5
.LBB80_2:
	s_or_b32 exec_lo, exec_lo, s3
	v_mov_b32_e32 v19, 0
	s_and_saveexec_b32 s3, s2
	s_cbranch_execz .LBB80_4
; %bb.3:
	global_load_b32 v4, v4, s[8:9] offset:4 scale_offset
	s_wait_loadcnt 0x0
	v_subrev_nc_u32_e32 v19, s16, v4
.LBB80_4:
	s_or_b32 exec_lo, exec_lo, s3
	s_load_b32 s17, s[0:1], 0x38
	s_mov_b32 s3, exec_lo
	v_cmpx_gt_i32_e64 s4, v1
	s_cbranch_execz .LBB80_6
; %bb.5:
	s_load_b64 s[8:9], s[0:1], 0x48
	s_wait_kmcnt 0x0
	global_load_b32 v1, v1, s[8:9] scale_offset
	s_wait_loadcnt 0x0
	v_subrev_nc_u32_e32 v2, s17, v1
.LBB80_6:
	s_or_b32 exec_lo, exec_lo, s3
	s_cmp_lt_i32 s5, 1
	s_cbranch_scc1 .LBB80_24
; %bb.7:
	v_mbcnt_lo_u32_b32 v9, -1, 0
	s_clause 0x3
	s_load_b64 s[2:3], s[0:1], 0x50
	s_load_b64 s[14:15], s[0:1], 0x40
	;; [unrolled: 1-line block ×4, first 2 shown]
	v_mul_lo_u32 v12, s7, v3
	s_mov_b32 s13, 0
	v_dual_lshlrev_b32 v5, 4, v3 :: v_dual_bitop2_b32 v1, 1, v9 bitop3:0x14
	v_mov_b32_e32 v27, 1
	s_wait_xcnt 0x0
	s_delay_alu instid0(VALU_DEP_2) | instskip(SKIP_2) | instid1(VALU_DEP_3)
	v_cmp_gt_i32_e64 s0, 32, v1
	v_and_b32_e32 v4, 1, v0
	v_and_b32_e32 v0, 0xf8, v0
	v_dual_ashrrev_i32 v13, 31, v12 :: v_dual_cndmask_b32 v1, v9, v1, s0
	s_delay_alu instid0(VALU_DEP_3) | instskip(NEXT) | instid1(VALU_DEP_3)
	v_cmp_gt_u32_e64 s0, s7, v4
	v_lshl_or_b32 v20, v0, 3, v5
	v_mul_lo_u32 v0, s6, v4
	v_dual_lshlrev_b32 v14, 2, v9 :: v_dual_lshlrev_b32 v10, 3, v4
	s_and_b32 s4, vcc_lo, s0
	v_lshlrev_b32_e32 v21, 2, v1
	s_cmp_lg_u32 s12, 0
	s_delay_alu instid0(VALU_DEP_2)
	v_dual_mov_b32 v1, 0 :: v_dual_bitop2_b32 v23, v20, v10 bitop3:0x54
	s_cselect_b32 s18, -1, 0
	s_abs_i32 s19, s7
	s_mov_b32 s12, s6
	s_cvt_f32_u32 s0, s19
	s_wait_kmcnt 0x0
	v_lshl_add_u64 v[6:7], v[0:1], 3, s[14:15]
	v_dual_mov_b32 v5, v1 :: v_dual_lshlrev_b32 v0, 3, v3
	v_rcp_iflag_f32_e32 v3, s0
	v_lshl_add_u64 v[12:13], v[12:13], 3, s[14:15]
	s_sub_co_i32 s14, 0, s19
	s_delay_alu instid0(VALU_DEP_2) | instskip(SKIP_2) | instid1(TRANS32_DEP_1)
	v_add_nc_u64_e32 v[6:7], v[6:7], v[0:1]
	v_dual_mov_b32 v11, v1 :: v_dual_bitop2_b32 v0, 4, v9 bitop3:0x14
	v_or_b32_e32 v22, 4, v14
	v_readfirstlane_b32 s6, v3
	v_xor_b32_e32 v3, 2, v9
	s_delay_alu instid0(VALU_DEP_4)
	v_cmp_gt_i32_e32 vcc_lo, 32, v0
	v_add_nc_u64_e32 v[10:11], v[12:13], v[10:11]
	v_mov_b64_e32 v[12:13], 0
	s_mul_f32 s6, s6, 0x4f7ffffe
	v_dual_cndmask_b32 v0, v9, v0, vcc_lo :: v_dual_bitop2_b32 v26, 28, v14 bitop3:0x54
	v_cmp_gt_i32_e32 vcc_lo, 32, v3
	s_delay_alu instid0(SALU_CYCLE_1)
	s_cvt_u32_f32 s6, s6
	s_ashr_i32 s1, s7, 31
	s_mov_b32 s0, s7
	v_cndmask_b32_e32 v3, v9, v3, vcc_lo
	s_mul_i32 s14, s14, s6
	v_lshlrev_b32_e32 v24, 2, v0
	s_mul_hi_u32 s20, s6, s14
	s_mul_u64 s[14:15], s[0:1], s[12:13]
	v_dual_lshlrev_b32 v25, 2, v3 :: v_dual_mov_b32 v3, 0
	s_add_co_i32 s12, s6, s20
	s_mov_b32 s6, s13
	s_branch .LBB80_10
.LBB80_8:                               ;   in Loop: Header=BB80_10 Depth=1
	s_wait_xcnt 0x0
	s_or_b32 exec_lo, exec_lo, s20
	v_mov_b32_e32 v0, 1
.LBB80_9:                               ;   in Loop: Header=BB80_10 Depth=1
	s_or_b32 exec_lo, exec_lo, s0
	ds_bpermute_b32 v3, v24, v28
	s_wait_storecnt_dscnt 0x0
	v_dual_add_nc_u32 v2, v0, v2 :: v_dual_min_i32 v3, v3, v28
	ds_bpermute_b32 v9, v25, v3
	s_wait_dscnt 0x0
	v_min_i32_e32 v3, v9, v3
	ds_bpermute_b32 v9, v21, v3
	s_wait_dscnt 0x0
	v_min_i32_e32 v3, v9, v3
	ds_bpermute_b32 v3, v26, v3
	s_wait_dscnt 0x0
	v_cmp_le_i32_e32 vcc_lo, s5, v3
	s_or_b32 s6, vcc_lo, s6
	s_delay_alu instid0(SALU_CYCLE_1)
	s_and_not1_b32 exec_lo, exec_lo, s6
	s_cbranch_execz .LBB80_24
.LBB80_10:                              ; =>This Loop Header: Depth=1
                                        ;     Child Loop BB80_13 Depth 2
	v_dual_add_nc_u32 v16, v8, v4 :: v_dual_mov_b32 v28, s5
	v_mov_b32_e32 v29, v19
	s_mov_b32 s20, exec_lo
	ds_store_b8 v18, v1 offset:2048
	ds_store_b64 v23, v[12:13]
	s_wait_dscnt 0x0
	v_cmpx_lt_i32_e64 v16, v19
	s_cbranch_execz .LBB80_18
; %bb.11:                               ;   in Loop: Header=BB80_10 Depth=1
	v_dual_mov_b32 v28, s5 :: v_dual_ashrrev_i32 v9, 31, v8
	v_mul_lo_u32 v17, v3, s7
	v_mov_b32_e32 v29, v19
	s_mov_b32 s21, 0
	s_delay_alu instid0(VALU_DEP_3) | instskip(NEXT) | instid1(VALU_DEP_1)
	v_add_nc_u64_e32 v[14:15], v[4:5], v[8:9]
	v_lshl_add_u64 v[8:9], v[14:15], 2, s[10:11]
	v_lshl_add_u64 v[14:15], v[14:15], 3, s[8:9]
	s_branch .LBB80_13
.LBB80_12:                              ;   in Loop: Header=BB80_13 Depth=2
	s_wait_xcnt 0x0
	s_or_b32 exec_lo, exec_lo, s0
	v_add_nc_u32_e32 v16, 2, v16
	s_xor_b32 s22, vcc_lo, -1
	v_add_nc_u64_e32 v[8:9], 8, v[8:9]
	v_add_nc_u64_e32 v[14:15], 16, v[14:15]
	s_delay_alu instid0(VALU_DEP_3) | instskip(SKIP_1) | instid1(SALU_CYCLE_1)
	v_cmp_ge_i32_e64 s0, v16, v19
	s_or_b32 s0, s22, s0
	s_and_b32 s0, exec_lo, s0
	s_delay_alu instid0(SALU_CYCLE_1) | instskip(NEXT) | instid1(SALU_CYCLE_1)
	s_or_b32 s21, s0, s21
	s_and_not1_b32 exec_lo, exec_lo, s21
	s_cbranch_execz .LBB80_17
.LBB80_13:                              ;   Parent Loop BB80_10 Depth=1
                                        ; =>  This Inner Loop Header: Depth=2
	global_load_b32 v0, v[8:9], off
	s_wait_loadcnt 0x0
	v_subrev_nc_u32_e32 v30, s16, v0
	s_delay_alu instid0(VALU_DEP_1) | instskip(NEXT) | instid1(VALU_DEP_1)
	v_sub_nc_u32_e32 v0, 0, v30
	v_max_i32_e32 v0, v30, v0
	s_delay_alu instid0(VALU_DEP_1) | instskip(NEXT) | instid1(VALU_DEP_1)
	v_mul_u64_e32 v[32:33], s[12:13], v[0:1]
	v_mul_lo_u32 v31, v33, s19
	s_delay_alu instid0(VALU_DEP_1) | instskip(NEXT) | instid1(VALU_DEP_1)
	v_dual_sub_nc_u32 v0, v0, v31 :: v_dual_add_nc_u32 v31, 1, v33
	v_cmp_le_u32_e32 vcc_lo, s19, v0
	s_delay_alu instid0(VALU_DEP_2) | instskip(SKIP_1) | instid1(VALU_DEP_1)
	v_dual_cndmask_b32 v31, v33, v31, vcc_lo :: v_dual_ashrrev_i32 v33, 31, v30
	v_subrev_nc_u32_e32 v32, s19, v0
	v_dual_cndmask_b32 v0, v0, v32, vcc_lo :: v_dual_add_nc_u32 v32, 1, v31
	s_delay_alu instid0(VALU_DEP_1) | instskip(NEXT) | instid1(VALU_DEP_2)
	v_cmp_le_u32_e32 vcc_lo, s19, v0
	v_dual_cndmask_b32 v0, v31, v32, vcc_lo :: v_dual_bitop2_b32 v33, s1, v33 bitop3:0x14
	s_delay_alu instid0(VALU_DEP_1) | instskip(NEXT) | instid1(VALU_DEP_1)
	v_xor_b32_e32 v0, v0, v33
	v_dual_mov_b32 v0, v29 :: v_dual_sub_nc_u32 v31, v0, v33
	s_delay_alu instid0(VALU_DEP_1) | instskip(SKIP_3) | instid1(SALU_CYCLE_1)
	v_cmp_ne_u32_e64 s0, v31, v3
	v_cmp_eq_u32_e32 vcc_lo, v31, v3
	s_wait_xcnt 0x0
	s_and_saveexec_b32 s22, s0
	s_xor_b32 s0, exec_lo, s22
; %bb.14:                               ;   in Loop: Header=BB80_13 Depth=2
	v_min_i32_e32 v28, v31, v28
                                        ; implicit-def: $vgpr30
                                        ; implicit-def: $vgpr0
; %bb.15:                               ;   in Loop: Header=BB80_13 Depth=2
	s_or_saveexec_b32 s0, s0
	v_mov_b32_e32 v29, v16
	s_xor_b32 exec_lo, exec_lo, s0
	s_cbranch_execz .LBB80_12
; %bb.16:                               ;   in Loop: Header=BB80_13 Depth=2
	global_load_b64 v[32:33], v[14:15], off
	v_sub_nc_u32_e32 v29, v30, v17
	s_delay_alu instid0(VALU_DEP_1)
	v_lshl_add_u32 v30, v29, 3, v20
	v_mov_b32_e32 v29, v0
	ds_store_b8 v18, v27 offset:2048
	s_wait_loadcnt 0x0
	ds_store_b64 v30, v[32:33]
	s_branch .LBB80_12
.LBB80_17:                              ;   in Loop: Header=BB80_10 Depth=1
	s_or_b32 exec_lo, exec_lo, s21
.LBB80_18:                              ;   in Loop: Header=BB80_10 Depth=1
	s_delay_alu instid0(SALU_CYCLE_1)
	s_or_b32 exec_lo, exec_lo, s20
	ds_bpermute_b32 v0, v21, v29
	s_wait_dscnt 0x0
	ds_load_u8 v9, v18 offset:2048
	v_min_i32_e32 v0, v0, v29
	ds_bpermute_b32 v8, v22, v0
	s_wait_dscnt 0x1
	v_and_b32_e32 v0, 1, v9
	s_delay_alu instid0(VALU_DEP_1)
	v_cmp_eq_u32_e32 vcc_lo, 1, v0
	v_mov_b32_e32 v0, 0
	s_and_saveexec_b32 s0, vcc_lo
	s_cbranch_execz .LBB80_9
; %bb.19:                               ;   in Loop: Header=BB80_10 Depth=1
	v_add_nc_u32_e32 v0, s17, v3
	global_store_b32 v2, v0, s[2:3] scale_offset
	s_wait_xcnt 0x0
	s_and_saveexec_b32 s20, s4
	s_cbranch_execz .LBB80_8
; %bb.20:                               ;   in Loop: Header=BB80_10 Depth=1
	v_ashrrev_i32_e32 v3, 31, v2
	ds_load_b64 v[16:17], v23
	s_and_b32 vcc_lo, exec_lo, s18
	v_mul_u64_e32 v[14:15], s[14:15], v[2:3]
	s_cbranch_vccz .LBB80_22
; %bb.21:                               ;   in Loop: Header=BB80_10 Depth=1
	s_delay_alu instid0(VALU_DEP_1)
	v_lshl_add_u64 v[30:31], v[14:15], 3, v[6:7]
	s_wait_dscnt 0x0
	global_store_b64 v[30:31], v[16:17], off
	s_cbranch_execnz .LBB80_8
	s_branch .LBB80_23
.LBB80_22:                              ;   in Loop: Header=BB80_10 Depth=1
.LBB80_23:                              ;   in Loop: Header=BB80_10 Depth=1
	s_delay_alu instid0(VALU_DEP_1)
	v_lshl_add_u64 v[14:15], v[14:15], 3, v[10:11]
	s_wait_dscnt 0x0
	global_store_b64 v[14:15], v[16:17], off
	s_branch .LBB80_8
.LBB80_24:
	s_endpgm
	.section	.rodata,"a",@progbits
	.p2align	6, 0x0
	.amdhsa_kernel _ZN9rocsparseL44csr2gebsr_wavefront_per_row_multipass_kernelILi256ELi4ELi2ELi8EdEEv20rocsparse_direction_iiiiii21rocsparse_index_base_PKT3_PKiS7_S2_PS3_PiS9_
		.amdhsa_group_segment_fixed_size 2080
		.amdhsa_private_segment_fixed_size 0
		.amdhsa_kernarg_size 88
		.amdhsa_user_sgpr_count 2
		.amdhsa_user_sgpr_dispatch_ptr 0
		.amdhsa_user_sgpr_queue_ptr 0
		.amdhsa_user_sgpr_kernarg_segment_ptr 1
		.amdhsa_user_sgpr_dispatch_id 0
		.amdhsa_user_sgpr_kernarg_preload_length 0
		.amdhsa_user_sgpr_kernarg_preload_offset 0
		.amdhsa_user_sgpr_private_segment_size 0
		.amdhsa_wavefront_size32 1
		.amdhsa_uses_dynamic_stack 0
		.amdhsa_enable_private_segment 0
		.amdhsa_system_sgpr_workgroup_id_x 1
		.amdhsa_system_sgpr_workgroup_id_y 0
		.amdhsa_system_sgpr_workgroup_id_z 0
		.amdhsa_system_sgpr_workgroup_info 0
		.amdhsa_system_vgpr_workitem_id 0
		.amdhsa_next_free_vgpr 34
		.amdhsa_next_free_sgpr 23
		.amdhsa_named_barrier_count 0
		.amdhsa_reserve_vcc 1
		.amdhsa_float_round_mode_32 0
		.amdhsa_float_round_mode_16_64 0
		.amdhsa_float_denorm_mode_32 3
		.amdhsa_float_denorm_mode_16_64 3
		.amdhsa_fp16_overflow 0
		.amdhsa_memory_ordered 1
		.amdhsa_forward_progress 1
		.amdhsa_inst_pref_size 11
		.amdhsa_round_robin_scheduling 0
		.amdhsa_exception_fp_ieee_invalid_op 0
		.amdhsa_exception_fp_denorm_src 0
		.amdhsa_exception_fp_ieee_div_zero 0
		.amdhsa_exception_fp_ieee_overflow 0
		.amdhsa_exception_fp_ieee_underflow 0
		.amdhsa_exception_fp_ieee_inexact 0
		.amdhsa_exception_int_div_zero 0
	.end_amdhsa_kernel
	.section	.text._ZN9rocsparseL44csr2gebsr_wavefront_per_row_multipass_kernelILi256ELi4ELi2ELi8EdEEv20rocsparse_direction_iiiiii21rocsparse_index_base_PKT3_PKiS7_S2_PS3_PiS9_,"axG",@progbits,_ZN9rocsparseL44csr2gebsr_wavefront_per_row_multipass_kernelILi256ELi4ELi2ELi8EdEEv20rocsparse_direction_iiiiii21rocsparse_index_base_PKT3_PKiS7_S2_PS3_PiS9_,comdat
.Lfunc_end80:
	.size	_ZN9rocsparseL44csr2gebsr_wavefront_per_row_multipass_kernelILi256ELi4ELi2ELi8EdEEv20rocsparse_direction_iiiiii21rocsparse_index_base_PKT3_PKiS7_S2_PS3_PiS9_, .Lfunc_end80-_ZN9rocsparseL44csr2gebsr_wavefront_per_row_multipass_kernelILi256ELi4ELi2ELi8EdEEv20rocsparse_direction_iiiiii21rocsparse_index_base_PKT3_PKiS7_S2_PS3_PiS9_
                                        ; -- End function
	.set _ZN9rocsparseL44csr2gebsr_wavefront_per_row_multipass_kernelILi256ELi4ELi2ELi8EdEEv20rocsparse_direction_iiiiii21rocsparse_index_base_PKT3_PKiS7_S2_PS3_PiS9_.num_vgpr, 34
	.set _ZN9rocsparseL44csr2gebsr_wavefront_per_row_multipass_kernelILi256ELi4ELi2ELi8EdEEv20rocsparse_direction_iiiiii21rocsparse_index_base_PKT3_PKiS7_S2_PS3_PiS9_.num_agpr, 0
	.set _ZN9rocsparseL44csr2gebsr_wavefront_per_row_multipass_kernelILi256ELi4ELi2ELi8EdEEv20rocsparse_direction_iiiiii21rocsparse_index_base_PKT3_PKiS7_S2_PS3_PiS9_.numbered_sgpr, 23
	.set _ZN9rocsparseL44csr2gebsr_wavefront_per_row_multipass_kernelILi256ELi4ELi2ELi8EdEEv20rocsparse_direction_iiiiii21rocsparse_index_base_PKT3_PKiS7_S2_PS3_PiS9_.num_named_barrier, 0
	.set _ZN9rocsparseL44csr2gebsr_wavefront_per_row_multipass_kernelILi256ELi4ELi2ELi8EdEEv20rocsparse_direction_iiiiii21rocsparse_index_base_PKT3_PKiS7_S2_PS3_PiS9_.private_seg_size, 0
	.set _ZN9rocsparseL44csr2gebsr_wavefront_per_row_multipass_kernelILi256ELi4ELi2ELi8EdEEv20rocsparse_direction_iiiiii21rocsparse_index_base_PKT3_PKiS7_S2_PS3_PiS9_.uses_vcc, 1
	.set _ZN9rocsparseL44csr2gebsr_wavefront_per_row_multipass_kernelILi256ELi4ELi2ELi8EdEEv20rocsparse_direction_iiiiii21rocsparse_index_base_PKT3_PKiS7_S2_PS3_PiS9_.uses_flat_scratch, 0
	.set _ZN9rocsparseL44csr2gebsr_wavefront_per_row_multipass_kernelILi256ELi4ELi2ELi8EdEEv20rocsparse_direction_iiiiii21rocsparse_index_base_PKT3_PKiS7_S2_PS3_PiS9_.has_dyn_sized_stack, 0
	.set _ZN9rocsparseL44csr2gebsr_wavefront_per_row_multipass_kernelILi256ELi4ELi2ELi8EdEEv20rocsparse_direction_iiiiii21rocsparse_index_base_PKT3_PKiS7_S2_PS3_PiS9_.has_recursion, 0
	.set _ZN9rocsparseL44csr2gebsr_wavefront_per_row_multipass_kernelILi256ELi4ELi2ELi8EdEEv20rocsparse_direction_iiiiii21rocsparse_index_base_PKT3_PKiS7_S2_PS3_PiS9_.has_indirect_call, 0
	.section	.AMDGPU.csdata,"",@progbits
; Kernel info:
; codeLenInByte = 1348
; TotalNumSgprs: 25
; NumVgprs: 34
; ScratchSize: 0
; MemoryBound: 0
; FloatMode: 240
; IeeeMode: 1
; LDSByteSize: 2080 bytes/workgroup (compile time only)
; SGPRBlocks: 0
; VGPRBlocks: 2
; NumSGPRsForWavesPerEU: 25
; NumVGPRsForWavesPerEU: 34
; NamedBarCnt: 0
; Occupancy: 16
; WaveLimiterHint : 0
; COMPUTE_PGM_RSRC2:SCRATCH_EN: 0
; COMPUTE_PGM_RSRC2:USER_SGPR: 2
; COMPUTE_PGM_RSRC2:TRAP_HANDLER: 0
; COMPUTE_PGM_RSRC2:TGID_X_EN: 1
; COMPUTE_PGM_RSRC2:TGID_Y_EN: 0
; COMPUTE_PGM_RSRC2:TGID_Z_EN: 0
; COMPUTE_PGM_RSRC2:TIDIG_COMP_CNT: 0
	.section	.text._ZN9rocsparseL44csr2gebsr_wavefront_per_row_multipass_kernelILi256ELi4ELi4ELi16EdEEv20rocsparse_direction_iiiiii21rocsparse_index_base_PKT3_PKiS7_S2_PS3_PiS9_,"axG",@progbits,_ZN9rocsparseL44csr2gebsr_wavefront_per_row_multipass_kernelILi256ELi4ELi4ELi16EdEEv20rocsparse_direction_iiiiii21rocsparse_index_base_PKT3_PKiS7_S2_PS3_PiS9_,comdat
	.globl	_ZN9rocsparseL44csr2gebsr_wavefront_per_row_multipass_kernelILi256ELi4ELi4ELi16EdEEv20rocsparse_direction_iiiiii21rocsparse_index_base_PKT3_PKiS7_S2_PS3_PiS9_ ; -- Begin function _ZN9rocsparseL44csr2gebsr_wavefront_per_row_multipass_kernelILi256ELi4ELi4ELi16EdEEv20rocsparse_direction_iiiiii21rocsparse_index_base_PKT3_PKiS7_S2_PS3_PiS9_
	.p2align	8
	.type	_ZN9rocsparseL44csr2gebsr_wavefront_per_row_multipass_kernelILi256ELi4ELi4ELi16EdEEv20rocsparse_direction_iiiiii21rocsparse_index_base_PKT3_PKiS7_S2_PS3_PiS9_,@function
_ZN9rocsparseL44csr2gebsr_wavefront_per_row_multipass_kernelILi256ELi4ELi4ELi16EdEEv20rocsparse_direction_iiiiii21rocsparse_index_base_PKT3_PKiS7_S2_PS3_PiS9_: ; @_ZN9rocsparseL44csr2gebsr_wavefront_per_row_multipass_kernelILi256ELi4ELi4ELi16EdEEv20rocsparse_direction_iiiiii21rocsparse_index_base_PKT3_PKiS7_S2_PS3_PiS9_
; %bb.0:
	s_clause 0x1
	s_load_b128 s[4:7], s[0:1], 0xc
	s_load_b64 s[12:13], s[0:1], 0x0
	s_bfe_u32 s2, ttmp6, 0x4000c
	s_and_b32 s3, ttmp6, 15
	s_add_co_i32 s2, s2, 1
	s_getreg_b32 s8, hwreg(HW_REG_IB_STS2, 6, 4)
	s_mul_i32 s2, ttmp9, s2
	v_dual_lshrrev_b32 v18, 4, v0 :: v_dual_mov_b32 v2, 0
	s_add_co_i32 s3, s3, s2
	s_cmp_eq_u32 s8, 0
	v_bfe_u32 v1, v0, 2, 2
	s_cselect_b32 s2, ttmp9, s3
	s_clause 0x1
	s_load_b32 s16, s[0:1], 0x1c
	s_load_b64 s[8:9], s[0:1], 0x28
	v_lshl_or_b32 v3, s2, 4, v18
	v_mov_b32_e32 v6, 0
	s_wait_kmcnt 0x0
	s_delay_alu instid0(VALU_DEP_2) | instskip(SKIP_1) | instid1(VALU_DEP_2)
	v_mad_u32 v4, v3, s6, v1
	v_cmp_gt_i32_e32 vcc_lo, s6, v1
	v_cmp_gt_i32_e64 s2, s13, v4
	s_and_b32 s2, vcc_lo, s2
	s_delay_alu instid0(SALU_CYCLE_1)
	s_and_saveexec_b32 s3, s2
	s_cbranch_execz .LBB81_2
; %bb.1:
	global_load_b32 v5, v4, s[8:9] scale_offset
	s_wait_loadcnt 0x0
	v_subrev_nc_u32_e32 v6, s16, v5
.LBB81_2:
	s_or_b32 exec_lo, exec_lo, s3
	v_mov_b32_e32 v19, 0
	s_and_saveexec_b32 s3, s2
	s_cbranch_execz .LBB81_4
; %bb.3:
	global_load_b32 v4, v4, s[8:9] offset:4 scale_offset
	s_wait_loadcnt 0x0
	v_subrev_nc_u32_e32 v19, s16, v4
.LBB81_4:
	s_or_b32 exec_lo, exec_lo, s3
	s_load_b32 s17, s[0:1], 0x38
	s_mov_b32 s3, exec_lo
	v_cmpx_gt_i32_e64 s4, v3
	s_cbranch_execz .LBB81_6
; %bb.5:
	s_load_b64 s[8:9], s[0:1], 0x48
	s_wait_kmcnt 0x0
	global_load_b32 v2, v3, s[8:9] scale_offset
	s_wait_loadcnt 0x0
	v_subrev_nc_u32_e32 v2, s17, v2
.LBB81_6:
	s_or_b32 exec_lo, exec_lo, s3
	s_cmp_lt_i32 s5, 1
	s_cbranch_scc1 .LBB81_24
; %bb.7:
	v_mbcnt_lo_u32_b32 v3, -1, 0
	v_lshlrev_b32_e32 v5, 5, v1
	v_and_b32_e32 v4, 0xf0, v0
	s_clause 0x3
	s_load_b64 s[2:3], s[0:1], 0x50
	s_load_b64 s[14:15], s[0:1], 0x40
	;; [unrolled: 1-line block ×4, first 2 shown]
	v_mul_lo_u32 v12, s7, v1
	v_xor_b32_e32 v7, 2, v3
	v_xor_b32_e32 v8, 1, v3
	v_lshl_or_b32 v20, v4, 3, v5
	s_mov_b32 s13, 0
	v_mov_b32_e32 v28, 1
	s_wait_xcnt 0x0
	v_cmp_gt_i32_e64 s0, 32, v7
	s_delay_alu instid0(VALU_DEP_1) | instskip(SKIP_2) | instid1(VALU_DEP_2)
	v_dual_cndmask_b32 v4, v3, v7, s0 :: v_dual_bitop2_b32 v0, 3, v0 bitop3:0x40
	v_lshlrev_b32_e32 v7, 2, v3
	v_cmp_gt_i32_e64 s0, 32, v8
	v_dual_lshlrev_b32 v10, 3, v0 :: v_dual_bitop2_b32 v23, 12, v7 bitop3:0x54
	s_delay_alu instid0(VALU_DEP_2) | instskip(SKIP_3) | instid1(VALU_DEP_4)
	v_cndmask_b32_e64 v5, v3, v8, s0
	v_cmp_gt_u32_e64 s0, s7, v0
	v_lshlrev_b32_e32 v21, 2, v4
	v_mul_lo_u32 v4, s6, v0
	v_dual_lshlrev_b32 v22, 2, v5 :: v_dual_bitop2_b32 v27, 60, v7 bitop3:0x54
	s_and_b32 s4, vcc_lo, s0
	s_cmp_lg_u32 s12, 0
	v_mov_b32_e32 v5, 0
	s_cselect_b32 s18, -1, 0
	s_abs_i32 s19, s7
	v_or_b32_e32 v24, v20, v10
	s_cvt_f32_u32 s0, s19
	s_mov_b32 s12, s6
	s_wait_kmcnt 0x0
	v_lshl_add_u64 v[8:9], v[4:5], 3, s[14:15]
	v_lshlrev_b32_e32 v4, 3, v1
	v_rcp_iflag_f32_e32 v11, s0
	v_dual_ashrrev_i32 v13, 31, v12 :: v_dual_mov_b32 v1, v5
	s_ashr_i32 s1, s7, 31
	s_delay_alu instid0(VALU_DEP_2) | instskip(SKIP_1) | instid1(VALU_DEP_3)
	v_add_nc_u64_e32 v[8:9], v[8:9], v[4:5]
	v_xor_b32_e32 v4, 8, v3
	v_lshl_add_u64 v[12:13], v[12:13], 3, s[14:15]
	s_delay_alu instid0(TRANS32_DEP_1)
	v_readfirstlane_b32 s6, v11
	v_mov_b32_e32 v11, v5
	s_sub_co_i32 s14, 0, s19
	v_cmp_gt_i32_e32 vcc_lo, 32, v4
	v_xor_b32_e32 v14, 4, v3
	s_mul_f32 s6, s6, 0x4f7ffffe
	v_add_nc_u64_e32 v[10:11], v[12:13], v[10:11]
	v_mov_b64_e32 v[12:13], 0
	v_cndmask_b32_e32 v4, v3, v4, vcc_lo
	v_cmp_gt_i32_e32 vcc_lo, 32, v14
	s_cvt_u32_f32 s6, s6
	s_mov_b32 s0, s7
	s_delay_alu instid0(VALU_DEP_2) | instskip(NEXT) | instid1(SALU_CYCLE_1)
	v_dual_lshlrev_b32 v25, 2, v4 :: v_dual_cndmask_b32 v3, v3, v14, vcc_lo
	s_mul_i32 s14, s14, s6
	s_delay_alu instid0(SALU_CYCLE_1) | instskip(SKIP_1) | instid1(VALU_DEP_1)
	s_mul_hi_u32 s20, s6, s14
	s_mul_u64 s[14:15], s[0:1], s[12:13]
	v_dual_mov_b32 v3, 0 :: v_dual_lshlrev_b32 v26, 2, v3
	s_add_co_i32 s12, s6, s20
	s_mov_b32 s6, s13
	s_branch .LBB81_10
.LBB81_8:                               ;   in Loop: Header=BB81_10 Depth=1
	s_wait_xcnt 0x0
	s_or_b32 exec_lo, exec_lo, s20
	v_mov_b32_e32 v4, 1
.LBB81_9:                               ;   in Loop: Header=BB81_10 Depth=1
	s_or_b32 exec_lo, exec_lo, s0
	ds_bpermute_b32 v3, v25, v29
	s_wait_storecnt_dscnt 0x0
	v_dual_add_nc_u32 v2, v4, v2 :: v_dual_min_i32 v3, v3, v29
	ds_bpermute_b32 v7, v26, v3
	s_wait_dscnt 0x0
	v_min_i32_e32 v3, v7, v3
	ds_bpermute_b32 v7, v21, v3
	s_wait_dscnt 0x0
	v_min_i32_e32 v3, v7, v3
	;; [unrolled: 3-line block ×3, first 2 shown]
	ds_bpermute_b32 v3, v27, v3
	s_wait_dscnt 0x0
	v_cmp_le_i32_e32 vcc_lo, s5, v3
	s_or_b32 s6, vcc_lo, s6
	s_delay_alu instid0(SALU_CYCLE_1)
	s_and_not1_b32 exec_lo, exec_lo, s6
	s_cbranch_execz .LBB81_24
.LBB81_10:                              ; =>This Loop Header: Depth=1
                                        ;     Child Loop BB81_13 Depth 2
	v_dual_mov_b32 v29, s5 :: v_dual_add_nc_u32 v16, v6, v0
	v_mov_b32_e32 v30, v19
	s_mov_b32 s20, exec_lo
	ds_store_b8 v18, v5 offset:2048
	ds_store_b64 v24, v[12:13]
	s_wait_dscnt 0x0
	v_cmpx_lt_i32_e64 v16, v19
	s_cbranch_execz .LBB81_18
; %bb.11:                               ;   in Loop: Header=BB81_10 Depth=1
	v_dual_ashrrev_i32 v7, 31, v6 :: v_dual_mov_b32 v29, s5
	v_mul_lo_u32 v17, v3, s7
	v_mov_b32_e32 v30, v19
	s_mov_b32 s21, 0
	s_delay_alu instid0(VALU_DEP_3) | instskip(NEXT) | instid1(VALU_DEP_1)
	v_add_nc_u64_e32 v[14:15], v[0:1], v[6:7]
	v_lshl_add_u64 v[6:7], v[14:15], 2, s[10:11]
	v_lshl_add_u64 v[14:15], v[14:15], 3, s[8:9]
	s_branch .LBB81_13
.LBB81_12:                              ;   in Loop: Header=BB81_13 Depth=2
	s_wait_xcnt 0x0
	s_or_b32 exec_lo, exec_lo, s0
	v_add_nc_u32_e32 v16, 4, v16
	s_xor_b32 s22, vcc_lo, -1
	v_add_nc_u64_e32 v[6:7], 16, v[6:7]
	v_add_nc_u64_e32 v[14:15], 32, v[14:15]
	s_delay_alu instid0(VALU_DEP_3) | instskip(SKIP_1) | instid1(SALU_CYCLE_1)
	v_cmp_ge_i32_e64 s0, v16, v19
	s_or_b32 s0, s22, s0
	s_and_b32 s0, exec_lo, s0
	s_delay_alu instid0(SALU_CYCLE_1) | instskip(NEXT) | instid1(SALU_CYCLE_1)
	s_or_b32 s21, s0, s21
	s_and_not1_b32 exec_lo, exec_lo, s21
	s_cbranch_execz .LBB81_17
.LBB81_13:                              ;   Parent Loop BB81_10 Depth=1
                                        ; =>  This Inner Loop Header: Depth=2
	global_load_b32 v4, v[6:7], off
	s_wait_loadcnt 0x0
	v_subrev_nc_u32_e32 v31, s16, v4
	s_delay_alu instid0(VALU_DEP_1) | instskip(NEXT) | instid1(VALU_DEP_1)
	v_sub_nc_u32_e32 v4, 0, v31
	v_max_i32_e32 v4, v31, v4
	s_delay_alu instid0(VALU_DEP_1) | instskip(NEXT) | instid1(VALU_DEP_1)
	v_mul_u64_e32 v[32:33], s[12:13], v[4:5]
	v_mul_lo_u32 v32, v33, s19
	s_delay_alu instid0(VALU_DEP_1) | instskip(NEXT) | instid1(VALU_DEP_1)
	v_dual_sub_nc_u32 v4, v4, v32 :: v_dual_add_nc_u32 v32, 1, v33
	v_cmp_le_u32_e32 vcc_lo, s19, v4
	s_delay_alu instid0(VALU_DEP_2) | instskip(SKIP_1) | instid1(VALU_DEP_1)
	v_cndmask_b32_e32 v32, v33, v32, vcc_lo
	v_subrev_nc_u32_e32 v34, s19, v4
	v_dual_cndmask_b32 v4, v4, v34 :: v_dual_ashrrev_i32 v33, 31, v31
	s_delay_alu instid0(VALU_DEP_3) | instskip(NEXT) | instid1(VALU_DEP_2)
	v_add_nc_u32_e32 v34, 1, v32
	v_cmp_le_u32_e32 vcc_lo, s19, v4
	s_delay_alu instid0(VALU_DEP_2) | instskip(NEXT) | instid1(VALU_DEP_1)
	v_dual_cndmask_b32 v4, v32, v34, vcc_lo :: v_dual_bitop2_b32 v33, s1, v33 bitop3:0x14
	v_xor_b32_e32 v4, v4, v33
	s_delay_alu instid0(VALU_DEP_1) | instskip(NEXT) | instid1(VALU_DEP_1)
	v_dual_sub_nc_u32 v32, v4, v33 :: v_dual_mov_b32 v4, v30
	v_cmp_ne_u32_e64 s0, v32, v3
	v_cmp_eq_u32_e32 vcc_lo, v32, v3
	s_wait_xcnt 0x0
	s_and_saveexec_b32 s22, s0
	s_delay_alu instid0(SALU_CYCLE_1)
	s_xor_b32 s0, exec_lo, s22
; %bb.14:                               ;   in Loop: Header=BB81_13 Depth=2
	v_min_i32_e32 v29, v32, v29
                                        ; implicit-def: $vgpr31
                                        ; implicit-def: $vgpr4
; %bb.15:                               ;   in Loop: Header=BB81_13 Depth=2
	s_or_saveexec_b32 s0, s0
	v_mov_b32_e32 v30, v16
	s_xor_b32 exec_lo, exec_lo, s0
	s_cbranch_execz .LBB81_12
; %bb.16:                               ;   in Loop: Header=BB81_13 Depth=2
	global_load_b64 v[32:33], v[14:15], off
	v_sub_nc_u32_e32 v30, v31, v17
	s_delay_alu instid0(VALU_DEP_1)
	v_lshl_add_u32 v31, v30, 3, v20
	v_mov_b32_e32 v30, v4
	ds_store_b8 v18, v28 offset:2048
	s_wait_loadcnt 0x0
	ds_store_b64 v31, v[32:33]
	s_branch .LBB81_12
.LBB81_17:                              ;   in Loop: Header=BB81_10 Depth=1
	s_or_b32 exec_lo, exec_lo, s21
.LBB81_18:                              ;   in Loop: Header=BB81_10 Depth=1
	s_delay_alu instid0(SALU_CYCLE_1)
	s_or_b32 exec_lo, exec_lo, s20
	ds_bpermute_b32 v4, v21, v30
	s_wait_dscnt 0x0
	ds_load_u8 v7, v18 offset:2048
	v_min_i32_e32 v4, v4, v30
	ds_bpermute_b32 v6, v22, v4
	s_wait_dscnt 0x0
	v_min_i32_e32 v4, v6, v4
	ds_bpermute_b32 v6, v23, v4
	v_and_b32_e32 v4, 1, v7
	s_delay_alu instid0(VALU_DEP_1)
	v_cmp_eq_u32_e32 vcc_lo, 1, v4
	v_mov_b32_e32 v4, 0
	s_and_saveexec_b32 s0, vcc_lo
	s_cbranch_execz .LBB81_9
; %bb.19:                               ;   in Loop: Header=BB81_10 Depth=1
	v_add_nc_u32_e32 v3, s17, v3
	global_store_b32 v2, v3, s[2:3] scale_offset
	s_wait_xcnt 0x0
	s_and_saveexec_b32 s20, s4
	s_cbranch_execz .LBB81_8
; %bb.20:                               ;   in Loop: Header=BB81_10 Depth=1
	v_ashrrev_i32_e32 v3, 31, v2
	ds_load_b64 v[16:17], v24
	s_and_b32 vcc_lo, exec_lo, s18
	v_mul_u64_e32 v[14:15], s[14:15], v[2:3]
	s_cbranch_vccz .LBB81_22
; %bb.21:                               ;   in Loop: Header=BB81_10 Depth=1
	s_delay_alu instid0(VALU_DEP_1)
	v_lshl_add_u64 v[30:31], v[14:15], 3, v[8:9]
	s_wait_dscnt 0x0
	global_store_b64 v[30:31], v[16:17], off
	s_cbranch_execnz .LBB81_8
	s_branch .LBB81_23
.LBB81_22:                              ;   in Loop: Header=BB81_10 Depth=1
.LBB81_23:                              ;   in Loop: Header=BB81_10 Depth=1
	s_delay_alu instid0(VALU_DEP_1)
	v_lshl_add_u64 v[14:15], v[14:15], 3, v[10:11]
	s_wait_dscnt 0x0
	global_store_b64 v[14:15], v[16:17], off
	s_branch .LBB81_8
.LBB81_24:
	s_endpgm
	.section	.rodata,"a",@progbits
	.p2align	6, 0x0
	.amdhsa_kernel _ZN9rocsparseL44csr2gebsr_wavefront_per_row_multipass_kernelILi256ELi4ELi4ELi16EdEEv20rocsparse_direction_iiiiii21rocsparse_index_base_PKT3_PKiS7_S2_PS3_PiS9_
		.amdhsa_group_segment_fixed_size 2064
		.amdhsa_private_segment_fixed_size 0
		.amdhsa_kernarg_size 88
		.amdhsa_user_sgpr_count 2
		.amdhsa_user_sgpr_dispatch_ptr 0
		.amdhsa_user_sgpr_queue_ptr 0
		.amdhsa_user_sgpr_kernarg_segment_ptr 1
		.amdhsa_user_sgpr_dispatch_id 0
		.amdhsa_user_sgpr_kernarg_preload_length 0
		.amdhsa_user_sgpr_kernarg_preload_offset 0
		.amdhsa_user_sgpr_private_segment_size 0
		.amdhsa_wavefront_size32 1
		.amdhsa_uses_dynamic_stack 0
		.amdhsa_enable_private_segment 0
		.amdhsa_system_sgpr_workgroup_id_x 1
		.amdhsa_system_sgpr_workgroup_id_y 0
		.amdhsa_system_sgpr_workgroup_id_z 0
		.amdhsa_system_sgpr_workgroup_info 0
		.amdhsa_system_vgpr_workitem_id 0
		.amdhsa_next_free_vgpr 35
		.amdhsa_next_free_sgpr 23
		.amdhsa_named_barrier_count 0
		.amdhsa_reserve_vcc 1
		.amdhsa_float_round_mode_32 0
		.amdhsa_float_round_mode_16_64 0
		.amdhsa_float_denorm_mode_32 3
		.amdhsa_float_denorm_mode_16_64 3
		.amdhsa_fp16_overflow 0
		.amdhsa_memory_ordered 1
		.amdhsa_forward_progress 1
		.amdhsa_inst_pref_size 11
		.amdhsa_round_robin_scheduling 0
		.amdhsa_exception_fp_ieee_invalid_op 0
		.amdhsa_exception_fp_denorm_src 0
		.amdhsa_exception_fp_ieee_div_zero 0
		.amdhsa_exception_fp_ieee_overflow 0
		.amdhsa_exception_fp_ieee_underflow 0
		.amdhsa_exception_fp_ieee_inexact 0
		.amdhsa_exception_int_div_zero 0
	.end_amdhsa_kernel
	.section	.text._ZN9rocsparseL44csr2gebsr_wavefront_per_row_multipass_kernelILi256ELi4ELi4ELi16EdEEv20rocsparse_direction_iiiiii21rocsparse_index_base_PKT3_PKiS7_S2_PS3_PiS9_,"axG",@progbits,_ZN9rocsparseL44csr2gebsr_wavefront_per_row_multipass_kernelILi256ELi4ELi4ELi16EdEEv20rocsparse_direction_iiiiii21rocsparse_index_base_PKT3_PKiS7_S2_PS3_PiS9_,comdat
.Lfunc_end81:
	.size	_ZN9rocsparseL44csr2gebsr_wavefront_per_row_multipass_kernelILi256ELi4ELi4ELi16EdEEv20rocsparse_direction_iiiiii21rocsparse_index_base_PKT3_PKiS7_S2_PS3_PiS9_, .Lfunc_end81-_ZN9rocsparseL44csr2gebsr_wavefront_per_row_multipass_kernelILi256ELi4ELi4ELi16EdEEv20rocsparse_direction_iiiiii21rocsparse_index_base_PKT3_PKiS7_S2_PS3_PiS9_
                                        ; -- End function
	.set _ZN9rocsparseL44csr2gebsr_wavefront_per_row_multipass_kernelILi256ELi4ELi4ELi16EdEEv20rocsparse_direction_iiiiii21rocsparse_index_base_PKT3_PKiS7_S2_PS3_PiS9_.num_vgpr, 35
	.set _ZN9rocsparseL44csr2gebsr_wavefront_per_row_multipass_kernelILi256ELi4ELi4ELi16EdEEv20rocsparse_direction_iiiiii21rocsparse_index_base_PKT3_PKiS7_S2_PS3_PiS9_.num_agpr, 0
	.set _ZN9rocsparseL44csr2gebsr_wavefront_per_row_multipass_kernelILi256ELi4ELi4ELi16EdEEv20rocsparse_direction_iiiiii21rocsparse_index_base_PKT3_PKiS7_S2_PS3_PiS9_.numbered_sgpr, 23
	.set _ZN9rocsparseL44csr2gebsr_wavefront_per_row_multipass_kernelILi256ELi4ELi4ELi16EdEEv20rocsparse_direction_iiiiii21rocsparse_index_base_PKT3_PKiS7_S2_PS3_PiS9_.num_named_barrier, 0
	.set _ZN9rocsparseL44csr2gebsr_wavefront_per_row_multipass_kernelILi256ELi4ELi4ELi16EdEEv20rocsparse_direction_iiiiii21rocsparse_index_base_PKT3_PKiS7_S2_PS3_PiS9_.private_seg_size, 0
	.set _ZN9rocsparseL44csr2gebsr_wavefront_per_row_multipass_kernelILi256ELi4ELi4ELi16EdEEv20rocsparse_direction_iiiiii21rocsparse_index_base_PKT3_PKiS7_S2_PS3_PiS9_.uses_vcc, 1
	.set _ZN9rocsparseL44csr2gebsr_wavefront_per_row_multipass_kernelILi256ELi4ELi4ELi16EdEEv20rocsparse_direction_iiiiii21rocsparse_index_base_PKT3_PKiS7_S2_PS3_PiS9_.uses_flat_scratch, 0
	.set _ZN9rocsparseL44csr2gebsr_wavefront_per_row_multipass_kernelILi256ELi4ELi4ELi16EdEEv20rocsparse_direction_iiiiii21rocsparse_index_base_PKT3_PKiS7_S2_PS3_PiS9_.has_dyn_sized_stack, 0
	.set _ZN9rocsparseL44csr2gebsr_wavefront_per_row_multipass_kernelILi256ELi4ELi4ELi16EdEEv20rocsparse_direction_iiiiii21rocsparse_index_base_PKT3_PKiS7_S2_PS3_PiS9_.has_recursion, 0
	.set _ZN9rocsparseL44csr2gebsr_wavefront_per_row_multipass_kernelILi256ELi4ELi4ELi16EdEEv20rocsparse_direction_iiiiii21rocsparse_index_base_PKT3_PKiS7_S2_PS3_PiS9_.has_indirect_call, 0
	.section	.AMDGPU.csdata,"",@progbits
; Kernel info:
; codeLenInByte = 1392
; TotalNumSgprs: 25
; NumVgprs: 35
; ScratchSize: 0
; MemoryBound: 0
; FloatMode: 240
; IeeeMode: 1
; LDSByteSize: 2064 bytes/workgroup (compile time only)
; SGPRBlocks: 0
; VGPRBlocks: 2
; NumSGPRsForWavesPerEU: 25
; NumVGPRsForWavesPerEU: 35
; NamedBarCnt: 0
; Occupancy: 16
; WaveLimiterHint : 0
; COMPUTE_PGM_RSRC2:SCRATCH_EN: 0
; COMPUTE_PGM_RSRC2:USER_SGPR: 2
; COMPUTE_PGM_RSRC2:TRAP_HANDLER: 0
; COMPUTE_PGM_RSRC2:TGID_X_EN: 1
; COMPUTE_PGM_RSRC2:TGID_Y_EN: 0
; COMPUTE_PGM_RSRC2:TGID_Z_EN: 0
; COMPUTE_PGM_RSRC2:TIDIG_COMP_CNT: 0
	.section	.text._ZN9rocsparseL44csr2gebsr_wavefront_per_row_multipass_kernelILi256ELi4ELi8ELi32EdEEv20rocsparse_direction_iiiiii21rocsparse_index_base_PKT3_PKiS7_S2_PS3_PiS9_,"axG",@progbits,_ZN9rocsparseL44csr2gebsr_wavefront_per_row_multipass_kernelILi256ELi4ELi8ELi32EdEEv20rocsparse_direction_iiiiii21rocsparse_index_base_PKT3_PKiS7_S2_PS3_PiS9_,comdat
	.globl	_ZN9rocsparseL44csr2gebsr_wavefront_per_row_multipass_kernelILi256ELi4ELi8ELi32EdEEv20rocsparse_direction_iiiiii21rocsparse_index_base_PKT3_PKiS7_S2_PS3_PiS9_ ; -- Begin function _ZN9rocsparseL44csr2gebsr_wavefront_per_row_multipass_kernelILi256ELi4ELi8ELi32EdEEv20rocsparse_direction_iiiiii21rocsparse_index_base_PKT3_PKiS7_S2_PS3_PiS9_
	.p2align	8
	.type	_ZN9rocsparseL44csr2gebsr_wavefront_per_row_multipass_kernelILi256ELi4ELi8ELi32EdEEv20rocsparse_direction_iiiiii21rocsparse_index_base_PKT3_PKiS7_S2_PS3_PiS9_,@function
_ZN9rocsparseL44csr2gebsr_wavefront_per_row_multipass_kernelILi256ELi4ELi8ELi32EdEEv20rocsparse_direction_iiiiii21rocsparse_index_base_PKT3_PKiS7_S2_PS3_PiS9_: ; @_ZN9rocsparseL44csr2gebsr_wavefront_per_row_multipass_kernelILi256ELi4ELi8ELi32EdEEv20rocsparse_direction_iiiiii21rocsparse_index_base_PKT3_PKiS7_S2_PS3_PiS9_
; %bb.0:
	s_clause 0x1
	s_load_b128 s[4:7], s[0:1], 0xc
	s_load_b64 s[12:13], s[0:1], 0x0
	s_bfe_u32 s2, ttmp6, 0x4000c
	s_and_b32 s3, ttmp6, 15
	s_add_co_i32 s2, s2, 1
	s_getreg_b32 s8, hwreg(HW_REG_IB_STS2, 6, 4)
	s_mul_i32 s2, ttmp9, s2
	v_dual_lshrrev_b32 v18, 5, v0 :: v_dual_mov_b32 v2, 0
	s_add_co_i32 s3, s3, s2
	s_cmp_eq_u32 s8, 0
	v_bfe_u32 v1, v0, 3, 2
	s_cselect_b32 s2, ttmp9, s3
	s_clause 0x1
	s_load_b32 s16, s[0:1], 0x1c
	s_load_b64 s[8:9], s[0:1], 0x28
	v_lshl_or_b32 v3, s2, 3, v18
	v_mov_b32_e32 v6, 0
	s_wait_kmcnt 0x0
	s_delay_alu instid0(VALU_DEP_2) | instskip(SKIP_1) | instid1(VALU_DEP_2)
	v_mad_u32 v4, v3, s6, v1
	v_cmp_gt_i32_e32 vcc_lo, s6, v1
	v_cmp_gt_i32_e64 s2, s13, v4
	s_and_b32 s2, vcc_lo, s2
	s_delay_alu instid0(SALU_CYCLE_1)
	s_and_saveexec_b32 s3, s2
	s_cbranch_execz .LBB82_2
; %bb.1:
	global_load_b32 v5, v4, s[8:9] scale_offset
	s_wait_loadcnt 0x0
	v_subrev_nc_u32_e32 v6, s16, v5
.LBB82_2:
	s_or_b32 exec_lo, exec_lo, s3
	v_mov_b32_e32 v19, 0
	s_and_saveexec_b32 s3, s2
	s_cbranch_execz .LBB82_4
; %bb.3:
	global_load_b32 v4, v4, s[8:9] offset:4 scale_offset
	s_wait_loadcnt 0x0
	v_subrev_nc_u32_e32 v19, s16, v4
.LBB82_4:
	s_or_b32 exec_lo, exec_lo, s3
	s_load_b32 s17, s[0:1], 0x38
	s_mov_b32 s3, exec_lo
	v_cmpx_gt_i32_e64 s4, v3
	s_cbranch_execz .LBB82_6
; %bb.5:
	s_load_b64 s[8:9], s[0:1], 0x48
	s_wait_kmcnt 0x0
	global_load_b32 v2, v3, s[8:9] scale_offset
	s_wait_loadcnt 0x0
	v_subrev_nc_u32_e32 v2, s17, v2
.LBB82_6:
	s_or_b32 exec_lo, exec_lo, s3
	s_cmp_lt_i32 s5, 1
	s_cbranch_scc1 .LBB82_24
; %bb.7:
	v_mbcnt_lo_u32_b32 v7, -1, 0
	v_lshlrev_b32_e32 v4, 6, v1
	v_and_b32_e32 v3, 0xe0, v0
	s_clause 0x3
	s_load_b64 s[2:3], s[0:1], 0x50
	s_load_b64 s[14:15], s[0:1], 0x40
	;; [unrolled: 1-line block ×4, first 2 shown]
	v_mul_lo_u32 v12, s7, v1
	v_xor_b32_e32 v5, 4, v7
	v_lshl_or_b32 v24, v7, 2, 28
	v_lshl_or_b32 v20, v3, 3, v4
	v_dual_mov_b32 v28, 0x7c :: v_dual_mov_b32 v29, 1
	s_wait_xcnt 0x0
	v_cmp_gt_i32_e64 s0, 32, v5
	v_and_b32_e32 v0, 7, v0
	s_mov_b32 s13, 0
	v_dual_cndmask_b32 v4, v7, v5, s0 :: v_dual_bitop2_b32 v8, 2, v7 bitop3:0x14
	s_delay_alu instid0(VALU_DEP_2) | instskip(SKIP_1) | instid1(VALU_DEP_3)
	v_lshlrev_b32_e32 v10, 3, v0
	v_ashrrev_i32_e32 v13, 31, v12
	v_lshlrev_b32_e32 v21, 2, v4
	s_delay_alu instid0(VALU_DEP_4)
	v_cmp_gt_i32_e64 s0, 32, v8
	v_xor_b32_e32 v3, 1, v7
	v_mul_lo_u32 v4, s6, v0
	v_or_b32_e32 v25, v20, v10
	s_wait_kmcnt 0x0
	v_lshl_add_u64 v[12:13], v[12:13], 3, s[14:15]
	v_cndmask_b32_e64 v5, v7, v8, s0
	v_cmp_gt_i32_e64 s0, 32, v3
	s_delay_alu instid0(VALU_DEP_1) | instskip(SKIP_1) | instid1(VALU_DEP_2)
	v_dual_lshlrev_b32 v22, 2, v5 :: v_dual_cndmask_b32 v3, v7, v3, s0
	v_cmp_gt_u32_e64 s0, s7, v0
	v_dual_mov_b32 v5, 0 :: v_dual_lshlrev_b32 v23, 2, v3
	s_and_b32 s4, vcc_lo, s0
	s_cmp_lg_u32 s12, 0
	s_delay_alu instid0(VALU_DEP_1)
	v_lshl_add_u64 v[8:9], v[4:5], 3, s[14:15]
	s_cselect_b32 s18, -1, 0
	s_abs_i32 s19, s7
	v_lshlrev_b32_e32 v4, 3, v1
	s_cvt_f32_u32 s0, s19
	v_mov_b32_e32 v1, v5
	s_mov_b32 s12, s6
	s_sub_co_i32 s14, 0, s19
	v_rcp_iflag_f32_e32 v3, s0
	v_add_nc_u64_e32 v[8:9], v[8:9], v[4:5]
	v_dual_mov_b32 v11, v5 :: v_dual_bitop2_b32 v4, 16, v7 bitop3:0x14
	s_ashr_i32 s1, s7, 31
	s_mov_b32 s0, s7
	s_delay_alu instid0(TRANS32_DEP_1)
	v_readfirstlane_b32 s6, v3
	v_xor_b32_e32 v3, 8, v7
	v_cmp_gt_i32_e32 vcc_lo, 32, v4
	v_add_nc_u64_e32 v[10:11], v[12:13], v[10:11]
	v_mov_b64_e32 v[12:13], 0
	s_mul_f32 s6, s6, 0x4f7ffffe
	v_cndmask_b32_e32 v4, v7, v4, vcc_lo
	v_cmp_gt_i32_e32 vcc_lo, 32, v3
	s_delay_alu instid0(SALU_CYCLE_1) | instskip(SKIP_1) | instid1(SALU_CYCLE_2)
	s_cvt_u32_f32 s6, s6
	v_cndmask_b32_e32 v3, v7, v3, vcc_lo
	s_mul_i32 s14, s14, s6
	v_lshlrev_b32_e32 v26, 2, v4
	s_mul_hi_u32 s20, s6, s14
	s_mul_u64 s[14:15], s[0:1], s[12:13]
	v_dual_lshlrev_b32 v27, 2, v3 :: v_dual_mov_b32 v3, 0
	s_add_co_i32 s12, s6, s20
	s_mov_b32 s6, s13
	s_branch .LBB82_10
.LBB82_8:                               ;   in Loop: Header=BB82_10 Depth=1
	s_wait_xcnt 0x0
	s_or_b32 exec_lo, exec_lo, s20
	v_mov_b32_e32 v4, 1
.LBB82_9:                               ;   in Loop: Header=BB82_10 Depth=1
	s_or_b32 exec_lo, exec_lo, s0
	ds_bpermute_b32 v3, v26, v30
	s_wait_storecnt_dscnt 0x0
	v_add_nc_u32_e32 v2, v4, v2
	v_min_i32_e32 v3, v3, v30
	ds_bpermute_b32 v7, v27, v3
	s_wait_dscnt 0x0
	v_min_i32_e32 v3, v7, v3
	ds_bpermute_b32 v7, v21, v3
	s_wait_dscnt 0x0
	;; [unrolled: 3-line block ×5, first 2 shown]
	v_cmp_le_i32_e32 vcc_lo, s5, v3
	s_or_b32 s6, vcc_lo, s6
	s_delay_alu instid0(SALU_CYCLE_1)
	s_and_not1_b32 exec_lo, exec_lo, s6
	s_cbranch_execz .LBB82_24
.LBB82_10:                              ; =>This Loop Header: Depth=1
                                        ;     Child Loop BB82_13 Depth 2
	v_dual_add_nc_u32 v16, v6, v0 :: v_dual_mov_b32 v30, s5
	v_mov_b32_e32 v31, v19
	s_mov_b32 s20, exec_lo
	ds_store_b8 v18, v5 offset:2048
	ds_store_b64 v25, v[12:13]
	s_wait_dscnt 0x0
	v_cmpx_lt_i32_e64 v16, v19
	s_cbranch_execz .LBB82_18
; %bb.11:                               ;   in Loop: Header=BB82_10 Depth=1
	v_dual_mov_b32 v30, s5 :: v_dual_ashrrev_i32 v7, 31, v6
	v_mul_lo_u32 v17, v3, s7
	v_mov_b32_e32 v31, v19
	s_mov_b32 s21, 0
	s_delay_alu instid0(VALU_DEP_3) | instskip(NEXT) | instid1(VALU_DEP_1)
	v_add_nc_u64_e32 v[14:15], v[0:1], v[6:7]
	v_lshl_add_u64 v[6:7], v[14:15], 2, s[10:11]
	v_lshl_add_u64 v[14:15], v[14:15], 3, s[8:9]
	s_branch .LBB82_13
.LBB82_12:                              ;   in Loop: Header=BB82_13 Depth=2
	s_wait_xcnt 0x0
	s_or_b32 exec_lo, exec_lo, s0
	v_add_nc_u32_e32 v16, 8, v16
	s_xor_b32 s22, vcc_lo, -1
	v_add_nc_u64_e32 v[6:7], 32, v[6:7]
	v_add_nc_u64_e32 v[14:15], 64, v[14:15]
	s_delay_alu instid0(VALU_DEP_3) | instskip(SKIP_1) | instid1(SALU_CYCLE_1)
	v_cmp_ge_i32_e64 s0, v16, v19
	s_or_b32 s0, s22, s0
	s_and_b32 s0, exec_lo, s0
	s_delay_alu instid0(SALU_CYCLE_1) | instskip(NEXT) | instid1(SALU_CYCLE_1)
	s_or_b32 s21, s0, s21
	s_and_not1_b32 exec_lo, exec_lo, s21
	s_cbranch_execz .LBB82_17
.LBB82_13:                              ;   Parent Loop BB82_10 Depth=1
                                        ; =>  This Inner Loop Header: Depth=2
	global_load_b32 v4, v[6:7], off
	s_wait_loadcnt 0x0
	v_subrev_nc_u32_e32 v32, s16, v4
	s_delay_alu instid0(VALU_DEP_1) | instskip(NEXT) | instid1(VALU_DEP_1)
	v_sub_nc_u32_e32 v4, 0, v32
	v_max_i32_e32 v4, v32, v4
	s_delay_alu instid0(VALU_DEP_1) | instskip(NEXT) | instid1(VALU_DEP_1)
	v_mul_u64_e32 v[34:35], s[12:13], v[4:5]
	v_mul_lo_u32 v33, v35, s19
	s_delay_alu instid0(VALU_DEP_1) | instskip(NEXT) | instid1(VALU_DEP_1)
	v_dual_sub_nc_u32 v4, v4, v33 :: v_dual_add_nc_u32 v33, 1, v35
	v_cmp_le_u32_e32 vcc_lo, s19, v4
	s_delay_alu instid0(VALU_DEP_2) | instskip(SKIP_1) | instid1(VALU_DEP_1)
	v_dual_cndmask_b32 v33, v35, v33, vcc_lo :: v_dual_ashrrev_i32 v35, 31, v32
	v_subrev_nc_u32_e32 v34, s19, v4
	v_dual_cndmask_b32 v4, v4, v34, vcc_lo :: v_dual_add_nc_u32 v34, 1, v33
	s_delay_alu instid0(VALU_DEP_1) | instskip(NEXT) | instid1(VALU_DEP_2)
	v_cmp_le_u32_e32 vcc_lo, s19, v4
	v_dual_cndmask_b32 v4, v33, v34, vcc_lo :: v_dual_bitop2_b32 v35, s1, v35 bitop3:0x14
	s_delay_alu instid0(VALU_DEP_1) | instskip(NEXT) | instid1(VALU_DEP_1)
	v_xor_b32_e32 v4, v4, v35
	v_dual_mov_b32 v4, v31 :: v_dual_sub_nc_u32 v33, v4, v35
	s_delay_alu instid0(VALU_DEP_1) | instskip(SKIP_3) | instid1(SALU_CYCLE_1)
	v_cmp_ne_u32_e64 s0, v33, v3
	v_cmp_eq_u32_e32 vcc_lo, v33, v3
	s_wait_xcnt 0x0
	s_and_saveexec_b32 s22, s0
	s_xor_b32 s0, exec_lo, s22
; %bb.14:                               ;   in Loop: Header=BB82_13 Depth=2
	v_min_i32_e32 v30, v33, v30
                                        ; implicit-def: $vgpr32
                                        ; implicit-def: $vgpr4
; %bb.15:                               ;   in Loop: Header=BB82_13 Depth=2
	s_or_saveexec_b32 s0, s0
	v_mov_b32_e32 v31, v16
	s_xor_b32 exec_lo, exec_lo, s0
	s_cbranch_execz .LBB82_12
; %bb.16:                               ;   in Loop: Header=BB82_13 Depth=2
	global_load_b64 v[34:35], v[14:15], off
	v_sub_nc_u32_e32 v31, v32, v17
	s_delay_alu instid0(VALU_DEP_1)
	v_lshl_add_u32 v32, v31, 3, v20
	v_mov_b32_e32 v31, v4
	ds_store_b8 v18, v29 offset:2048
	s_wait_loadcnt 0x0
	ds_store_b64 v32, v[34:35]
	s_branch .LBB82_12
.LBB82_17:                              ;   in Loop: Header=BB82_10 Depth=1
	s_or_b32 exec_lo, exec_lo, s21
.LBB82_18:                              ;   in Loop: Header=BB82_10 Depth=1
	s_delay_alu instid0(SALU_CYCLE_1)
	s_or_b32 exec_lo, exec_lo, s20
	ds_bpermute_b32 v4, v21, v31
	s_wait_dscnt 0x0
	ds_load_u8 v7, v18 offset:2048
	v_min_i32_e32 v4, v4, v31
	ds_bpermute_b32 v6, v22, v4
	s_wait_dscnt 0x0
	v_min_i32_e32 v4, v6, v4
	ds_bpermute_b32 v6, v23, v4
	s_wait_dscnt 0x0
	v_min_i32_e32 v4, v6, v4
	ds_bpermute_b32 v6, v24, v4
	v_and_b32_e32 v4, 1, v7
	s_delay_alu instid0(VALU_DEP_1)
	v_cmp_eq_u32_e32 vcc_lo, 1, v4
	v_mov_b32_e32 v4, 0
	s_and_saveexec_b32 s0, vcc_lo
	s_cbranch_execz .LBB82_9
; %bb.19:                               ;   in Loop: Header=BB82_10 Depth=1
	v_add_nc_u32_e32 v3, s17, v3
	global_store_b32 v2, v3, s[2:3] scale_offset
	s_wait_xcnt 0x0
	s_and_saveexec_b32 s20, s4
	s_cbranch_execz .LBB82_8
; %bb.20:                               ;   in Loop: Header=BB82_10 Depth=1
	v_ashrrev_i32_e32 v3, 31, v2
	ds_load_b64 v[16:17], v25
	s_and_b32 vcc_lo, exec_lo, s18
	v_mul_u64_e32 v[14:15], s[14:15], v[2:3]
	s_cbranch_vccz .LBB82_22
; %bb.21:                               ;   in Loop: Header=BB82_10 Depth=1
	s_delay_alu instid0(VALU_DEP_1)
	v_lshl_add_u64 v[32:33], v[14:15], 3, v[8:9]
	s_wait_dscnt 0x0
	global_store_b64 v[32:33], v[16:17], off
	s_cbranch_execnz .LBB82_8
	s_branch .LBB82_23
.LBB82_22:                              ;   in Loop: Header=BB82_10 Depth=1
.LBB82_23:                              ;   in Loop: Header=BB82_10 Depth=1
	s_delay_alu instid0(VALU_DEP_1)
	v_lshl_add_u64 v[14:15], v[14:15], 3, v[10:11]
	s_wait_dscnt 0x0
	global_store_b64 v[14:15], v[16:17], off
	s_branch .LBB82_8
.LBB82_24:
	s_endpgm
	.section	.rodata,"a",@progbits
	.p2align	6, 0x0
	.amdhsa_kernel _ZN9rocsparseL44csr2gebsr_wavefront_per_row_multipass_kernelILi256ELi4ELi8ELi32EdEEv20rocsparse_direction_iiiiii21rocsparse_index_base_PKT3_PKiS7_S2_PS3_PiS9_
		.amdhsa_group_segment_fixed_size 2056
		.amdhsa_private_segment_fixed_size 0
		.amdhsa_kernarg_size 88
		.amdhsa_user_sgpr_count 2
		.amdhsa_user_sgpr_dispatch_ptr 0
		.amdhsa_user_sgpr_queue_ptr 0
		.amdhsa_user_sgpr_kernarg_segment_ptr 1
		.amdhsa_user_sgpr_dispatch_id 0
		.amdhsa_user_sgpr_kernarg_preload_length 0
		.amdhsa_user_sgpr_kernarg_preload_offset 0
		.amdhsa_user_sgpr_private_segment_size 0
		.amdhsa_wavefront_size32 1
		.amdhsa_uses_dynamic_stack 0
		.amdhsa_enable_private_segment 0
		.amdhsa_system_sgpr_workgroup_id_x 1
		.amdhsa_system_sgpr_workgroup_id_y 0
		.amdhsa_system_sgpr_workgroup_id_z 0
		.amdhsa_system_sgpr_workgroup_info 0
		.amdhsa_system_vgpr_workitem_id 0
		.amdhsa_next_free_vgpr 36
		.amdhsa_next_free_sgpr 23
		.amdhsa_named_barrier_count 0
		.amdhsa_reserve_vcc 1
		.amdhsa_float_round_mode_32 0
		.amdhsa_float_round_mode_16_64 0
		.amdhsa_float_denorm_mode_32 3
		.amdhsa_float_denorm_mode_16_64 3
		.amdhsa_fp16_overflow 0
		.amdhsa_memory_ordered 1
		.amdhsa_forward_progress 1
		.amdhsa_inst_pref_size 12
		.amdhsa_round_robin_scheduling 0
		.amdhsa_exception_fp_ieee_invalid_op 0
		.amdhsa_exception_fp_denorm_src 0
		.amdhsa_exception_fp_ieee_div_zero 0
		.amdhsa_exception_fp_ieee_overflow 0
		.amdhsa_exception_fp_ieee_underflow 0
		.amdhsa_exception_fp_ieee_inexact 0
		.amdhsa_exception_int_div_zero 0
	.end_amdhsa_kernel
	.section	.text._ZN9rocsparseL44csr2gebsr_wavefront_per_row_multipass_kernelILi256ELi4ELi8ELi32EdEEv20rocsparse_direction_iiiiii21rocsparse_index_base_PKT3_PKiS7_S2_PS3_PiS9_,"axG",@progbits,_ZN9rocsparseL44csr2gebsr_wavefront_per_row_multipass_kernelILi256ELi4ELi8ELi32EdEEv20rocsparse_direction_iiiiii21rocsparse_index_base_PKT3_PKiS7_S2_PS3_PiS9_,comdat
.Lfunc_end82:
	.size	_ZN9rocsparseL44csr2gebsr_wavefront_per_row_multipass_kernelILi256ELi4ELi8ELi32EdEEv20rocsparse_direction_iiiiii21rocsparse_index_base_PKT3_PKiS7_S2_PS3_PiS9_, .Lfunc_end82-_ZN9rocsparseL44csr2gebsr_wavefront_per_row_multipass_kernelILi256ELi4ELi8ELi32EdEEv20rocsparse_direction_iiiiii21rocsparse_index_base_PKT3_PKiS7_S2_PS3_PiS9_
                                        ; -- End function
	.set _ZN9rocsparseL44csr2gebsr_wavefront_per_row_multipass_kernelILi256ELi4ELi8ELi32EdEEv20rocsparse_direction_iiiiii21rocsparse_index_base_PKT3_PKiS7_S2_PS3_PiS9_.num_vgpr, 36
	.set _ZN9rocsparseL44csr2gebsr_wavefront_per_row_multipass_kernelILi256ELi4ELi8ELi32EdEEv20rocsparse_direction_iiiiii21rocsparse_index_base_PKT3_PKiS7_S2_PS3_PiS9_.num_agpr, 0
	.set _ZN9rocsparseL44csr2gebsr_wavefront_per_row_multipass_kernelILi256ELi4ELi8ELi32EdEEv20rocsparse_direction_iiiiii21rocsparse_index_base_PKT3_PKiS7_S2_PS3_PiS9_.numbered_sgpr, 23
	.set _ZN9rocsparseL44csr2gebsr_wavefront_per_row_multipass_kernelILi256ELi4ELi8ELi32EdEEv20rocsparse_direction_iiiiii21rocsparse_index_base_PKT3_PKiS7_S2_PS3_PiS9_.num_named_barrier, 0
	.set _ZN9rocsparseL44csr2gebsr_wavefront_per_row_multipass_kernelILi256ELi4ELi8ELi32EdEEv20rocsparse_direction_iiiiii21rocsparse_index_base_PKT3_PKiS7_S2_PS3_PiS9_.private_seg_size, 0
	.set _ZN9rocsparseL44csr2gebsr_wavefront_per_row_multipass_kernelILi256ELi4ELi8ELi32EdEEv20rocsparse_direction_iiiiii21rocsparse_index_base_PKT3_PKiS7_S2_PS3_PiS9_.uses_vcc, 1
	.set _ZN9rocsparseL44csr2gebsr_wavefront_per_row_multipass_kernelILi256ELi4ELi8ELi32EdEEv20rocsparse_direction_iiiiii21rocsparse_index_base_PKT3_PKiS7_S2_PS3_PiS9_.uses_flat_scratch, 0
	.set _ZN9rocsparseL44csr2gebsr_wavefront_per_row_multipass_kernelILi256ELi4ELi8ELi32EdEEv20rocsparse_direction_iiiiii21rocsparse_index_base_PKT3_PKiS7_S2_PS3_PiS9_.has_dyn_sized_stack, 0
	.set _ZN9rocsparseL44csr2gebsr_wavefront_per_row_multipass_kernelILi256ELi4ELi8ELi32EdEEv20rocsparse_direction_iiiiii21rocsparse_index_base_PKT3_PKiS7_S2_PS3_PiS9_.has_recursion, 0
	.set _ZN9rocsparseL44csr2gebsr_wavefront_per_row_multipass_kernelILi256ELi4ELi8ELi32EdEEv20rocsparse_direction_iiiiii21rocsparse_index_base_PKT3_PKiS7_S2_PS3_PiS9_.has_indirect_call, 0
	.section	.AMDGPU.csdata,"",@progbits
; Kernel info:
; codeLenInByte = 1444
; TotalNumSgprs: 25
; NumVgprs: 36
; ScratchSize: 0
; MemoryBound: 0
; FloatMode: 240
; IeeeMode: 1
; LDSByteSize: 2056 bytes/workgroup (compile time only)
; SGPRBlocks: 0
; VGPRBlocks: 2
; NumSGPRsForWavesPerEU: 25
; NumVGPRsForWavesPerEU: 36
; NamedBarCnt: 0
; Occupancy: 16
; WaveLimiterHint : 0
; COMPUTE_PGM_RSRC2:SCRATCH_EN: 0
; COMPUTE_PGM_RSRC2:USER_SGPR: 2
; COMPUTE_PGM_RSRC2:TRAP_HANDLER: 0
; COMPUTE_PGM_RSRC2:TGID_X_EN: 1
; COMPUTE_PGM_RSRC2:TGID_Y_EN: 0
; COMPUTE_PGM_RSRC2:TGID_Z_EN: 0
; COMPUTE_PGM_RSRC2:TIDIG_COMP_CNT: 0
	.section	.text._ZN9rocsparseL44csr2gebsr_wavefront_per_row_multipass_kernelILi256ELi4ELi16ELi64EdEEv20rocsparse_direction_iiiiii21rocsparse_index_base_PKT3_PKiS7_S2_PS3_PiS9_,"axG",@progbits,_ZN9rocsparseL44csr2gebsr_wavefront_per_row_multipass_kernelILi256ELi4ELi16ELi64EdEEv20rocsparse_direction_iiiiii21rocsparse_index_base_PKT3_PKiS7_S2_PS3_PiS9_,comdat
	.globl	_ZN9rocsparseL44csr2gebsr_wavefront_per_row_multipass_kernelILi256ELi4ELi16ELi64EdEEv20rocsparse_direction_iiiiii21rocsparse_index_base_PKT3_PKiS7_S2_PS3_PiS9_ ; -- Begin function _ZN9rocsparseL44csr2gebsr_wavefront_per_row_multipass_kernelILi256ELi4ELi16ELi64EdEEv20rocsparse_direction_iiiiii21rocsparse_index_base_PKT3_PKiS7_S2_PS3_PiS9_
	.p2align	8
	.type	_ZN9rocsparseL44csr2gebsr_wavefront_per_row_multipass_kernelILi256ELi4ELi16ELi64EdEEv20rocsparse_direction_iiiiii21rocsparse_index_base_PKT3_PKiS7_S2_PS3_PiS9_,@function
_ZN9rocsparseL44csr2gebsr_wavefront_per_row_multipass_kernelILi256ELi4ELi16ELi64EdEEv20rocsparse_direction_iiiiii21rocsparse_index_base_PKT3_PKiS7_S2_PS3_PiS9_: ; @_ZN9rocsparseL44csr2gebsr_wavefront_per_row_multipass_kernelILi256ELi4ELi16ELi64EdEEv20rocsparse_direction_iiiiii21rocsparse_index_base_PKT3_PKiS7_S2_PS3_PiS9_
; %bb.0:
	s_clause 0x1
	s_load_b128 s[4:7], s[0:1], 0xc
	s_load_b64 s[12:13], s[0:1], 0x0
	s_bfe_u32 s2, ttmp6, 0x4000c
	s_and_b32 s3, ttmp6, 15
	s_add_co_i32 s2, s2, 1
	s_getreg_b32 s8, hwreg(HW_REG_IB_STS2, 6, 4)
	s_mul_i32 s2, ttmp9, s2
	v_dual_lshrrev_b32 v18, 6, v0 :: v_dual_mov_b32 v2, 0
	s_add_co_i32 s3, s3, s2
	s_cmp_eq_u32 s8, 0
	v_bfe_u32 v1, v0, 4, 2
	s_cselect_b32 s2, ttmp9, s3
	s_clause 0x1
	s_load_b32 s16, s[0:1], 0x1c
	s_load_b64 s[8:9], s[0:1], 0x28
	v_lshl_or_b32 v3, s2, 2, v18
	v_mov_b32_e32 v6, 0
	s_wait_kmcnt 0x0
	s_delay_alu instid0(VALU_DEP_2) | instskip(SKIP_1) | instid1(VALU_DEP_2)
	v_mad_u32 v4, v3, s6, v1
	v_cmp_gt_i32_e32 vcc_lo, s6, v1
	v_cmp_gt_i32_e64 s2, s13, v4
	s_and_b32 s2, vcc_lo, s2
	s_delay_alu instid0(SALU_CYCLE_1)
	s_and_saveexec_b32 s3, s2
	s_cbranch_execz .LBB83_2
; %bb.1:
	global_load_b32 v5, v4, s[8:9] scale_offset
	s_wait_loadcnt 0x0
	v_subrev_nc_u32_e32 v6, s16, v5
.LBB83_2:
	s_or_b32 exec_lo, exec_lo, s3
	v_mov_b32_e32 v19, 0
	s_and_saveexec_b32 s3, s2
	s_cbranch_execz .LBB83_4
; %bb.3:
	global_load_b32 v4, v4, s[8:9] offset:4 scale_offset
	s_wait_loadcnt 0x0
	v_subrev_nc_u32_e32 v19, s16, v4
.LBB83_4:
	s_or_b32 exec_lo, exec_lo, s3
	s_load_b32 s17, s[0:1], 0x38
	s_mov_b32 s3, exec_lo
	v_cmpx_gt_i32_e64 s4, v3
	s_cbranch_execz .LBB83_6
; %bb.5:
	s_load_b64 s[8:9], s[0:1], 0x48
	s_wait_kmcnt 0x0
	global_load_b32 v2, v3, s[8:9] scale_offset
	s_wait_loadcnt 0x0
	v_subrev_nc_u32_e32 v2, s17, v2
.LBB83_6:
	s_or_b32 exec_lo, exec_lo, s3
	s_cmp_lt_i32 s5, 1
	s_cbranch_scc1 .LBB83_24
; %bb.7:
	v_and_b32_e32 v3, 0xc0, v0
	v_dual_lshlrev_b32 v4, 7, v1 :: v_dual_bitop2_b32 v0, 15, v0 bitop3:0x40
	v_mbcnt_lo_u32_b32 v7, -1, 0
	s_clause 0x3
	s_load_b64 s[2:3], s[0:1], 0x50
	s_load_b64 s[14:15], s[0:1], 0x40
	;; [unrolled: 1-line block ×4, first 2 shown]
	v_mul_lo_u32 v12, s7, v1
	v_lshl_or_b32 v20, v3, 3, v4
	v_dual_lshlrev_b32 v10, 3, v0 :: v_dual_bitop2_b32 v8, 1, v7 bitop3:0x14
	v_xor_b32_e32 v4, 2, v7
	v_xor_b32_e32 v5, 8, v7
	v_lshl_or_b32 v25, v7, 2, 60
	v_bfrev_b32_e32 v29, 0.5
	s_mov_b32 s13, 0
	v_mov_b32_e32 v30, 1
	s_wait_xcnt 0x0
	v_cmp_gt_i32_e64 s0, 32, v5
	s_delay_alu instid0(VALU_DEP_1) | instskip(NEXT) | instid1(VALU_DEP_1)
	v_dual_cndmask_b32 v5, v7, v5, s0 :: v_dual_bitop2_b32 v3, 4, v7 bitop3:0x14
	v_cmp_gt_i32_e64 s0, 32, v3
	s_delay_alu instid0(VALU_DEP_1) | instskip(SKIP_3) | instid1(VALU_DEP_3)
	v_dual_lshlrev_b32 v21, 2, v5 :: v_dual_cndmask_b32 v3, v7, v3, s0
	v_cmp_gt_i32_e64 s0, 32, v4
	v_dual_mov_b32 v5, 0 :: v_dual_bitop2_b32 v26, v20, v10 bitop3:0x54
	v_ashrrev_i32_e32 v13, 31, v12
	v_cndmask_b32_e64 v4, v7, v4, s0
	v_cmp_gt_i32_e64 s0, 32, v8
	s_delay_alu instid0(VALU_DEP_2) | instskip(NEXT) | instid1(VALU_DEP_2)
	v_dual_mov_b32 v11, v5 :: v_dual_lshlrev_b32 v23, 2, v4
	v_cndmask_b32_e64 v8, v7, v8, s0
	v_cmp_gt_u32_e64 s0, s7, v0
	v_mul_lo_u32 v4, s6, v0
	s_delay_alu instid0(VALU_DEP_3)
	v_dual_lshlrev_b32 v22, 2, v3 :: v_dual_lshlrev_b32 v24, 2, v8
	s_and_b32 s4, vcc_lo, s0
	s_cmp_lg_u32 s12, 0
	s_mov_b32 s12, s6
	s_cselect_b32 s18, -1, 0
	s_abs_i32 s19, s7
	s_ashr_i32 s1, s7, 31
	s_cvt_f32_u32 s0, s19
	s_wait_kmcnt 0x0
	s_delay_alu instid0(VALU_DEP_2) | instskip(SKIP_4) | instid1(VALU_DEP_2)
	v_lshl_add_u64 v[8:9], v[4:5], 3, s[14:15]
	v_dual_mov_b32 v1, v5 :: v_dual_lshlrev_b32 v4, 3, v1
	v_rcp_iflag_f32_e32 v3, s0
	v_lshl_add_u64 v[12:13], v[12:13], 3, s[14:15]
	s_sub_co_i32 s14, 0, s19
	v_add_nc_u64_e32 v[8:9], v[8:9], v[4:5]
	v_or_b32_e32 v4, 32, v7
	s_mov_b32 s0, s7
	v_add_nc_u64_e32 v[10:11], v[12:13], v[10:11]
	v_readfirstlane_b32 s6, v3
	v_mov_b64_e32 v[12:13], 0
	v_cmp_gt_i32_e32 vcc_lo, 32, v4
	v_xor_b32_e32 v3, 16, v7
	s_mul_f32 s6, s6, 0x4f7ffffe
	v_cndmask_b32_e32 v4, v7, v4, vcc_lo
	s_delay_alu instid0(VALU_DEP_2) | instskip(NEXT) | instid1(SALU_CYCLE_1)
	v_cmp_gt_i32_e32 vcc_lo, 32, v3
	s_cvt_u32_f32 s6, s6
	s_delay_alu instid0(VALU_DEP_2) | instskip(NEXT) | instid1(SALU_CYCLE_2)
	v_dual_lshlrev_b32 v27, 2, v4 :: v_dual_cndmask_b32 v3, v7, v3, vcc_lo
	s_mul_i32 s14, s14, s6
	s_delay_alu instid0(SALU_CYCLE_1) | instskip(SKIP_1) | instid1(VALU_DEP_1)
	s_mul_hi_u32 s20, s6, s14
	s_mul_u64 s[14:15], s[0:1], s[12:13]
	v_dual_mov_b32 v3, 0 :: v_dual_lshlrev_b32 v28, 2, v3
	s_add_co_i32 s12, s6, s20
	s_mov_b32 s6, s13
	s_branch .LBB83_10
.LBB83_8:                               ;   in Loop: Header=BB83_10 Depth=1
	s_wait_xcnt 0x0
	s_or_b32 exec_lo, exec_lo, s20
	v_mov_b32_e32 v4, 1
.LBB83_9:                               ;   in Loop: Header=BB83_10 Depth=1
	s_or_b32 exec_lo, exec_lo, s0
	ds_bpermute_b32 v3, v27, v31
	s_wait_storecnt_dscnt 0x0
	v_dual_add_nc_u32 v2, v4, v2 :: v_dual_min_i32 v3, v3, v31
	ds_bpermute_b32 v7, v28, v3
	s_wait_dscnt 0x0
	v_min_i32_e32 v3, v7, v3
	ds_bpermute_b32 v7, v21, v3
	s_wait_dscnt 0x0
	v_min_i32_e32 v3, v7, v3
	;; [unrolled: 3-line block ×5, first 2 shown]
	ds_bpermute_b32 v3, v29, v3
	s_wait_dscnt 0x0
	v_cmp_le_i32_e32 vcc_lo, s5, v3
	s_or_b32 s6, vcc_lo, s6
	s_delay_alu instid0(SALU_CYCLE_1)
	s_and_not1_b32 exec_lo, exec_lo, s6
	s_cbranch_execz .LBB83_24
.LBB83_10:                              ; =>This Loop Header: Depth=1
                                        ;     Child Loop BB83_13 Depth 2
	v_dual_mov_b32 v31, s5 :: v_dual_add_nc_u32 v16, v6, v0
	v_mov_b32_e32 v32, v19
	s_mov_b32 s20, exec_lo
	ds_store_b8 v18, v5 offset:2048
	ds_store_b64 v26, v[12:13]
	s_wait_dscnt 0x0
	v_cmpx_lt_i32_e64 v16, v19
	s_cbranch_execz .LBB83_18
; %bb.11:                               ;   in Loop: Header=BB83_10 Depth=1
	v_dual_ashrrev_i32 v7, 31, v6 :: v_dual_mov_b32 v31, s5
	v_mul_lo_u32 v17, v3, s7
	v_mov_b32_e32 v32, v19
	s_mov_b32 s21, 0
	s_delay_alu instid0(VALU_DEP_3) | instskip(NEXT) | instid1(VALU_DEP_1)
	v_add_nc_u64_e32 v[14:15], v[0:1], v[6:7]
	v_lshl_add_u64 v[6:7], v[14:15], 2, s[10:11]
	v_lshl_add_u64 v[14:15], v[14:15], 3, s[8:9]
	s_branch .LBB83_13
.LBB83_12:                              ;   in Loop: Header=BB83_13 Depth=2
	s_wait_xcnt 0x0
	s_or_b32 exec_lo, exec_lo, s0
	v_add_nc_u32_e32 v16, 16, v16
	s_xor_b32 s22, vcc_lo, -1
	v_add_nc_u64_e32 v[6:7], 64, v[6:7]
	v_add_nc_u64_e32 v[14:15], 0x80, v[14:15]
	s_delay_alu instid0(VALU_DEP_3) | instskip(SKIP_1) | instid1(SALU_CYCLE_1)
	v_cmp_ge_i32_e64 s0, v16, v19
	s_or_b32 s0, s22, s0
	s_and_b32 s0, exec_lo, s0
	s_delay_alu instid0(SALU_CYCLE_1) | instskip(NEXT) | instid1(SALU_CYCLE_1)
	s_or_b32 s21, s0, s21
	s_and_not1_b32 exec_lo, exec_lo, s21
	s_cbranch_execz .LBB83_17
.LBB83_13:                              ;   Parent Loop BB83_10 Depth=1
                                        ; =>  This Inner Loop Header: Depth=2
	global_load_b32 v4, v[6:7], off
	s_wait_loadcnt 0x0
	v_subrev_nc_u32_e32 v33, s16, v4
	s_delay_alu instid0(VALU_DEP_1) | instskip(NEXT) | instid1(VALU_DEP_1)
	v_sub_nc_u32_e32 v4, 0, v33
	v_max_i32_e32 v4, v33, v4
	s_delay_alu instid0(VALU_DEP_1) | instskip(NEXT) | instid1(VALU_DEP_1)
	v_mul_u64_e32 v[34:35], s[12:13], v[4:5]
	v_mul_lo_u32 v34, v35, s19
	s_delay_alu instid0(VALU_DEP_1) | instskip(NEXT) | instid1(VALU_DEP_1)
	v_dual_sub_nc_u32 v4, v4, v34 :: v_dual_add_nc_u32 v34, 1, v35
	v_cmp_le_u32_e32 vcc_lo, s19, v4
	s_delay_alu instid0(VALU_DEP_2) | instskip(SKIP_1) | instid1(VALU_DEP_1)
	v_dual_cndmask_b32 v34, v35, v34 :: v_dual_ashrrev_i32 v35, 31, v33
	v_subrev_nc_u32_e32 v36, s19, v4
	v_dual_cndmask_b32 v4, v4, v36, vcc_lo :: v_dual_add_nc_u32 v36, 1, v34
	s_delay_alu instid0(VALU_DEP_1) | instskip(NEXT) | instid1(VALU_DEP_2)
	v_cmp_le_u32_e32 vcc_lo, s19, v4
	v_dual_cndmask_b32 v4, v34, v36, vcc_lo :: v_dual_bitop2_b32 v35, s1, v35 bitop3:0x14
	s_delay_alu instid0(VALU_DEP_1) | instskip(NEXT) | instid1(VALU_DEP_1)
	v_xor_b32_e32 v4, v4, v35
	v_sub_nc_u32_e32 v34, v4, v35
	v_mov_b32_e32 v4, v32
	s_delay_alu instid0(VALU_DEP_2) | instskip(SKIP_3) | instid1(SALU_CYCLE_1)
	v_cmp_ne_u32_e64 s0, v34, v3
	v_cmp_eq_u32_e32 vcc_lo, v34, v3
	s_wait_xcnt 0x0
	s_and_saveexec_b32 s22, s0
	s_xor_b32 s0, exec_lo, s22
; %bb.14:                               ;   in Loop: Header=BB83_13 Depth=2
	v_min_i32_e32 v31, v34, v31
                                        ; implicit-def: $vgpr33
                                        ; implicit-def: $vgpr4
; %bb.15:                               ;   in Loop: Header=BB83_13 Depth=2
	s_or_saveexec_b32 s0, s0
	v_mov_b32_e32 v32, v16
	s_xor_b32 exec_lo, exec_lo, s0
	s_cbranch_execz .LBB83_12
; %bb.16:                               ;   in Loop: Header=BB83_13 Depth=2
	global_load_b64 v[34:35], v[14:15], off
	v_sub_nc_u32_e32 v32, v33, v17
	s_delay_alu instid0(VALU_DEP_1)
	v_lshl_add_u32 v33, v32, 3, v20
	v_mov_b32_e32 v32, v4
	ds_store_b8 v18, v30 offset:2048
	s_wait_loadcnt 0x0
	ds_store_b64 v33, v[34:35]
	s_branch .LBB83_12
.LBB83_17:                              ;   in Loop: Header=BB83_10 Depth=1
	s_or_b32 exec_lo, exec_lo, s21
.LBB83_18:                              ;   in Loop: Header=BB83_10 Depth=1
	s_delay_alu instid0(SALU_CYCLE_1)
	s_or_b32 exec_lo, exec_lo, s20
	ds_bpermute_b32 v4, v21, v32
	s_wait_dscnt 0x0
	ds_load_u8 v7, v18 offset:2048
	v_min_i32_e32 v4, v4, v32
	ds_bpermute_b32 v6, v22, v4
	s_wait_dscnt 0x0
	v_min_i32_e32 v4, v6, v4
	ds_bpermute_b32 v6, v23, v4
	s_wait_dscnt 0x0
	;; [unrolled: 3-line block ×3, first 2 shown]
	v_min_i32_e32 v4, v6, v4
	ds_bpermute_b32 v6, v25, v4
	v_and_b32_e32 v4, 1, v7
	s_delay_alu instid0(VALU_DEP_1)
	v_cmp_eq_u32_e32 vcc_lo, 1, v4
	v_mov_b32_e32 v4, 0
	s_and_saveexec_b32 s0, vcc_lo
	s_cbranch_execz .LBB83_9
; %bb.19:                               ;   in Loop: Header=BB83_10 Depth=1
	v_add_nc_u32_e32 v3, s17, v3
	global_store_b32 v2, v3, s[2:3] scale_offset
	s_wait_xcnt 0x0
	s_and_saveexec_b32 s20, s4
	s_cbranch_execz .LBB83_8
; %bb.20:                               ;   in Loop: Header=BB83_10 Depth=1
	v_ashrrev_i32_e32 v3, 31, v2
	ds_load_b64 v[16:17], v26
	s_and_b32 vcc_lo, exec_lo, s18
	v_mul_u64_e32 v[14:15], s[14:15], v[2:3]
	s_cbranch_vccz .LBB83_22
; %bb.21:                               ;   in Loop: Header=BB83_10 Depth=1
	s_delay_alu instid0(VALU_DEP_1)
	v_lshl_add_u64 v[32:33], v[14:15], 3, v[8:9]
	s_wait_dscnt 0x0
	global_store_b64 v[32:33], v[16:17], off
	s_cbranch_execnz .LBB83_8
	s_branch .LBB83_23
.LBB83_22:                              ;   in Loop: Header=BB83_10 Depth=1
.LBB83_23:                              ;   in Loop: Header=BB83_10 Depth=1
	s_delay_alu instid0(VALU_DEP_1)
	v_lshl_add_u64 v[14:15], v[14:15], 3, v[10:11]
	s_wait_dscnt 0x0
	global_store_b64 v[14:15], v[16:17], off
	s_branch .LBB83_8
.LBB83_24:
	s_endpgm
	.section	.rodata,"a",@progbits
	.p2align	6, 0x0
	.amdhsa_kernel _ZN9rocsparseL44csr2gebsr_wavefront_per_row_multipass_kernelILi256ELi4ELi16ELi64EdEEv20rocsparse_direction_iiiiii21rocsparse_index_base_PKT3_PKiS7_S2_PS3_PiS9_
		.amdhsa_group_segment_fixed_size 2056
		.amdhsa_private_segment_fixed_size 0
		.amdhsa_kernarg_size 88
		.amdhsa_user_sgpr_count 2
		.amdhsa_user_sgpr_dispatch_ptr 0
		.amdhsa_user_sgpr_queue_ptr 0
		.amdhsa_user_sgpr_kernarg_segment_ptr 1
		.amdhsa_user_sgpr_dispatch_id 0
		.amdhsa_user_sgpr_kernarg_preload_length 0
		.amdhsa_user_sgpr_kernarg_preload_offset 0
		.amdhsa_user_sgpr_private_segment_size 0
		.amdhsa_wavefront_size32 1
		.amdhsa_uses_dynamic_stack 0
		.amdhsa_enable_private_segment 0
		.amdhsa_system_sgpr_workgroup_id_x 1
		.amdhsa_system_sgpr_workgroup_id_y 0
		.amdhsa_system_sgpr_workgroup_id_z 0
		.amdhsa_system_sgpr_workgroup_info 0
		.amdhsa_system_vgpr_workitem_id 0
		.amdhsa_next_free_vgpr 37
		.amdhsa_next_free_sgpr 23
		.amdhsa_named_barrier_count 0
		.amdhsa_reserve_vcc 1
		.amdhsa_float_round_mode_32 0
		.amdhsa_float_round_mode_16_64 0
		.amdhsa_float_denorm_mode_32 3
		.amdhsa_float_denorm_mode_16_64 3
		.amdhsa_fp16_overflow 0
		.amdhsa_memory_ordered 1
		.amdhsa_forward_progress 1
		.amdhsa_inst_pref_size 12
		.amdhsa_round_robin_scheduling 0
		.amdhsa_exception_fp_ieee_invalid_op 0
		.amdhsa_exception_fp_denorm_src 0
		.amdhsa_exception_fp_ieee_div_zero 0
		.amdhsa_exception_fp_ieee_overflow 0
		.amdhsa_exception_fp_ieee_underflow 0
		.amdhsa_exception_fp_ieee_inexact 0
		.amdhsa_exception_int_div_zero 0
	.end_amdhsa_kernel
	.section	.text._ZN9rocsparseL44csr2gebsr_wavefront_per_row_multipass_kernelILi256ELi4ELi16ELi64EdEEv20rocsparse_direction_iiiiii21rocsparse_index_base_PKT3_PKiS7_S2_PS3_PiS9_,"axG",@progbits,_ZN9rocsparseL44csr2gebsr_wavefront_per_row_multipass_kernelILi256ELi4ELi16ELi64EdEEv20rocsparse_direction_iiiiii21rocsparse_index_base_PKT3_PKiS7_S2_PS3_PiS9_,comdat
.Lfunc_end83:
	.size	_ZN9rocsparseL44csr2gebsr_wavefront_per_row_multipass_kernelILi256ELi4ELi16ELi64EdEEv20rocsparse_direction_iiiiii21rocsparse_index_base_PKT3_PKiS7_S2_PS3_PiS9_, .Lfunc_end83-_ZN9rocsparseL44csr2gebsr_wavefront_per_row_multipass_kernelILi256ELi4ELi16ELi64EdEEv20rocsparse_direction_iiiiii21rocsparse_index_base_PKT3_PKiS7_S2_PS3_PiS9_
                                        ; -- End function
	.set _ZN9rocsparseL44csr2gebsr_wavefront_per_row_multipass_kernelILi256ELi4ELi16ELi64EdEEv20rocsparse_direction_iiiiii21rocsparse_index_base_PKT3_PKiS7_S2_PS3_PiS9_.num_vgpr, 37
	.set _ZN9rocsparseL44csr2gebsr_wavefront_per_row_multipass_kernelILi256ELi4ELi16ELi64EdEEv20rocsparse_direction_iiiiii21rocsparse_index_base_PKT3_PKiS7_S2_PS3_PiS9_.num_agpr, 0
	.set _ZN9rocsparseL44csr2gebsr_wavefront_per_row_multipass_kernelILi256ELi4ELi16ELi64EdEEv20rocsparse_direction_iiiiii21rocsparse_index_base_PKT3_PKiS7_S2_PS3_PiS9_.numbered_sgpr, 23
	.set _ZN9rocsparseL44csr2gebsr_wavefront_per_row_multipass_kernelILi256ELi4ELi16ELi64EdEEv20rocsparse_direction_iiiiii21rocsparse_index_base_PKT3_PKiS7_S2_PS3_PiS9_.num_named_barrier, 0
	.set _ZN9rocsparseL44csr2gebsr_wavefront_per_row_multipass_kernelILi256ELi4ELi16ELi64EdEEv20rocsparse_direction_iiiiii21rocsparse_index_base_PKT3_PKiS7_S2_PS3_PiS9_.private_seg_size, 0
	.set _ZN9rocsparseL44csr2gebsr_wavefront_per_row_multipass_kernelILi256ELi4ELi16ELi64EdEEv20rocsparse_direction_iiiiii21rocsparse_index_base_PKT3_PKiS7_S2_PS3_PiS9_.uses_vcc, 1
	.set _ZN9rocsparseL44csr2gebsr_wavefront_per_row_multipass_kernelILi256ELi4ELi16ELi64EdEEv20rocsparse_direction_iiiiii21rocsparse_index_base_PKT3_PKiS7_S2_PS3_PiS9_.uses_flat_scratch, 0
	.set _ZN9rocsparseL44csr2gebsr_wavefront_per_row_multipass_kernelILi256ELi4ELi16ELi64EdEEv20rocsparse_direction_iiiiii21rocsparse_index_base_PKT3_PKiS7_S2_PS3_PiS9_.has_dyn_sized_stack, 0
	.set _ZN9rocsparseL44csr2gebsr_wavefront_per_row_multipass_kernelILi256ELi4ELi16ELi64EdEEv20rocsparse_direction_iiiiii21rocsparse_index_base_PKT3_PKiS7_S2_PS3_PiS9_.has_recursion, 0
	.set _ZN9rocsparseL44csr2gebsr_wavefront_per_row_multipass_kernelILi256ELi4ELi16ELi64EdEEv20rocsparse_direction_iiiiii21rocsparse_index_base_PKT3_PKiS7_S2_PS3_PiS9_.has_indirect_call, 0
	.section	.AMDGPU.csdata,"",@progbits
; Kernel info:
; codeLenInByte = 1520
; TotalNumSgprs: 25
; NumVgprs: 37
; ScratchSize: 0
; MemoryBound: 0
; FloatMode: 240
; IeeeMode: 1
; LDSByteSize: 2056 bytes/workgroup (compile time only)
; SGPRBlocks: 0
; VGPRBlocks: 2
; NumSGPRsForWavesPerEU: 25
; NumVGPRsForWavesPerEU: 37
; NamedBarCnt: 0
; Occupancy: 16
; WaveLimiterHint : 0
; COMPUTE_PGM_RSRC2:SCRATCH_EN: 0
; COMPUTE_PGM_RSRC2:USER_SGPR: 2
; COMPUTE_PGM_RSRC2:TRAP_HANDLER: 0
; COMPUTE_PGM_RSRC2:TGID_X_EN: 1
; COMPUTE_PGM_RSRC2:TGID_Y_EN: 0
; COMPUTE_PGM_RSRC2:TGID_Z_EN: 0
; COMPUTE_PGM_RSRC2:TIDIG_COMP_CNT: 0
	.section	.text._ZN9rocsparseL44csr2gebsr_wavefront_per_row_multipass_kernelILi256ELi4ELi16ELi32EdEEv20rocsparse_direction_iiiiii21rocsparse_index_base_PKT3_PKiS7_S2_PS3_PiS9_,"axG",@progbits,_ZN9rocsparseL44csr2gebsr_wavefront_per_row_multipass_kernelILi256ELi4ELi16ELi32EdEEv20rocsparse_direction_iiiiii21rocsparse_index_base_PKT3_PKiS7_S2_PS3_PiS9_,comdat
	.globl	_ZN9rocsparseL44csr2gebsr_wavefront_per_row_multipass_kernelILi256ELi4ELi16ELi32EdEEv20rocsparse_direction_iiiiii21rocsparse_index_base_PKT3_PKiS7_S2_PS3_PiS9_ ; -- Begin function _ZN9rocsparseL44csr2gebsr_wavefront_per_row_multipass_kernelILi256ELi4ELi16ELi32EdEEv20rocsparse_direction_iiiiii21rocsparse_index_base_PKT3_PKiS7_S2_PS3_PiS9_
	.p2align	8
	.type	_ZN9rocsparseL44csr2gebsr_wavefront_per_row_multipass_kernelILi256ELi4ELi16ELi32EdEEv20rocsparse_direction_iiiiii21rocsparse_index_base_PKT3_PKiS7_S2_PS3_PiS9_,@function
_ZN9rocsparseL44csr2gebsr_wavefront_per_row_multipass_kernelILi256ELi4ELi16ELi32EdEEv20rocsparse_direction_iiiiii21rocsparse_index_base_PKT3_PKiS7_S2_PS3_PiS9_: ; @_ZN9rocsparseL44csr2gebsr_wavefront_per_row_multipass_kernelILi256ELi4ELi16ELi32EdEEv20rocsparse_direction_iiiiii21rocsparse_index_base_PKT3_PKiS7_S2_PS3_PiS9_
; %bb.0:
	s_clause 0x1
	s_load_b128 s[4:7], s[0:1], 0xc
	s_load_b64 s[12:13], s[0:1], 0x0
	s_bfe_u32 s2, ttmp6, 0x4000c
	s_and_b32 s3, ttmp6, 15
	s_add_co_i32 s2, s2, 1
	s_getreg_b32 s8, hwreg(HW_REG_IB_STS2, 6, 4)
	s_mul_i32 s2, ttmp9, s2
	v_dual_lshrrev_b32 v20, 5, v0 :: v_dual_mov_b32 v2, 0
	s_add_co_i32 s3, s3, s2
	s_cmp_eq_u32 s8, 0
	v_bfe_u32 v1, v0, 3, 2
	s_cselect_b32 s2, ttmp9, s3
	s_clause 0x1
	s_load_b32 s18, s[0:1], 0x1c
	s_load_b64 s[8:9], s[0:1], 0x28
	v_lshl_or_b32 v3, s2, 3, v20
	v_mov_b32_e32 v29, 0
	s_wait_kmcnt 0x0
	s_delay_alu instid0(VALU_DEP_2) | instskip(SKIP_1) | instid1(VALU_DEP_2)
	v_mad_u32 v4, v3, s6, v1
	v_cmp_gt_i32_e32 vcc_lo, s6, v1
	v_cmp_gt_i32_e64 s2, s13, v4
	s_and_b32 s2, vcc_lo, s2
	s_delay_alu instid0(SALU_CYCLE_1)
	s_and_saveexec_b32 s3, s2
	s_cbranch_execz .LBB84_2
; %bb.1:
	global_load_b32 v5, v4, s[8:9] scale_offset
	s_wait_loadcnt 0x0
	v_subrev_nc_u32_e32 v29, s18, v5
.LBB84_2:
	s_or_b32 exec_lo, exec_lo, s3
	v_mov_b32_e32 v21, 0
	s_and_saveexec_b32 s3, s2
	s_cbranch_execz .LBB84_4
; %bb.3:
	global_load_b32 v4, v4, s[8:9] offset:4 scale_offset
	s_wait_loadcnt 0x0
	v_subrev_nc_u32_e32 v21, s18, v4
.LBB84_4:
	s_or_b32 exec_lo, exec_lo, s3
	s_load_b32 s19, s[0:1], 0x38
	s_mov_b32 s3, exec_lo
	v_cmpx_gt_i32_e64 s4, v3
	s_cbranch_execz .LBB84_6
; %bb.5:
	s_load_b64 s[8:9], s[0:1], 0x48
	s_wait_kmcnt 0x0
	global_load_b32 v2, v3, s[8:9] scale_offset
	s_wait_loadcnt 0x0
	v_subrev_nc_u32_e32 v2, s19, v2
.LBB84_6:
	s_or_b32 exec_lo, exec_lo, s3
	s_cmp_lt_i32 s5, 1
	s_cbranch_scc1 .LBB84_31
; %bb.7:
	v_mbcnt_lo_u32_b32 v3, -1, 0
	s_clause 0x3
	s_load_b64 s[2:3], s[0:1], 0x50
	s_load_b64 s[20:21], s[0:1], 0x40
	;; [unrolled: 1-line block ×4, first 2 shown]
	v_and_b32_e32 v22, 7, v0
	s_cmp_lg_u32 s12, 0
	s_mov_b32 s13, 0
	v_dual_lshlrev_b32 v5, 7, v1 :: v_dual_bitop2_b32 v4, 4, v3 bitop3:0x14
	s_cselect_b32 s4, -1, 0
	s_mov_b32 s12, s6
	s_ashr_i32 s15, s7, 31
	s_wait_xcnt 0x0
	v_cmp_gt_i32_e64 s0, 32, v4
	v_xor_b32_e32 v0, 2, v3
	s_mov_b32 s14, s7
	v_lshl_or_b32 v23, v20, 9, v5
	s_mul_u64 s[16:17], s[14:15], s[12:13]
	v_dual_cndmask_b32 v4, v3, v4, s0 :: v_dual_bitop2_b32 v6, 1, v3 bitop3:0x14
	v_cmp_gt_i32_e64 s0, 32, v0
	s_abs_i32 s14, s7
	v_lshl_or_b32 v27, v3, 2, 28
	v_lshlrev_b32_e32 v24, 2, v4
	v_mov_b64_e32 v[12:13], 0
	v_cndmask_b32_e64 v0, v3, v0, s0
	v_cmp_gt_i32_e64 s0, 32, v6
	v_dual_lshlrev_b32 v8, 3, v22 :: v_dual_bitop2_b32 v33, -8, v22 bitop3:0x54
	s_delay_alu instid0(VALU_DEP_3) | instskip(NEXT) | instid1(VALU_DEP_3)
	v_dual_mov_b32 v34, 1 :: v_dual_lshlrev_b32 v25, 2, v0
	v_cndmask_b32_e64 v6, v3, v6, s0
	s_cvt_f32_u32 s0, s14
	v_dual_lshlrev_b32 v0, 3, v1 :: v_dual_mov_b32 v36, 0
	s_delay_alu instid0(VALU_DEP_2)
	v_lshlrev_b32_e32 v26, 2, v6
	v_mul_lo_u32 v6, s7, v1
	v_dual_mov_b32 v1, 0 :: v_dual_bitop2_b32 v28, v23, v8 bitop3:0x54
	v_rcp_iflag_f32_e32 v11, s0
	v_mov_b32_e32 v32, 0x7c
	s_wait_kmcnt 0x0
	s_delay_alu instid0(VALU_DEP_2) | instskip(SKIP_2) | instid1(VALU_DEP_2)
	v_add_nc_u64_e32 v[4:5], s[20:21], v[0:1]
	v_dual_mov_b32 v9, v1 :: v_dual_bitop2_b32 v0, 16, v3 bitop3:0x14
	v_ashrrev_i32_e32 v7, 31, v6
	v_cmp_gt_i32_e64 s0, 32, v0
	v_xor_b32_e32 v10, 8, v3
	s_delay_alu instid0(VALU_DEP_3) | instskip(NEXT) | instid1(VALU_DEP_3)
	v_lshl_add_u64 v[6:7], v[6:7], 3, s[20:21]
	v_cndmask_b32_e64 v0, v3, v0, s0
	s_delay_alu instid0(VALU_DEP_3) | instskip(NEXT) | instid1(VALU_DEP_3)
	v_cmp_gt_i32_e64 s0, 32, v10
	v_add_nc_u64_e32 v[6:7], v[6:7], v[8:9]
	v_mul_lo_u32 v8, v22, s6
	s_delay_alu instid0(VALU_DEP_3) | instskip(SKIP_2) | instid1(VALU_DEP_3)
	v_dual_cndmask_b32 v3, v3, v10, s0 :: v_dual_lshlrev_b32 v30, 2, v0
	v_readfirstlane_b32 s0, v11
	v_dual_mov_b32 v11, v1 :: v_dual_bitop2_b32 v0, 8, v22 bitop3:0x54
	v_lshlrev_b32_e32 v31, 2, v3
	s_mul_f32 s12, s0, 0x4f7ffffe
	v_cmp_gt_u32_e64 s0, s7, v22
	s_delay_alu instid0(VALU_DEP_3) | instskip(SKIP_4) | instid1(SALU_CYCLE_1)
	v_cmp_gt_u32_e64 s1, s7, v0
	v_lshl_add_u32 v10, s6, 3, v8
	s_cvt_u32_f32 s12, s12
	s_sub_co_i32 s6, 0, s14
	s_and_b32 s1, vcc_lo, s1
	s_mul_i32 s20, s6, s12
	s_and_b32 s6, s0, vcc_lo
	s_mul_hi_u32 s0, s12, s20
	s_mov_b32 s20, s13
	s_add_co_i32 s12, s12, s0
	s_branch .LBB84_10
.LBB84_8:                               ;   in Loop: Header=BB84_10 Depth=1
	s_wait_xcnt 0x0
	s_or_b32 exec_lo, exec_lo, s21
	v_mov_b32_e32 v0, 1
.LBB84_9:                               ;   in Loop: Header=BB84_10 Depth=1
	s_or_b32 exec_lo, exec_lo, s0
	ds_bpermute_b32 v3, v30, v35
	s_wait_storecnt_dscnt 0x0
	v_dual_add_nc_u32 v2, v0, v2 :: v_dual_min_i32 v3, v3, v35
	ds_bpermute_b32 v14, v31, v3
	s_wait_dscnt 0x0
	v_min_i32_e32 v3, v14, v3
	ds_bpermute_b32 v14, v24, v3
	s_wait_dscnt 0x0
	v_min_i32_e32 v3, v14, v3
	;; [unrolled: 3-line block ×4, first 2 shown]
	ds_bpermute_b32 v36, v32, v3
	s_wait_dscnt 0x0
	v_cmp_le_i32_e32 vcc_lo, s5, v36
	s_or_b32 s20, vcc_lo, s20
	s_delay_alu instid0(SALU_CYCLE_1)
	s_and_not1_b32 exec_lo, exec_lo, s20
	s_cbranch_execz .LBB84_31
.LBB84_10:                              ; =>This Loop Header: Depth=1
                                        ;     Child Loop BB84_11 Depth 2
                                        ;     Child Loop BB84_15 Depth 2
	v_dual_mov_b32 v0, v28 :: v_dual_mov_b32 v3, v33
	s_mov_b32 s0, 0
	ds_store_b8 v20, v1 offset:4096
.LBB84_11:                              ;   Parent Loop BB84_10 Depth=1
                                        ; =>  This Inner Loop Header: Depth=2
	v_add_co_u32 v3, s21, v3, 8
	s_xor_b32 s21, s21, -1
	ds_store_b64 v0, v[12:13]
	v_add_nc_u32_e32 v0, 64, v0
	s_and_b32 s21, exec_lo, s21
	s_delay_alu instid0(SALU_CYCLE_1) | instskip(NEXT) | instid1(SALU_CYCLE_1)
	s_or_b32 s0, s21, s0
	s_and_not1_b32 exec_lo, exec_lo, s0
	s_cbranch_execnz .LBB84_11
; %bb.12:                               ;   in Loop: Header=BB84_10 Depth=1
	s_or_b32 exec_lo, exec_lo, s0
	v_dual_mov_b32 v35, s5 :: v_dual_add_nc_u32 v14, v29, v22
	v_mov_b32_e32 v15, v21
	s_mov_b32 s21, exec_lo
	s_wait_dscnt 0x0
	s_delay_alu instid0(VALU_DEP_2)
	v_cmpx_lt_i32_e64 v14, v21
	s_cbranch_execz .LBB84_20
; %bb.13:                               ;   in Loop: Header=BB84_10 Depth=1
	v_mul_lo_u32 v3, v36, s7
	v_dual_ashrrev_i32 v15, 31, v14 :: v_dual_mov_b32 v35, s5
	s_mov_b32 s22, 0
	s_delay_alu instid0(VALU_DEP_1)
	v_lshl_add_u64 v[16:17], v[14:15], 2, s[10:11]
	v_lshl_add_u64 v[18:19], v[14:15], 3, s[8:9]
	v_mov_b32_e32 v15, v21
	s_branch .LBB84_15
.LBB84_14:                              ;   in Loop: Header=BB84_15 Depth=2
	s_wait_xcnt 0x0
	s_or_b32 exec_lo, exec_lo, s0
	v_add_nc_u32_e32 v14, 8, v14
	s_xor_b32 s23, vcc_lo, -1
	v_add_nc_u64_e32 v[16:17], 32, v[16:17]
	v_add_nc_u64_e32 v[18:19], 64, v[18:19]
	s_delay_alu instid0(VALU_DEP_3) | instskip(SKIP_1) | instid1(SALU_CYCLE_1)
	v_cmp_ge_i32_e64 s0, v14, v21
	s_or_b32 s0, s23, s0
	s_and_b32 s0, exec_lo, s0
	s_delay_alu instid0(SALU_CYCLE_1) | instskip(NEXT) | instid1(SALU_CYCLE_1)
	s_or_b32 s22, s0, s22
	s_and_not1_b32 exec_lo, exec_lo, s22
	s_cbranch_execz .LBB84_19
.LBB84_15:                              ;   Parent Loop BB84_10 Depth=1
                                        ; =>  This Inner Loop Header: Depth=2
	global_load_b32 v0, v[16:17], off
	s_wait_loadcnt 0x0
	v_subrev_nc_u32_e32 v29, s18, v0
	s_delay_alu instid0(VALU_DEP_1) | instskip(NEXT) | instid1(VALU_DEP_1)
	v_sub_nc_u32_e32 v0, 0, v29
	v_max_i32_e32 v0, v29, v0
	s_delay_alu instid0(VALU_DEP_1) | instskip(NEXT) | instid1(VALU_DEP_1)
	v_mul_u64_e32 v[38:39], s[12:13], v[0:1]
	v_mul_lo_u32 v37, v39, s14
	s_delay_alu instid0(VALU_DEP_1) | instskip(NEXT) | instid1(VALU_DEP_1)
	v_dual_sub_nc_u32 v0, v0, v37 :: v_dual_add_nc_u32 v37, 1, v39
	v_subrev_nc_u32_e32 v38, s14, v0
	v_cmp_le_u32_e32 vcc_lo, s14, v0
	s_delay_alu instid0(VALU_DEP_3) | instskip(NEXT) | instid1(VALU_DEP_3)
	v_cndmask_b32_e32 v37, v39, v37, vcc_lo
	v_dual_cndmask_b32 v0, v0, v38 :: v_dual_ashrrev_i32 v39, 31, v29
	s_delay_alu instid0(VALU_DEP_2) | instskip(NEXT) | instid1(VALU_DEP_2)
	v_add_nc_u32_e32 v38, 1, v37
	v_cmp_le_u32_e32 vcc_lo, s14, v0
	s_delay_alu instid0(VALU_DEP_2) | instskip(NEXT) | instid1(VALU_DEP_1)
	v_dual_cndmask_b32 v0, v37, v38, vcc_lo :: v_dual_bitop2_b32 v39, s15, v39 bitop3:0x14
	v_xor_b32_e32 v0, v0, v39
	s_delay_alu instid0(VALU_DEP_1) | instskip(NEXT) | instid1(VALU_DEP_1)
	v_dual_mov_b32 v0, v15 :: v_dual_sub_nc_u32 v37, v0, v39
	v_cmp_ne_u32_e64 s0, v37, v36
	v_cmp_eq_u32_e32 vcc_lo, v37, v36
	s_wait_xcnt 0x0
	s_and_saveexec_b32 s23, s0
	s_delay_alu instid0(SALU_CYCLE_1)
	s_xor_b32 s0, exec_lo, s23
; %bb.16:                               ;   in Loop: Header=BB84_15 Depth=2
	v_min_i32_e32 v35, v37, v35
                                        ; implicit-def: $vgpr29
                                        ; implicit-def: $vgpr0
; %bb.17:                               ;   in Loop: Header=BB84_15 Depth=2
	s_or_saveexec_b32 s0, s0
	v_mov_b32_e32 v15, v14
	s_xor_b32 exec_lo, exec_lo, s0
	s_cbranch_execz .LBB84_14
; %bb.18:                               ;   in Loop: Header=BB84_15 Depth=2
	global_load_b64 v[38:39], v[18:19], off
	v_sub_nc_u32_e32 v15, v29, v3
	s_delay_alu instid0(VALU_DEP_1)
	v_lshl_add_u32 v29, v15, 3, v23
	v_mov_b32_e32 v15, v0
	ds_store_b8 v20, v34 offset:4096
	s_wait_loadcnt 0x0
	ds_store_b64 v29, v[38:39]
	s_branch .LBB84_14
.LBB84_19:                              ;   in Loop: Header=BB84_10 Depth=1
	s_or_b32 exec_lo, exec_lo, s22
.LBB84_20:                              ;   in Loop: Header=BB84_10 Depth=1
	s_delay_alu instid0(SALU_CYCLE_1)
	s_or_b32 exec_lo, exec_lo, s21
	ds_bpermute_b32 v0, v24, v15
	s_wait_dscnt 0x0
	ds_load_u8 v14, v20 offset:4096
	v_min_i32_e32 v0, v0, v15
	ds_bpermute_b32 v3, v25, v0
	s_wait_dscnt 0x0
	v_min_i32_e32 v0, v3, v0
	ds_bpermute_b32 v3, v26, v0
	s_wait_dscnt 0x0
	v_min_i32_e32 v0, v3, v0
	ds_bpermute_b32 v29, v27, v0
	v_and_b32_e32 v0, 1, v14
	s_delay_alu instid0(VALU_DEP_1)
	v_cmp_eq_u32_e32 vcc_lo, 1, v0
	v_mov_b32_e32 v0, 0
	s_and_saveexec_b32 s0, vcc_lo
	s_cbranch_execz .LBB84_9
; %bb.21:                               ;   in Loop: Header=BB84_10 Depth=1
	v_dual_ashrrev_i32 v3, 31, v2 :: v_dual_add_nc_u32 v0, s19, v36
	s_delay_alu instid0(VALU_DEP_1) | instskip(SKIP_2) | instid1(VALU_DEP_1)
	v_mul_u64_e32 v[14:15], s[16:17], v[2:3]
	global_store_b32 v2, v0, s[2:3] scale_offset
	v_lshlrev_b64_e32 v[14:15], 3, v[14:15]
	v_add_nc_u64_e32 v[16:17], v[4:5], v[14:15]
	v_add_nc_u64_e32 v[14:15], v[6:7], v[14:15]
	s_wait_xcnt 0x0
	s_and_saveexec_b32 s21, s6
	s_cbranch_execz .LBB84_25
; %bb.22:                               ;   in Loop: Header=BB84_10 Depth=1
	ds_load_b64 v[18:19], v28
	s_and_b32 vcc_lo, exec_lo, s4
	s_cbranch_vccz .LBB84_28
; %bb.23:                               ;   in Loop: Header=BB84_10 Depth=1
	v_lshl_add_u64 v[36:37], v[8:9], 3, v[16:17]
	s_wait_dscnt 0x0
	global_store_b64 v[36:37], v[18:19], off
	s_cbranch_execnz .LBB84_25
.LBB84_24:                              ;   in Loop: Header=BB84_10 Depth=1
	s_wait_dscnt 0x0
	global_store_b64 v[14:15], v[18:19], off
.LBB84_25:                              ;   in Loop: Header=BB84_10 Depth=1
	s_wait_xcnt 0x0
	s_or_b32 exec_lo, exec_lo, s21
	s_and_saveexec_b32 s21, s1
	s_cbranch_execz .LBB84_8
; %bb.26:                               ;   in Loop: Header=BB84_10 Depth=1
	s_and_not1_b32 vcc_lo, exec_lo, s4
	s_cbranch_vccnz .LBB84_29
; %bb.27:                               ;   in Loop: Header=BB84_10 Depth=1
	s_wait_dscnt 0x0
	ds_load_b64 v[18:19], v28 offset:64
	v_lshl_add_u64 v[16:17], v[10:11], 3, v[16:17]
	s_wait_dscnt 0x0
	global_store_b64 v[16:17], v[18:19], off
	s_cbranch_execnz .LBB84_8
	s_branch .LBB84_30
.LBB84_28:                              ;   in Loop: Header=BB84_10 Depth=1
	s_branch .LBB84_24
.LBB84_29:                              ;   in Loop: Header=BB84_10 Depth=1
.LBB84_30:                              ;   in Loop: Header=BB84_10 Depth=1
	s_wait_xcnt 0x0
	ds_load_b64 v[16:17], v28 offset:64
	s_wait_dscnt 0x0
	global_store_b64 v[14:15], v[16:17], off offset:64
	s_branch .LBB84_8
.LBB84_31:
	s_endpgm
	.section	.rodata,"a",@progbits
	.p2align	6, 0x0
	.amdhsa_kernel _ZN9rocsparseL44csr2gebsr_wavefront_per_row_multipass_kernelILi256ELi4ELi16ELi32EdEEv20rocsparse_direction_iiiiii21rocsparse_index_base_PKT3_PKiS7_S2_PS3_PiS9_
		.amdhsa_group_segment_fixed_size 4104
		.amdhsa_private_segment_fixed_size 0
		.amdhsa_kernarg_size 88
		.amdhsa_user_sgpr_count 2
		.amdhsa_user_sgpr_dispatch_ptr 0
		.amdhsa_user_sgpr_queue_ptr 0
		.amdhsa_user_sgpr_kernarg_segment_ptr 1
		.amdhsa_user_sgpr_dispatch_id 0
		.amdhsa_user_sgpr_kernarg_preload_length 0
		.amdhsa_user_sgpr_kernarg_preload_offset 0
		.amdhsa_user_sgpr_private_segment_size 0
		.amdhsa_wavefront_size32 1
		.amdhsa_uses_dynamic_stack 0
		.amdhsa_enable_private_segment 0
		.amdhsa_system_sgpr_workgroup_id_x 1
		.amdhsa_system_sgpr_workgroup_id_y 0
		.amdhsa_system_sgpr_workgroup_id_z 0
		.amdhsa_system_sgpr_workgroup_info 0
		.amdhsa_system_vgpr_workitem_id 0
		.amdhsa_next_free_vgpr 40
		.amdhsa_next_free_sgpr 24
		.amdhsa_named_barrier_count 0
		.amdhsa_reserve_vcc 1
		.amdhsa_float_round_mode_32 0
		.amdhsa_float_round_mode_16_64 0
		.amdhsa_float_denorm_mode_32 3
		.amdhsa_float_denorm_mode_16_64 3
		.amdhsa_fp16_overflow 0
		.amdhsa_memory_ordered 1
		.amdhsa_forward_progress 1
		.amdhsa_inst_pref_size 13
		.amdhsa_round_robin_scheduling 0
		.amdhsa_exception_fp_ieee_invalid_op 0
		.amdhsa_exception_fp_denorm_src 0
		.amdhsa_exception_fp_ieee_div_zero 0
		.amdhsa_exception_fp_ieee_overflow 0
		.amdhsa_exception_fp_ieee_underflow 0
		.amdhsa_exception_fp_ieee_inexact 0
		.amdhsa_exception_int_div_zero 0
	.end_amdhsa_kernel
	.section	.text._ZN9rocsparseL44csr2gebsr_wavefront_per_row_multipass_kernelILi256ELi4ELi16ELi32EdEEv20rocsparse_direction_iiiiii21rocsparse_index_base_PKT3_PKiS7_S2_PS3_PiS9_,"axG",@progbits,_ZN9rocsparseL44csr2gebsr_wavefront_per_row_multipass_kernelILi256ELi4ELi16ELi32EdEEv20rocsparse_direction_iiiiii21rocsparse_index_base_PKT3_PKiS7_S2_PS3_PiS9_,comdat
.Lfunc_end84:
	.size	_ZN9rocsparseL44csr2gebsr_wavefront_per_row_multipass_kernelILi256ELi4ELi16ELi32EdEEv20rocsparse_direction_iiiiii21rocsparse_index_base_PKT3_PKiS7_S2_PS3_PiS9_, .Lfunc_end84-_ZN9rocsparseL44csr2gebsr_wavefront_per_row_multipass_kernelILi256ELi4ELi16ELi32EdEEv20rocsparse_direction_iiiiii21rocsparse_index_base_PKT3_PKiS7_S2_PS3_PiS9_
                                        ; -- End function
	.set _ZN9rocsparseL44csr2gebsr_wavefront_per_row_multipass_kernelILi256ELi4ELi16ELi32EdEEv20rocsparse_direction_iiiiii21rocsparse_index_base_PKT3_PKiS7_S2_PS3_PiS9_.num_vgpr, 40
	.set _ZN9rocsparseL44csr2gebsr_wavefront_per_row_multipass_kernelILi256ELi4ELi16ELi32EdEEv20rocsparse_direction_iiiiii21rocsparse_index_base_PKT3_PKiS7_S2_PS3_PiS9_.num_agpr, 0
	.set _ZN9rocsparseL44csr2gebsr_wavefront_per_row_multipass_kernelILi256ELi4ELi16ELi32EdEEv20rocsparse_direction_iiiiii21rocsparse_index_base_PKT3_PKiS7_S2_PS3_PiS9_.numbered_sgpr, 24
	.set _ZN9rocsparseL44csr2gebsr_wavefront_per_row_multipass_kernelILi256ELi4ELi16ELi32EdEEv20rocsparse_direction_iiiiii21rocsparse_index_base_PKT3_PKiS7_S2_PS3_PiS9_.num_named_barrier, 0
	.set _ZN9rocsparseL44csr2gebsr_wavefront_per_row_multipass_kernelILi256ELi4ELi16ELi32EdEEv20rocsparse_direction_iiiiii21rocsparse_index_base_PKT3_PKiS7_S2_PS3_PiS9_.private_seg_size, 0
	.set _ZN9rocsparseL44csr2gebsr_wavefront_per_row_multipass_kernelILi256ELi4ELi16ELi32EdEEv20rocsparse_direction_iiiiii21rocsparse_index_base_PKT3_PKiS7_S2_PS3_PiS9_.uses_vcc, 1
	.set _ZN9rocsparseL44csr2gebsr_wavefront_per_row_multipass_kernelILi256ELi4ELi16ELi32EdEEv20rocsparse_direction_iiiiii21rocsparse_index_base_PKT3_PKiS7_S2_PS3_PiS9_.uses_flat_scratch, 0
	.set _ZN9rocsparseL44csr2gebsr_wavefront_per_row_multipass_kernelILi256ELi4ELi16ELi32EdEEv20rocsparse_direction_iiiiii21rocsparse_index_base_PKT3_PKiS7_S2_PS3_PiS9_.has_dyn_sized_stack, 0
	.set _ZN9rocsparseL44csr2gebsr_wavefront_per_row_multipass_kernelILi256ELi4ELi16ELi32EdEEv20rocsparse_direction_iiiiii21rocsparse_index_base_PKT3_PKiS7_S2_PS3_PiS9_.has_recursion, 0
	.set _ZN9rocsparseL44csr2gebsr_wavefront_per_row_multipass_kernelILi256ELi4ELi16ELi32EdEEv20rocsparse_direction_iiiiii21rocsparse_index_base_PKT3_PKiS7_S2_PS3_PiS9_.has_indirect_call, 0
	.section	.AMDGPU.csdata,"",@progbits
; Kernel info:
; codeLenInByte = 1640
; TotalNumSgprs: 26
; NumVgprs: 40
; ScratchSize: 0
; MemoryBound: 0
; FloatMode: 240
; IeeeMode: 1
; LDSByteSize: 4104 bytes/workgroup (compile time only)
; SGPRBlocks: 0
; VGPRBlocks: 2
; NumSGPRsForWavesPerEU: 26
; NumVGPRsForWavesPerEU: 40
; NamedBarCnt: 0
; Occupancy: 16
; WaveLimiterHint : 0
; COMPUTE_PGM_RSRC2:SCRATCH_EN: 0
; COMPUTE_PGM_RSRC2:USER_SGPR: 2
; COMPUTE_PGM_RSRC2:TRAP_HANDLER: 0
; COMPUTE_PGM_RSRC2:TGID_X_EN: 1
; COMPUTE_PGM_RSRC2:TGID_Y_EN: 0
; COMPUTE_PGM_RSRC2:TGID_Z_EN: 0
; COMPUTE_PGM_RSRC2:TIDIG_COMP_CNT: 0
	.section	.text._ZN9rocsparseL44csr2gebsr_wavefront_per_row_multipass_kernelILi256ELi4ELi32ELi64EdEEv20rocsparse_direction_iiiiii21rocsparse_index_base_PKT3_PKiS7_S2_PS3_PiS9_,"axG",@progbits,_ZN9rocsparseL44csr2gebsr_wavefront_per_row_multipass_kernelILi256ELi4ELi32ELi64EdEEv20rocsparse_direction_iiiiii21rocsparse_index_base_PKT3_PKiS7_S2_PS3_PiS9_,comdat
	.globl	_ZN9rocsparseL44csr2gebsr_wavefront_per_row_multipass_kernelILi256ELi4ELi32ELi64EdEEv20rocsparse_direction_iiiiii21rocsparse_index_base_PKT3_PKiS7_S2_PS3_PiS9_ ; -- Begin function _ZN9rocsparseL44csr2gebsr_wavefront_per_row_multipass_kernelILi256ELi4ELi32ELi64EdEEv20rocsparse_direction_iiiiii21rocsparse_index_base_PKT3_PKiS7_S2_PS3_PiS9_
	.p2align	8
	.type	_ZN9rocsparseL44csr2gebsr_wavefront_per_row_multipass_kernelILi256ELi4ELi32ELi64EdEEv20rocsparse_direction_iiiiii21rocsparse_index_base_PKT3_PKiS7_S2_PS3_PiS9_,@function
_ZN9rocsparseL44csr2gebsr_wavefront_per_row_multipass_kernelILi256ELi4ELi32ELi64EdEEv20rocsparse_direction_iiiiii21rocsparse_index_base_PKT3_PKiS7_S2_PS3_PiS9_: ; @_ZN9rocsparseL44csr2gebsr_wavefront_per_row_multipass_kernelILi256ELi4ELi32ELi64EdEEv20rocsparse_direction_iiiiii21rocsparse_index_base_PKT3_PKiS7_S2_PS3_PiS9_
; %bb.0:
	s_clause 0x1
	s_load_b128 s[4:7], s[0:1], 0xc
	s_load_b64 s[12:13], s[0:1], 0x0
	s_bfe_u32 s2, ttmp6, 0x4000c
	s_and_b32 s3, ttmp6, 15
	s_add_co_i32 s2, s2, 1
	s_getreg_b32 s8, hwreg(HW_REG_IB_STS2, 6, 4)
	s_mul_i32 s2, ttmp9, s2
	v_dual_lshrrev_b32 v20, 6, v0 :: v_dual_mov_b32 v2, 0
	s_add_co_i32 s3, s3, s2
	s_cmp_eq_u32 s8, 0
	v_bfe_u32 v1, v0, 4, 2
	s_cselect_b32 s2, ttmp9, s3
	s_clause 0x1
	s_load_b32 s18, s[0:1], 0x1c
	s_load_b64 s[8:9], s[0:1], 0x28
	v_lshl_or_b32 v3, s2, 2, v20
	v_mov_b32_e32 v30, 0
	s_wait_kmcnt 0x0
	s_delay_alu instid0(VALU_DEP_2) | instskip(SKIP_1) | instid1(VALU_DEP_2)
	v_mad_u32 v4, v3, s6, v1
	v_cmp_gt_i32_e32 vcc_lo, s6, v1
	v_cmp_gt_i32_e64 s2, s13, v4
	s_and_b32 s2, vcc_lo, s2
	s_delay_alu instid0(SALU_CYCLE_1)
	s_and_saveexec_b32 s3, s2
	s_cbranch_execz .LBB85_2
; %bb.1:
	global_load_b32 v5, v4, s[8:9] scale_offset
	s_wait_loadcnt 0x0
	v_subrev_nc_u32_e32 v30, s18, v5
.LBB85_2:
	s_or_b32 exec_lo, exec_lo, s3
	v_mov_b32_e32 v21, 0
	s_and_saveexec_b32 s3, s2
	s_cbranch_execz .LBB85_4
; %bb.3:
	global_load_b32 v4, v4, s[8:9] offset:4 scale_offset
	s_wait_loadcnt 0x0
	v_subrev_nc_u32_e32 v21, s18, v4
.LBB85_4:
	s_or_b32 exec_lo, exec_lo, s3
	s_load_b32 s19, s[0:1], 0x38
	s_mov_b32 s3, exec_lo
	v_cmpx_gt_i32_e64 s4, v3
	s_cbranch_execz .LBB85_6
; %bb.5:
	s_load_b64 s[8:9], s[0:1], 0x48
	s_wait_kmcnt 0x0
	global_load_b32 v2, v3, s[8:9] scale_offset
	s_wait_loadcnt 0x0
	v_subrev_nc_u32_e32 v2, s19, v2
.LBB85_6:
	s_or_b32 exec_lo, exec_lo, s3
	s_cmp_lt_i32 s5, 1
	s_cbranch_scc1 .LBB85_31
; %bb.7:
	v_mbcnt_lo_u32_b32 v10, -1, 0
	v_lshlrev_b32_e32 v3, 8, v1
	s_clause 0x3
	s_load_b64 s[2:3], s[0:1], 0x50
	s_load_b64 s[20:21], s[0:1], 0x40
	;; [unrolled: 1-line block ×4, first 2 shown]
	v_and_b32_e32 v22, 15, v0
	v_mul_lo_u32 v6, s7, v1
	v_xor_b32_e32 v4, 8, v10
	v_lshl_or_b32 v23, v20, 10, v3
	v_xor_b32_e32 v5, 1, v10
	v_xor_b32_e32 v3, 2, v10
	s_cmp_lg_u32 s12, 0
	s_wait_xcnt 0x0
	v_cmp_gt_i32_e64 s0, 32, v4
	v_xor_b32_e32 v0, 4, v10
	s_mov_b32 s13, 0
	s_cselect_b32 s4, -1, 0
	s_mov_b32 s12, s6
	v_cndmask_b32_e64 v4, v10, v4, s0
	v_cmp_gt_i32_e64 s0, 32, v0
	s_ashr_i32 s15, s7, 31
	s_mov_b32 s14, s7
	v_lshl_or_b32 v28, v10, 2, 60
	s_mul_u64 s[16:17], s[14:15], s[12:13]
	v_cndmask_b32_e64 v0, v10, v0, s0
	v_cmp_gt_i32_e64 s0, 32, v3
	v_lshlrev_b32_e32 v8, 3, v22
	s_abs_i32 s14, s7
	v_mov_b64_e32 v[12:13], 0
	v_bfrev_b32_e32 v33, 0.5
	v_cndmask_b32_e64 v3, v10, v3, s0
	v_cmp_gt_i32_e64 s0, 32, v5
	v_dual_lshlrev_b32 v24, 2, v4 :: v_dual_bitop2_b32 v34, -16, v22 bitop3:0x54
	s_delay_alu instid0(VALU_DEP_3) | instskip(NEXT) | instid1(VALU_DEP_3)
	v_dual_mov_b32 v35, 1 :: v_dual_lshlrev_b32 v26, 2, v3
	v_dual_cndmask_b32 v5, v10, v5, s0 :: v_dual_lshlrev_b32 v25, 2, v0
	v_dual_mov_b32 v1, 0 :: v_dual_lshlrev_b32 v0, 3, v1
	s_delay_alu instid0(VALU_DEP_2)
	v_dual_lshlrev_b32 v27, 2, v5 :: v_dual_bitop2_b32 v29, v23, v8 bitop3:0x54
	v_xor_b32_e32 v3, 16, v10
	s_cvt_f32_u32 s0, s14
	s_wait_kmcnt 0x0
	v_add_nc_u64_e32 v[4:5], s[20:21], v[0:1]
	v_or_b32_e32 v0, 32, v10
	v_dual_ashrrev_i32 v7, 31, v6 :: v_dual_mov_b32 v9, v1
	v_rcp_iflag_f32_e32 v11, s0
	v_mov_b32_e32 v37, 0
	s_delay_alu instid0(VALU_DEP_3) | instskip(NEXT) | instid1(VALU_DEP_3)
	v_cmp_gt_i32_e64 s0, 32, v0
	v_lshl_add_u64 v[6:7], v[6:7], 3, s[20:21]
	s_delay_alu instid0(VALU_DEP_2) | instskip(SKIP_1) | instid1(VALU_DEP_3)
	v_cndmask_b32_e64 v0, v10, v0, s0
	v_cmp_gt_i32_e64 s0, 32, v3
	v_add_nc_u64_e32 v[6:7], v[6:7], v[8:9]
	v_mul_lo_u32 v8, v22, s6
	s_delay_alu instid0(VALU_DEP_3) | instskip(SKIP_2) | instid1(VALU_DEP_3)
	v_cndmask_b32_e64 v3, v10, v3, s0
	v_readfirstlane_b32 s0, v11
	v_dual_lshlrev_b32 v31, 2, v0 :: v_dual_bitop2_b32 v0, 16, v22 bitop3:0x54
	v_dual_mov_b32 v11, v1 :: v_dual_lshlrev_b32 v32, 2, v3
	s_mul_f32 s12, s0, 0x4f7ffffe
	v_cmp_gt_u32_e64 s0, s7, v22
	v_lshl_add_u32 v10, s6, 4, v8
	s_sub_co_i32 s6, 0, s14
	s_cvt_u32_f32 s12, s12
	v_cmp_gt_u32_e64 s1, s7, v0
	s_delay_alu instid0(SALU_CYCLE_2)
	s_mul_i32 s20, s6, s12
	s_and_b32 s6, s0, vcc_lo
	s_mul_hi_u32 s0, s12, s20
	s_and_b32 s1, vcc_lo, s1
	s_add_co_i32 s12, s12, s0
	s_mov_b32 s20, s13
	s_branch .LBB85_10
.LBB85_8:                               ;   in Loop: Header=BB85_10 Depth=1
	s_wait_xcnt 0x0
	s_or_b32 exec_lo, exec_lo, s21
	v_mov_b32_e32 v0, 1
.LBB85_9:                               ;   in Loop: Header=BB85_10 Depth=1
	s_or_b32 exec_lo, exec_lo, s0
	ds_bpermute_b32 v3, v31, v36
	s_wait_storecnt_dscnt 0x0
	v_dual_add_nc_u32 v2, v0, v2 :: v_dual_min_i32 v3, v3, v36
	ds_bpermute_b32 v14, v32, v3
	s_wait_dscnt 0x0
	v_min_i32_e32 v3, v14, v3
	ds_bpermute_b32 v14, v24, v3
	s_wait_dscnt 0x0
	v_min_i32_e32 v3, v14, v3
	;; [unrolled: 3-line block ×5, first 2 shown]
	ds_bpermute_b32 v37, v33, v3
	s_wait_dscnt 0x0
	v_cmp_le_i32_e32 vcc_lo, s5, v37
	s_or_b32 s20, vcc_lo, s20
	s_delay_alu instid0(SALU_CYCLE_1)
	s_and_not1_b32 exec_lo, exec_lo, s20
	s_cbranch_execz .LBB85_31
.LBB85_10:                              ; =>This Loop Header: Depth=1
                                        ;     Child Loop BB85_11 Depth 2
                                        ;     Child Loop BB85_15 Depth 2
	v_dual_mov_b32 v0, v29 :: v_dual_mov_b32 v3, v34
	s_mov_b32 s0, 0
	ds_store_b8 v20, v1 offset:4096
.LBB85_11:                              ;   Parent Loop BB85_10 Depth=1
                                        ; =>  This Inner Loop Header: Depth=2
	v_add_co_u32 v3, s21, v3, 16
	s_xor_b32 s21, s21, -1
	ds_store_b64 v0, v[12:13]
	v_add_nc_u32_e32 v0, 0x80, v0
	s_and_b32 s21, exec_lo, s21
	s_delay_alu instid0(SALU_CYCLE_1) | instskip(NEXT) | instid1(SALU_CYCLE_1)
	s_or_b32 s0, s21, s0
	s_and_not1_b32 exec_lo, exec_lo, s0
	s_cbranch_execnz .LBB85_11
; %bb.12:                               ;   in Loop: Header=BB85_10 Depth=1
	s_or_b32 exec_lo, exec_lo, s0
	v_dual_add_nc_u32 v14, v30, v22 :: v_dual_mov_b32 v36, s5
	v_mov_b32_e32 v15, v21
	s_mov_b32 s21, exec_lo
	s_wait_dscnt 0x0
	s_delay_alu instid0(VALU_DEP_2)
	v_cmpx_lt_i32_e64 v14, v21
	s_cbranch_execz .LBB85_20
; %bb.13:                               ;   in Loop: Header=BB85_10 Depth=1
	v_mul_lo_u32 v3, v37, s7
	v_dual_mov_b32 v36, s5 :: v_dual_ashrrev_i32 v15, 31, v14
	s_mov_b32 s22, 0
	s_delay_alu instid0(VALU_DEP_1)
	v_lshl_add_u64 v[16:17], v[14:15], 2, s[10:11]
	v_lshl_add_u64 v[18:19], v[14:15], 3, s[8:9]
	v_mov_b32_e32 v15, v21
	s_branch .LBB85_15
.LBB85_14:                              ;   in Loop: Header=BB85_15 Depth=2
	s_wait_xcnt 0x0
	s_or_b32 exec_lo, exec_lo, s0
	v_add_nc_u32_e32 v14, 16, v14
	s_xor_b32 s23, vcc_lo, -1
	v_add_nc_u64_e32 v[16:17], 64, v[16:17]
	v_add_nc_u64_e32 v[18:19], 0x80, v[18:19]
	s_delay_alu instid0(VALU_DEP_3) | instskip(SKIP_1) | instid1(SALU_CYCLE_1)
	v_cmp_ge_i32_e64 s0, v14, v21
	s_or_b32 s0, s23, s0
	s_and_b32 s0, exec_lo, s0
	s_delay_alu instid0(SALU_CYCLE_1) | instskip(NEXT) | instid1(SALU_CYCLE_1)
	s_or_b32 s22, s0, s22
	s_and_not1_b32 exec_lo, exec_lo, s22
	s_cbranch_execz .LBB85_19
.LBB85_15:                              ;   Parent Loop BB85_10 Depth=1
                                        ; =>  This Inner Loop Header: Depth=2
	global_load_b32 v0, v[16:17], off
	s_wait_loadcnt 0x0
	v_subrev_nc_u32_e32 v30, s18, v0
	s_delay_alu instid0(VALU_DEP_1) | instskip(NEXT) | instid1(VALU_DEP_1)
	v_sub_nc_u32_e32 v0, 0, v30
	v_max_i32_e32 v0, v30, v0
	s_delay_alu instid0(VALU_DEP_1) | instskip(NEXT) | instid1(VALU_DEP_1)
	v_mul_u64_e32 v[38:39], s[12:13], v[0:1]
	v_mul_lo_u32 v38, v39, s14
	s_delay_alu instid0(VALU_DEP_1) | instskip(NEXT) | instid1(VALU_DEP_1)
	v_dual_sub_nc_u32 v0, v0, v38 :: v_dual_add_nc_u32 v38, 1, v39
	v_subrev_nc_u32_e32 v40, s14, v0
	v_cmp_le_u32_e32 vcc_lo, s14, v0
	s_delay_alu instid0(VALU_DEP_3) | instskip(NEXT) | instid1(VALU_DEP_3)
	v_cndmask_b32_e32 v38, v39, v38, vcc_lo
	v_dual_cndmask_b32 v0, v0, v40 :: v_dual_ashrrev_i32 v39, 31, v30
	s_delay_alu instid0(VALU_DEP_2) | instskip(NEXT) | instid1(VALU_DEP_2)
	v_add_nc_u32_e32 v40, 1, v38
	v_cmp_le_u32_e32 vcc_lo, s14, v0
	s_delay_alu instid0(VALU_DEP_2) | instskip(NEXT) | instid1(VALU_DEP_1)
	v_dual_cndmask_b32 v0, v38, v40, vcc_lo :: v_dual_bitop2_b32 v39, s15, v39 bitop3:0x14
	v_xor_b32_e32 v0, v0, v39
	s_delay_alu instid0(VALU_DEP_1) | instskip(NEXT) | instid1(VALU_DEP_1)
	v_dual_sub_nc_u32 v38, v0, v39 :: v_dual_mov_b32 v0, v15
	v_cmp_ne_u32_e64 s0, v38, v37
	v_cmp_eq_u32_e32 vcc_lo, v38, v37
	s_wait_xcnt 0x0
	s_and_saveexec_b32 s23, s0
	s_delay_alu instid0(SALU_CYCLE_1)
	s_xor_b32 s0, exec_lo, s23
; %bb.16:                               ;   in Loop: Header=BB85_15 Depth=2
	v_min_i32_e32 v36, v38, v36
                                        ; implicit-def: $vgpr30
                                        ; implicit-def: $vgpr0
; %bb.17:                               ;   in Loop: Header=BB85_15 Depth=2
	s_or_saveexec_b32 s0, s0
	v_mov_b32_e32 v15, v14
	s_xor_b32 exec_lo, exec_lo, s0
	s_cbranch_execz .LBB85_14
; %bb.18:                               ;   in Loop: Header=BB85_15 Depth=2
	global_load_b64 v[38:39], v[18:19], off
	v_sub_nc_u32_e32 v15, v30, v3
	s_delay_alu instid0(VALU_DEP_1)
	v_lshl_add_u32 v30, v15, 3, v23
	v_mov_b32_e32 v15, v0
	ds_store_b8 v20, v35 offset:4096
	s_wait_loadcnt 0x0
	ds_store_b64 v30, v[38:39]
	s_branch .LBB85_14
.LBB85_19:                              ;   in Loop: Header=BB85_10 Depth=1
	s_or_b32 exec_lo, exec_lo, s22
.LBB85_20:                              ;   in Loop: Header=BB85_10 Depth=1
	s_delay_alu instid0(SALU_CYCLE_1)
	s_or_b32 exec_lo, exec_lo, s21
	ds_bpermute_b32 v0, v24, v15
	s_wait_dscnt 0x0
	ds_load_u8 v14, v20 offset:4096
	v_min_i32_e32 v0, v0, v15
	ds_bpermute_b32 v3, v25, v0
	s_wait_dscnt 0x0
	v_min_i32_e32 v0, v3, v0
	ds_bpermute_b32 v3, v26, v0
	s_wait_dscnt 0x0
	v_min_i32_e32 v0, v3, v0
	ds_bpermute_b32 v3, v27, v0
	s_wait_dscnt 0x0
	v_min_i32_e32 v0, v3, v0
	ds_bpermute_b32 v30, v28, v0
	v_and_b32_e32 v0, 1, v14
	s_delay_alu instid0(VALU_DEP_1)
	v_cmp_eq_u32_e32 vcc_lo, 1, v0
	v_mov_b32_e32 v0, 0
	s_and_saveexec_b32 s0, vcc_lo
	s_cbranch_execz .LBB85_9
; %bb.21:                               ;   in Loop: Header=BB85_10 Depth=1
	v_dual_ashrrev_i32 v3, 31, v2 :: v_dual_add_nc_u32 v0, s19, v37
	s_delay_alu instid0(VALU_DEP_1) | instskip(SKIP_2) | instid1(VALU_DEP_1)
	v_mul_u64_e32 v[14:15], s[16:17], v[2:3]
	global_store_b32 v2, v0, s[2:3] scale_offset
	v_lshlrev_b64_e32 v[14:15], 3, v[14:15]
	v_add_nc_u64_e32 v[16:17], v[4:5], v[14:15]
	v_add_nc_u64_e32 v[14:15], v[6:7], v[14:15]
	s_wait_xcnt 0x0
	s_and_saveexec_b32 s21, s6
	s_cbranch_execz .LBB85_25
; %bb.22:                               ;   in Loop: Header=BB85_10 Depth=1
	ds_load_b64 v[18:19], v29
	s_and_b32 vcc_lo, exec_lo, s4
	s_cbranch_vccz .LBB85_28
; %bb.23:                               ;   in Loop: Header=BB85_10 Depth=1
	v_lshl_add_u64 v[38:39], v[8:9], 3, v[16:17]
	s_wait_dscnt 0x0
	global_store_b64 v[38:39], v[18:19], off
	s_cbranch_execnz .LBB85_25
.LBB85_24:                              ;   in Loop: Header=BB85_10 Depth=1
	s_wait_dscnt 0x0
	global_store_b64 v[14:15], v[18:19], off
.LBB85_25:                              ;   in Loop: Header=BB85_10 Depth=1
	s_wait_xcnt 0x0
	s_or_b32 exec_lo, exec_lo, s21
	s_and_saveexec_b32 s21, s1
	s_cbranch_execz .LBB85_8
; %bb.26:                               ;   in Loop: Header=BB85_10 Depth=1
	s_and_not1_b32 vcc_lo, exec_lo, s4
	s_cbranch_vccnz .LBB85_29
; %bb.27:                               ;   in Loop: Header=BB85_10 Depth=1
	s_wait_dscnt 0x0
	ds_load_b64 v[18:19], v29 offset:128
	v_lshl_add_u64 v[16:17], v[10:11], 3, v[16:17]
	s_wait_dscnt 0x0
	global_store_b64 v[16:17], v[18:19], off
	s_cbranch_execnz .LBB85_8
	s_branch .LBB85_30
.LBB85_28:                              ;   in Loop: Header=BB85_10 Depth=1
	s_branch .LBB85_24
.LBB85_29:                              ;   in Loop: Header=BB85_10 Depth=1
.LBB85_30:                              ;   in Loop: Header=BB85_10 Depth=1
	s_wait_xcnt 0x0
	ds_load_b64 v[16:17], v29 offset:128
	s_wait_dscnt 0x0
	global_store_b64 v[14:15], v[16:17], off offset:128
	s_branch .LBB85_8
.LBB85_31:
	s_endpgm
	.section	.rodata,"a",@progbits
	.p2align	6, 0x0
	.amdhsa_kernel _ZN9rocsparseL44csr2gebsr_wavefront_per_row_multipass_kernelILi256ELi4ELi32ELi64EdEEv20rocsparse_direction_iiiiii21rocsparse_index_base_PKT3_PKiS7_S2_PS3_PiS9_
		.amdhsa_group_segment_fixed_size 4104
		.amdhsa_private_segment_fixed_size 0
		.amdhsa_kernarg_size 88
		.amdhsa_user_sgpr_count 2
		.amdhsa_user_sgpr_dispatch_ptr 0
		.amdhsa_user_sgpr_queue_ptr 0
		.amdhsa_user_sgpr_kernarg_segment_ptr 1
		.amdhsa_user_sgpr_dispatch_id 0
		.amdhsa_user_sgpr_kernarg_preload_length 0
		.amdhsa_user_sgpr_kernarg_preload_offset 0
		.amdhsa_user_sgpr_private_segment_size 0
		.amdhsa_wavefront_size32 1
		.amdhsa_uses_dynamic_stack 0
		.amdhsa_enable_private_segment 0
		.amdhsa_system_sgpr_workgroup_id_x 1
		.amdhsa_system_sgpr_workgroup_id_y 0
		.amdhsa_system_sgpr_workgroup_id_z 0
		.amdhsa_system_sgpr_workgroup_info 0
		.amdhsa_system_vgpr_workitem_id 0
		.amdhsa_next_free_vgpr 41
		.amdhsa_next_free_sgpr 24
		.amdhsa_named_barrier_count 0
		.amdhsa_reserve_vcc 1
		.amdhsa_float_round_mode_32 0
		.amdhsa_float_round_mode_16_64 0
		.amdhsa_float_denorm_mode_32 3
		.amdhsa_float_denorm_mode_16_64 3
		.amdhsa_fp16_overflow 0
		.amdhsa_memory_ordered 1
		.amdhsa_forward_progress 1
		.amdhsa_inst_pref_size 14
		.amdhsa_round_robin_scheduling 0
		.amdhsa_exception_fp_ieee_invalid_op 0
		.amdhsa_exception_fp_denorm_src 0
		.amdhsa_exception_fp_ieee_div_zero 0
		.amdhsa_exception_fp_ieee_overflow 0
		.amdhsa_exception_fp_ieee_underflow 0
		.amdhsa_exception_fp_ieee_inexact 0
		.amdhsa_exception_int_div_zero 0
	.end_amdhsa_kernel
	.section	.text._ZN9rocsparseL44csr2gebsr_wavefront_per_row_multipass_kernelILi256ELi4ELi32ELi64EdEEv20rocsparse_direction_iiiiii21rocsparse_index_base_PKT3_PKiS7_S2_PS3_PiS9_,"axG",@progbits,_ZN9rocsparseL44csr2gebsr_wavefront_per_row_multipass_kernelILi256ELi4ELi32ELi64EdEEv20rocsparse_direction_iiiiii21rocsparse_index_base_PKT3_PKiS7_S2_PS3_PiS9_,comdat
.Lfunc_end85:
	.size	_ZN9rocsparseL44csr2gebsr_wavefront_per_row_multipass_kernelILi256ELi4ELi32ELi64EdEEv20rocsparse_direction_iiiiii21rocsparse_index_base_PKT3_PKiS7_S2_PS3_PiS9_, .Lfunc_end85-_ZN9rocsparseL44csr2gebsr_wavefront_per_row_multipass_kernelILi256ELi4ELi32ELi64EdEEv20rocsparse_direction_iiiiii21rocsparse_index_base_PKT3_PKiS7_S2_PS3_PiS9_
                                        ; -- End function
	.set _ZN9rocsparseL44csr2gebsr_wavefront_per_row_multipass_kernelILi256ELi4ELi32ELi64EdEEv20rocsparse_direction_iiiiii21rocsparse_index_base_PKT3_PKiS7_S2_PS3_PiS9_.num_vgpr, 41
	.set _ZN9rocsparseL44csr2gebsr_wavefront_per_row_multipass_kernelILi256ELi4ELi32ELi64EdEEv20rocsparse_direction_iiiiii21rocsparse_index_base_PKT3_PKiS7_S2_PS3_PiS9_.num_agpr, 0
	.set _ZN9rocsparseL44csr2gebsr_wavefront_per_row_multipass_kernelILi256ELi4ELi32ELi64EdEEv20rocsparse_direction_iiiiii21rocsparse_index_base_PKT3_PKiS7_S2_PS3_PiS9_.numbered_sgpr, 24
	.set _ZN9rocsparseL44csr2gebsr_wavefront_per_row_multipass_kernelILi256ELi4ELi32ELi64EdEEv20rocsparse_direction_iiiiii21rocsparse_index_base_PKT3_PKiS7_S2_PS3_PiS9_.num_named_barrier, 0
	.set _ZN9rocsparseL44csr2gebsr_wavefront_per_row_multipass_kernelILi256ELi4ELi32ELi64EdEEv20rocsparse_direction_iiiiii21rocsparse_index_base_PKT3_PKiS7_S2_PS3_PiS9_.private_seg_size, 0
	.set _ZN9rocsparseL44csr2gebsr_wavefront_per_row_multipass_kernelILi256ELi4ELi32ELi64EdEEv20rocsparse_direction_iiiiii21rocsparse_index_base_PKT3_PKiS7_S2_PS3_PiS9_.uses_vcc, 1
	.set _ZN9rocsparseL44csr2gebsr_wavefront_per_row_multipass_kernelILi256ELi4ELi32ELi64EdEEv20rocsparse_direction_iiiiii21rocsparse_index_base_PKT3_PKiS7_S2_PS3_PiS9_.uses_flat_scratch, 0
	.set _ZN9rocsparseL44csr2gebsr_wavefront_per_row_multipass_kernelILi256ELi4ELi32ELi64EdEEv20rocsparse_direction_iiiiii21rocsparse_index_base_PKT3_PKiS7_S2_PS3_PiS9_.has_dyn_sized_stack, 0
	.set _ZN9rocsparseL44csr2gebsr_wavefront_per_row_multipass_kernelILi256ELi4ELi32ELi64EdEEv20rocsparse_direction_iiiiii21rocsparse_index_base_PKT3_PKiS7_S2_PS3_PiS9_.has_recursion, 0
	.set _ZN9rocsparseL44csr2gebsr_wavefront_per_row_multipass_kernelILi256ELi4ELi32ELi64EdEEv20rocsparse_direction_iiiiii21rocsparse_index_base_PKT3_PKiS7_S2_PS3_PiS9_.has_indirect_call, 0
	.section	.AMDGPU.csdata,"",@progbits
; Kernel info:
; codeLenInByte = 1692
; TotalNumSgprs: 26
; NumVgprs: 41
; ScratchSize: 0
; MemoryBound: 0
; FloatMode: 240
; IeeeMode: 1
; LDSByteSize: 4104 bytes/workgroup (compile time only)
; SGPRBlocks: 0
; VGPRBlocks: 2
; NumSGPRsForWavesPerEU: 26
; NumVGPRsForWavesPerEU: 41
; NamedBarCnt: 0
; Occupancy: 16
; WaveLimiterHint : 0
; COMPUTE_PGM_RSRC2:SCRATCH_EN: 0
; COMPUTE_PGM_RSRC2:USER_SGPR: 2
; COMPUTE_PGM_RSRC2:TRAP_HANDLER: 0
; COMPUTE_PGM_RSRC2:TGID_X_EN: 1
; COMPUTE_PGM_RSRC2:TGID_Y_EN: 0
; COMPUTE_PGM_RSRC2:TGID_Z_EN: 0
; COMPUTE_PGM_RSRC2:TIDIG_COMP_CNT: 0
	.section	.text._ZN9rocsparseL44csr2gebsr_wavefront_per_row_multipass_kernelILi256ELi4ELi32ELi32EdEEv20rocsparse_direction_iiiiii21rocsparse_index_base_PKT3_PKiS7_S2_PS3_PiS9_,"axG",@progbits,_ZN9rocsparseL44csr2gebsr_wavefront_per_row_multipass_kernelILi256ELi4ELi32ELi32EdEEv20rocsparse_direction_iiiiii21rocsparse_index_base_PKT3_PKiS7_S2_PS3_PiS9_,comdat
	.globl	_ZN9rocsparseL44csr2gebsr_wavefront_per_row_multipass_kernelILi256ELi4ELi32ELi32EdEEv20rocsparse_direction_iiiiii21rocsparse_index_base_PKT3_PKiS7_S2_PS3_PiS9_ ; -- Begin function _ZN9rocsparseL44csr2gebsr_wavefront_per_row_multipass_kernelILi256ELi4ELi32ELi32EdEEv20rocsparse_direction_iiiiii21rocsparse_index_base_PKT3_PKiS7_S2_PS3_PiS9_
	.p2align	8
	.type	_ZN9rocsparseL44csr2gebsr_wavefront_per_row_multipass_kernelILi256ELi4ELi32ELi32EdEEv20rocsparse_direction_iiiiii21rocsparse_index_base_PKT3_PKiS7_S2_PS3_PiS9_,@function
_ZN9rocsparseL44csr2gebsr_wavefront_per_row_multipass_kernelILi256ELi4ELi32ELi32EdEEv20rocsparse_direction_iiiiii21rocsparse_index_base_PKT3_PKiS7_S2_PS3_PiS9_: ; @_ZN9rocsparseL44csr2gebsr_wavefront_per_row_multipass_kernelILi256ELi4ELi32ELi32EdEEv20rocsparse_direction_iiiiii21rocsparse_index_base_PKT3_PKiS7_S2_PS3_PiS9_
; %bb.0:
	s_clause 0x1
	s_load_b128 s[4:7], s[0:1], 0xc
	s_load_b64 s[14:15], s[0:1], 0x0
	s_bfe_u32 s2, ttmp6, 0x4000c
	s_and_b32 s3, ttmp6, 15
	s_add_co_i32 s2, s2, 1
	s_getreg_b32 s8, hwreg(HW_REG_IB_STS2, 6, 4)
	s_mul_i32 s2, ttmp9, s2
	v_dual_lshrrev_b32 v24, 5, v0 :: v_dual_mov_b32 v2, 0
	s_add_co_i32 s3, s3, s2
	s_cmp_eq_u32 s8, 0
	v_bfe_u32 v3, v0, 3, 2
	s_cselect_b32 s2, ttmp9, s3
	s_clause 0x1
	s_load_b32 s20, s[0:1], 0x1c
	s_load_b64 s[8:9], s[0:1], 0x28
	v_lshl_or_b32 v1, s2, 3, v24
	v_mov_b32_e32 v34, 0
	s_wait_kmcnt 0x0
	s_delay_alu instid0(VALU_DEP_2) | instskip(SKIP_1) | instid1(VALU_DEP_2)
	v_mad_u32 v4, v1, s6, v3
	v_cmp_gt_i32_e32 vcc_lo, s6, v3
	v_cmp_gt_i32_e64 s2, s15, v4
	s_and_b32 s2, vcc_lo, s2
	s_delay_alu instid0(SALU_CYCLE_1)
	s_and_saveexec_b32 s3, s2
	s_cbranch_execz .LBB86_2
; %bb.1:
	global_load_b32 v5, v4, s[8:9] scale_offset
	s_wait_loadcnt 0x0
	v_subrev_nc_u32_e32 v34, s20, v5
.LBB86_2:
	s_or_b32 exec_lo, exec_lo, s3
	v_mov_b32_e32 v25, 0
	s_and_saveexec_b32 s3, s2
	s_cbranch_execz .LBB86_4
; %bb.3:
	global_load_b32 v4, v4, s[8:9] offset:4 scale_offset
	s_wait_loadcnt 0x0
	v_subrev_nc_u32_e32 v25, s20, v4
.LBB86_4:
	s_or_b32 exec_lo, exec_lo, s3
	s_load_b32 s21, s[0:1], 0x38
	s_mov_b32 s3, exec_lo
	v_cmpx_gt_i32_e64 s4, v1
	s_cbranch_execz .LBB86_6
; %bb.5:
	s_load_b64 s[8:9], s[0:1], 0x48
	s_wait_kmcnt 0x0
	global_load_b32 v1, v1, s[8:9] scale_offset
	s_wait_loadcnt 0x0
	v_subrev_nc_u32_e32 v2, s21, v1
.LBB86_6:
	s_or_b32 exec_lo, exec_lo, s3
	s_cmp_lt_i32 s5, 1
	s_cbranch_scc1 .LBB86_41
; %bb.7:
	v_dual_lshlrev_b32 v1, 8, v3 :: v_dual_bitop2_b32 v26, 7, v0 bitop3:0x40
	v_mbcnt_lo_u32_b32 v10, -1, 0
	s_clause 0x3
	s_load_b64 s[8:9], s[0:1], 0x50
	s_load_b64 s[2:3], s[0:1], 0x40
	;; [unrolled: 1-line block ×4, first 2 shown]
	s_cmp_lg_u32 s14, 0
	v_lshl_or_b32 v27, v24, 10, v1
	s_mov_b32 s15, 0
	v_xor_b32_e32 v1, 2, v10
	v_xor_b32_e32 v0, 4, v10
	s_cselect_b32 s4, -1, 0
	s_mov_b32 s14, s6
	s_ashr_i32 s17, s7, 31
	s_mov_b32 s16, s7
	s_wait_xcnt 0x0
	v_cmp_gt_i32_e64 s0, 32, v0
	s_mul_u64 s[18:19], s[16:17], s[14:15]
	s_abs_i32 s16, s7
	v_lshl_or_b32 v31, v10, 2, 28
	s_cvt_f32_u32 s1, s16
	v_dual_cndmask_b32 v0, v10, v0, s0 :: v_dual_bitop2_b32 v4, 1, v10 bitop3:0x14
	v_cmp_gt_i32_e64 s0, 32, v1
	v_mov_b64_e32 v[16:17], 0
	v_dual_mov_b32 v38, 1 :: v_dual_bitop2_b32 v37, -8, v26 bitop3:0x54
	s_delay_alu instid0(VALU_DEP_3) | instskip(SKIP_2) | instid1(VALU_DEP_3)
	v_dual_lshlrev_b32 v28, 2, v0 :: v_dual_cndmask_b32 v1, v10, v1, s0
	v_cmp_gt_i32_e64 s0, 32, v4
	v_dual_lshlrev_b32 v0, 3, v3 :: v_dual_bitop2_b32 v11, 16, v10 bitop3:0x14
	v_dual_mov_b32 v40, 0 :: v_dual_lshlrev_b32 v29, 2, v1
	s_delay_alu instid0(VALU_DEP_3) | instskip(SKIP_2) | instid1(VALU_DEP_3)
	v_cndmask_b32_e64 v5, v10, v4, s0
	v_mul_lo_u32 v4, s7, v3
	v_dual_mov_b32 v1, 0 :: v_dual_lshlrev_b32 v6, 3, v26
	v_dual_lshlrev_b32 v30, 2, v5 :: v_dual_bitop2_b32 v3, 8, v10 bitop3:0x14
	v_cmp_gt_i32_e64 s0, 32, v11
	s_delay_alu instid0(VALU_DEP_3)
	v_dual_mov_b32 v7, v1 :: v_dual_bitop2_b32 v32, v27, v6 bitop3:0x54
	v_mov_b32_e32 v36, 0x7c
	s_mov_b32 s22, s15
	v_dual_cndmask_b32 v11, v10, v11, s0 :: v_dual_ashrrev_i32 v5, 31, v4
	v_cmp_gt_i32_e64 s0, 32, v3
	v_dual_mov_b32 v13, v1 :: v_dual_mov_b32 v15, v1
	s_wait_kmcnt 0x0
	s_delay_alu instid0(VALU_DEP_3)
	v_lshl_add_u64 v[8:9], v[4:5], 3, s[2:3]
	v_add_nc_u64_e32 v[4:5], s[2:3], v[0:1]
	v_cndmask_b32_e64 v0, v10, v3, s0
	v_rcp_iflag_f32_e32 v3, s1
	v_cmp_gt_u32_e64 s0, s7, v26
	v_add_nc_u64_e32 v[6:7], v[8:9], v[6:7]
	v_mul_lo_u32 v8, v26, s6
	s_lshl_b32 s6, s6, 3
	v_dual_mov_b32 v9, v1 :: v_dual_lshlrev_b32 v33, 2, v11
	v_lshlrev_b32_e32 v35, 2, v0
	v_readfirstlane_b32 s3, v3
	v_dual_mov_b32 v11, v1 :: v_dual_bitop2_b32 v0, 8, v26 bitop3:0x54
	s_mul_f32 s14, s3, 0x4f7ffffe
	v_add_nc_u32_e32 v10, s6, v8
	s_delay_alu instid0(VALU_DEP_2) | instskip(SKIP_4) | instid1(VALU_DEP_3)
	v_cmp_gt_u32_e64 s1, s7, v0
	v_or_b32_e32 v0, 16, v26
	s_cvt_u32_f32 s14, s14
	v_add_nc_u32_e32 v12, s6, v10
	v_or_b32_e32 v3, 24, v26
	v_cmp_gt_u32_e64 s2, s7, v0
	s_and_b32 s1, vcc_lo, s1
	v_add_nc_u32_e32 v14, s6, v12
	s_and_b32 s6, s0, vcc_lo
	s_sub_co_i32 s0, 0, s16
	v_cmp_gt_u32_e64 s3, s7, v3
	s_mul_i32 s0, s0, s14
	s_and_b32 s2, vcc_lo, s2
	s_mul_hi_u32 s0, s14, s0
	s_and_b32 s3, vcc_lo, s3
	s_add_co_i32 s14, s14, s0
	s_branch .LBB86_10
.LBB86_8:                               ;   in Loop: Header=BB86_10 Depth=1
	s_wait_xcnt 0x0
	s_or_b32 exec_lo, exec_lo, s23
	v_mov_b32_e32 v0, 1
.LBB86_9:                               ;   in Loop: Header=BB86_10 Depth=1
	s_or_b32 exec_lo, exec_lo, s0
	ds_bpermute_b32 v3, v33, v39
	s_wait_storecnt_dscnt 0x0
	v_dual_add_nc_u32 v2, v0, v2 :: v_dual_min_i32 v3, v3, v39
	ds_bpermute_b32 v18, v35, v3
	s_wait_dscnt 0x0
	v_min_i32_e32 v3, v18, v3
	ds_bpermute_b32 v18, v28, v3
	s_wait_dscnt 0x0
	v_min_i32_e32 v3, v18, v3
	;; [unrolled: 3-line block ×4, first 2 shown]
	ds_bpermute_b32 v40, v36, v3
	s_wait_dscnt 0x0
	v_cmp_le_i32_e32 vcc_lo, s5, v40
	s_or_b32 s22, vcc_lo, s22
	s_delay_alu instid0(SALU_CYCLE_1)
	s_and_not1_b32 exec_lo, exec_lo, s22
	s_cbranch_execz .LBB86_41
.LBB86_10:                              ; =>This Loop Header: Depth=1
                                        ;     Child Loop BB86_11 Depth 2
                                        ;     Child Loop BB86_15 Depth 2
	v_dual_mov_b32 v0, v32 :: v_dual_mov_b32 v3, v37
	s_mov_b32 s0, 0
	ds_store_b8 v24, v1 offset:8192
.LBB86_11:                              ;   Parent Loop BB86_10 Depth=1
                                        ; =>  This Inner Loop Header: Depth=2
	v_add_nc_u32_e32 v3, 8, v3
	ds_store_b64 v0, v[16:17]
	v_add_nc_u32_e32 v0, 64, v0
	v_cmp_lt_u32_e32 vcc_lo, 23, v3
	s_or_b32 s0, vcc_lo, s0
	s_delay_alu instid0(SALU_CYCLE_1)
	s_and_not1_b32 exec_lo, exec_lo, s0
	s_cbranch_execnz .LBB86_11
; %bb.12:                               ;   in Loop: Header=BB86_10 Depth=1
	s_or_b32 exec_lo, exec_lo, s0
	v_dual_mov_b32 v39, s5 :: v_dual_add_nc_u32 v18, v34, v26
	v_mov_b32_e32 v19, v25
	s_mov_b32 s23, exec_lo
	s_wait_dscnt 0x0
	s_delay_alu instid0(VALU_DEP_2)
	v_cmpx_lt_i32_e64 v18, v25
	s_cbranch_execz .LBB86_20
; %bb.13:                               ;   in Loop: Header=BB86_10 Depth=1
	v_mul_lo_u32 v3, v40, s7
	v_dual_ashrrev_i32 v19, 31, v18 :: v_dual_mov_b32 v39, s5
	s_mov_b32 s24, 0
	s_delay_alu instid0(VALU_DEP_1)
	v_lshl_add_u64 v[20:21], v[18:19], 2, s[12:13]
	v_lshl_add_u64 v[22:23], v[18:19], 3, s[10:11]
	v_mov_b32_e32 v19, v25
	s_branch .LBB86_15
.LBB86_14:                              ;   in Loop: Header=BB86_15 Depth=2
	s_wait_xcnt 0x0
	s_or_b32 exec_lo, exec_lo, s0
	v_add_nc_u32_e32 v18, 8, v18
	s_xor_b32 s25, vcc_lo, -1
	v_add_nc_u64_e32 v[20:21], 32, v[20:21]
	v_add_nc_u64_e32 v[22:23], 64, v[22:23]
	s_delay_alu instid0(VALU_DEP_3) | instskip(SKIP_1) | instid1(SALU_CYCLE_1)
	v_cmp_ge_i32_e64 s0, v18, v25
	s_or_b32 s0, s25, s0
	s_and_b32 s0, exec_lo, s0
	s_delay_alu instid0(SALU_CYCLE_1) | instskip(NEXT) | instid1(SALU_CYCLE_1)
	s_or_b32 s24, s0, s24
	s_and_not1_b32 exec_lo, exec_lo, s24
	s_cbranch_execz .LBB86_19
.LBB86_15:                              ;   Parent Loop BB86_10 Depth=1
                                        ; =>  This Inner Loop Header: Depth=2
	global_load_b32 v0, v[20:21], off
	s_wait_loadcnt 0x0
	v_subrev_nc_u32_e32 v34, s20, v0
	s_delay_alu instid0(VALU_DEP_1) | instskip(NEXT) | instid1(VALU_DEP_1)
	v_sub_nc_u32_e32 v0, 0, v34
	v_max_i32_e32 v0, v34, v0
	s_delay_alu instid0(VALU_DEP_1) | instskip(NEXT) | instid1(VALU_DEP_1)
	v_mul_u64_e32 v[42:43], s[14:15], v[0:1]
	v_mul_lo_u32 v41, v43, s16
	s_delay_alu instid0(VALU_DEP_1) | instskip(NEXT) | instid1(VALU_DEP_1)
	v_dual_sub_nc_u32 v0, v0, v41 :: v_dual_add_nc_u32 v41, 1, v43
	v_cmp_le_u32_e32 vcc_lo, s16, v0
	s_delay_alu instid0(VALU_DEP_2) | instskip(SKIP_1) | instid1(VALU_DEP_1)
	v_dual_cndmask_b32 v41, v43, v41, vcc_lo :: v_dual_ashrrev_i32 v43, 31, v34
	v_subrev_nc_u32_e32 v42, s16, v0
	v_dual_cndmask_b32 v0, v0, v42, vcc_lo :: v_dual_add_nc_u32 v42, 1, v41
	s_delay_alu instid0(VALU_DEP_1) | instskip(NEXT) | instid1(VALU_DEP_2)
	v_cmp_le_u32_e32 vcc_lo, s16, v0
	v_dual_cndmask_b32 v0, v41, v42, vcc_lo :: v_dual_bitop2_b32 v43, s17, v43 bitop3:0x14
	s_delay_alu instid0(VALU_DEP_1) | instskip(NEXT) | instid1(VALU_DEP_1)
	v_xor_b32_e32 v0, v0, v43
	v_dual_mov_b32 v0, v19 :: v_dual_sub_nc_u32 v41, v0, v43
	s_delay_alu instid0(VALU_DEP_1) | instskip(SKIP_3) | instid1(SALU_CYCLE_1)
	v_cmp_ne_u32_e64 s0, v41, v40
	v_cmp_eq_u32_e32 vcc_lo, v41, v40
	s_wait_xcnt 0x0
	s_and_saveexec_b32 s25, s0
	s_xor_b32 s0, exec_lo, s25
; %bb.16:                               ;   in Loop: Header=BB86_15 Depth=2
	v_min_i32_e32 v39, v41, v39
                                        ; implicit-def: $vgpr34
                                        ; implicit-def: $vgpr0
; %bb.17:                               ;   in Loop: Header=BB86_15 Depth=2
	s_or_saveexec_b32 s0, s0
	v_mov_b32_e32 v19, v18
	s_xor_b32 exec_lo, exec_lo, s0
	s_cbranch_execz .LBB86_14
; %bb.18:                               ;   in Loop: Header=BB86_15 Depth=2
	global_load_b64 v[42:43], v[22:23], off
	v_sub_nc_u32_e32 v19, v34, v3
	s_delay_alu instid0(VALU_DEP_1)
	v_lshl_add_u32 v34, v19, 3, v27
	v_mov_b32_e32 v19, v0
	ds_store_b8 v24, v38 offset:8192
	s_wait_loadcnt 0x0
	ds_store_b64 v34, v[42:43]
	s_branch .LBB86_14
.LBB86_19:                              ;   in Loop: Header=BB86_10 Depth=1
	s_or_b32 exec_lo, exec_lo, s24
.LBB86_20:                              ;   in Loop: Header=BB86_10 Depth=1
	s_delay_alu instid0(SALU_CYCLE_1)
	s_or_b32 exec_lo, exec_lo, s23
	ds_bpermute_b32 v0, v28, v19
	s_wait_dscnt 0x0
	ds_load_u8 v18, v24 offset:8192
	v_min_i32_e32 v0, v0, v19
	ds_bpermute_b32 v3, v29, v0
	s_wait_dscnt 0x0
	v_min_i32_e32 v0, v3, v0
	ds_bpermute_b32 v3, v30, v0
	s_wait_dscnt 0x0
	v_min_i32_e32 v0, v3, v0
	ds_bpermute_b32 v34, v31, v0
	v_and_b32_e32 v0, 1, v18
	s_delay_alu instid0(VALU_DEP_1)
	v_cmp_eq_u32_e32 vcc_lo, 1, v0
	v_mov_b32_e32 v0, 0
	s_and_saveexec_b32 s0, vcc_lo
	s_cbranch_execz .LBB86_9
; %bb.21:                               ;   in Loop: Header=BB86_10 Depth=1
	v_dual_ashrrev_i32 v3, 31, v2 :: v_dual_add_nc_u32 v0, s21, v40
	s_delay_alu instid0(VALU_DEP_1) | instskip(SKIP_2) | instid1(VALU_DEP_1)
	v_mul_u64_e32 v[18:19], s[18:19], v[2:3]
	global_store_b32 v2, v0, s[8:9] scale_offset
	v_lshlrev_b64_e32 v[18:19], 3, v[18:19]
	v_add_nc_u64_e32 v[20:21], v[4:5], v[18:19]
	v_add_nc_u64_e32 v[18:19], v[6:7], v[18:19]
	s_wait_xcnt 0x0
	s_and_saveexec_b32 s23, s6
	s_cbranch_execz .LBB86_25
; %bb.22:                               ;   in Loop: Header=BB86_10 Depth=1
	ds_load_b64 v[22:23], v32
	s_and_b32 vcc_lo, exec_lo, s4
	s_cbranch_vccz .LBB86_36
; %bb.23:                               ;   in Loop: Header=BB86_10 Depth=1
	v_lshl_add_u64 v[40:41], v[8:9], 3, v[20:21]
	s_wait_dscnt 0x0
	global_store_b64 v[40:41], v[22:23], off
	s_cbranch_execnz .LBB86_25
.LBB86_24:                              ;   in Loop: Header=BB86_10 Depth=1
	s_wait_dscnt 0x0
	global_store_b64 v[18:19], v[22:23], off
.LBB86_25:                              ;   in Loop: Header=BB86_10 Depth=1
	s_wait_xcnt 0x0
	s_or_b32 exec_lo, exec_lo, s23
	s_and_saveexec_b32 s23, s1
	s_cbranch_execz .LBB86_29
; %bb.26:                               ;   in Loop: Header=BB86_10 Depth=1
	s_and_not1_b32 vcc_lo, exec_lo, s4
	s_cbranch_vccnz .LBB86_37
; %bb.27:                               ;   in Loop: Header=BB86_10 Depth=1
	s_wait_dscnt 0x0
	ds_load_b64 v[22:23], v32 offset:64
	v_lshl_add_u64 v[40:41], v[10:11], 3, v[20:21]
	s_wait_dscnt 0x0
	global_store_b64 v[40:41], v[22:23], off
	s_cbranch_execnz .LBB86_29
.LBB86_28:                              ;   in Loop: Header=BB86_10 Depth=1
	s_wait_dscnt 0x0
	s_wait_xcnt 0x0
	ds_load_b64 v[22:23], v32 offset:64
	s_wait_dscnt 0x0
	global_store_b64 v[18:19], v[22:23], off offset:64
.LBB86_29:                              ;   in Loop: Header=BB86_10 Depth=1
	s_wait_xcnt 0x0
	s_or_b32 exec_lo, exec_lo, s23
	s_and_saveexec_b32 s23, s2
	s_cbranch_execz .LBB86_33
; %bb.30:                               ;   in Loop: Header=BB86_10 Depth=1
	s_and_not1_b32 vcc_lo, exec_lo, s4
	s_cbranch_vccnz .LBB86_38
; %bb.31:                               ;   in Loop: Header=BB86_10 Depth=1
	s_wait_dscnt 0x0
	ds_load_b64 v[22:23], v32 offset:128
	v_lshl_add_u64 v[40:41], v[12:13], 3, v[20:21]
	s_wait_dscnt 0x0
	global_store_b64 v[40:41], v[22:23], off
	s_cbranch_execnz .LBB86_33
.LBB86_32:                              ;   in Loop: Header=BB86_10 Depth=1
	s_wait_dscnt 0x0
	s_wait_xcnt 0x0
	ds_load_b64 v[22:23], v32 offset:128
	s_wait_dscnt 0x0
	global_store_b64 v[18:19], v[22:23], off offset:128
.LBB86_33:                              ;   in Loop: Header=BB86_10 Depth=1
	s_wait_xcnt 0x0
	s_or_b32 exec_lo, exec_lo, s23
	s_and_saveexec_b32 s23, s3
	s_cbranch_execz .LBB86_8
; %bb.34:                               ;   in Loop: Header=BB86_10 Depth=1
	s_and_not1_b32 vcc_lo, exec_lo, s4
	s_cbranch_vccnz .LBB86_39
; %bb.35:                               ;   in Loop: Header=BB86_10 Depth=1
	s_wait_dscnt 0x0
	ds_load_b64 v[22:23], v32 offset:192
	v_lshl_add_u64 v[20:21], v[14:15], 3, v[20:21]
	s_wait_dscnt 0x0
	global_store_b64 v[20:21], v[22:23], off
	s_cbranch_execnz .LBB86_8
	s_branch .LBB86_40
.LBB86_36:                              ;   in Loop: Header=BB86_10 Depth=1
	s_branch .LBB86_24
.LBB86_37:                              ;   in Loop: Header=BB86_10 Depth=1
	s_branch .LBB86_28
.LBB86_38:                              ;   in Loop: Header=BB86_10 Depth=1
	s_branch .LBB86_32
.LBB86_39:                              ;   in Loop: Header=BB86_10 Depth=1
.LBB86_40:                              ;   in Loop: Header=BB86_10 Depth=1
	s_wait_xcnt 0x0
	ds_load_b64 v[20:21], v32 offset:192
	s_wait_dscnt 0x0
	global_store_b64 v[18:19], v[20:21], off offset:192
	s_branch .LBB86_8
.LBB86_41:
	s_endpgm
	.section	.rodata,"a",@progbits
	.p2align	6, 0x0
	.amdhsa_kernel _ZN9rocsparseL44csr2gebsr_wavefront_per_row_multipass_kernelILi256ELi4ELi32ELi32EdEEv20rocsparse_direction_iiiiii21rocsparse_index_base_PKT3_PKiS7_S2_PS3_PiS9_
		.amdhsa_group_segment_fixed_size 8200
		.amdhsa_private_segment_fixed_size 0
		.amdhsa_kernarg_size 88
		.amdhsa_user_sgpr_count 2
		.amdhsa_user_sgpr_dispatch_ptr 0
		.amdhsa_user_sgpr_queue_ptr 0
		.amdhsa_user_sgpr_kernarg_segment_ptr 1
		.amdhsa_user_sgpr_dispatch_id 0
		.amdhsa_user_sgpr_kernarg_preload_length 0
		.amdhsa_user_sgpr_kernarg_preload_offset 0
		.amdhsa_user_sgpr_private_segment_size 0
		.amdhsa_wavefront_size32 1
		.amdhsa_uses_dynamic_stack 0
		.amdhsa_enable_private_segment 0
		.amdhsa_system_sgpr_workgroup_id_x 1
		.amdhsa_system_sgpr_workgroup_id_y 0
		.amdhsa_system_sgpr_workgroup_id_z 0
		.amdhsa_system_sgpr_workgroup_info 0
		.amdhsa_system_vgpr_workitem_id 0
		.amdhsa_next_free_vgpr 44
		.amdhsa_next_free_sgpr 26
		.amdhsa_named_barrier_count 0
		.amdhsa_reserve_vcc 1
		.amdhsa_float_round_mode_32 0
		.amdhsa_float_round_mode_16_64 0
		.amdhsa_float_denorm_mode_32 3
		.amdhsa_float_denorm_mode_16_64 3
		.amdhsa_fp16_overflow 0
		.amdhsa_memory_ordered 1
		.amdhsa_forward_progress 1
		.amdhsa_inst_pref_size 15
		.amdhsa_round_robin_scheduling 0
		.amdhsa_exception_fp_ieee_invalid_op 0
		.amdhsa_exception_fp_denorm_src 0
		.amdhsa_exception_fp_ieee_div_zero 0
		.amdhsa_exception_fp_ieee_overflow 0
		.amdhsa_exception_fp_ieee_underflow 0
		.amdhsa_exception_fp_ieee_inexact 0
		.amdhsa_exception_int_div_zero 0
	.end_amdhsa_kernel
	.section	.text._ZN9rocsparseL44csr2gebsr_wavefront_per_row_multipass_kernelILi256ELi4ELi32ELi32EdEEv20rocsparse_direction_iiiiii21rocsparse_index_base_PKT3_PKiS7_S2_PS3_PiS9_,"axG",@progbits,_ZN9rocsparseL44csr2gebsr_wavefront_per_row_multipass_kernelILi256ELi4ELi32ELi32EdEEv20rocsparse_direction_iiiiii21rocsparse_index_base_PKT3_PKiS7_S2_PS3_PiS9_,comdat
.Lfunc_end86:
	.size	_ZN9rocsparseL44csr2gebsr_wavefront_per_row_multipass_kernelILi256ELi4ELi32ELi32EdEEv20rocsparse_direction_iiiiii21rocsparse_index_base_PKT3_PKiS7_S2_PS3_PiS9_, .Lfunc_end86-_ZN9rocsparseL44csr2gebsr_wavefront_per_row_multipass_kernelILi256ELi4ELi32ELi32EdEEv20rocsparse_direction_iiiiii21rocsparse_index_base_PKT3_PKiS7_S2_PS3_PiS9_
                                        ; -- End function
	.set _ZN9rocsparseL44csr2gebsr_wavefront_per_row_multipass_kernelILi256ELi4ELi32ELi32EdEEv20rocsparse_direction_iiiiii21rocsparse_index_base_PKT3_PKiS7_S2_PS3_PiS9_.num_vgpr, 44
	.set _ZN9rocsparseL44csr2gebsr_wavefront_per_row_multipass_kernelILi256ELi4ELi32ELi32EdEEv20rocsparse_direction_iiiiii21rocsparse_index_base_PKT3_PKiS7_S2_PS3_PiS9_.num_agpr, 0
	.set _ZN9rocsparseL44csr2gebsr_wavefront_per_row_multipass_kernelILi256ELi4ELi32ELi32EdEEv20rocsparse_direction_iiiiii21rocsparse_index_base_PKT3_PKiS7_S2_PS3_PiS9_.numbered_sgpr, 26
	.set _ZN9rocsparseL44csr2gebsr_wavefront_per_row_multipass_kernelILi256ELi4ELi32ELi32EdEEv20rocsparse_direction_iiiiii21rocsparse_index_base_PKT3_PKiS7_S2_PS3_PiS9_.num_named_barrier, 0
	.set _ZN9rocsparseL44csr2gebsr_wavefront_per_row_multipass_kernelILi256ELi4ELi32ELi32EdEEv20rocsparse_direction_iiiiii21rocsparse_index_base_PKT3_PKiS7_S2_PS3_PiS9_.private_seg_size, 0
	.set _ZN9rocsparseL44csr2gebsr_wavefront_per_row_multipass_kernelILi256ELi4ELi32ELi32EdEEv20rocsparse_direction_iiiiii21rocsparse_index_base_PKT3_PKiS7_S2_PS3_PiS9_.uses_vcc, 1
	.set _ZN9rocsparseL44csr2gebsr_wavefront_per_row_multipass_kernelILi256ELi4ELi32ELi32EdEEv20rocsparse_direction_iiiiii21rocsparse_index_base_PKT3_PKiS7_S2_PS3_PiS9_.uses_flat_scratch, 0
	.set _ZN9rocsparseL44csr2gebsr_wavefront_per_row_multipass_kernelILi256ELi4ELi32ELi32EdEEv20rocsparse_direction_iiiiii21rocsparse_index_base_PKT3_PKiS7_S2_PS3_PiS9_.has_dyn_sized_stack, 0
	.set _ZN9rocsparseL44csr2gebsr_wavefront_per_row_multipass_kernelILi256ELi4ELi32ELi32EdEEv20rocsparse_direction_iiiiii21rocsparse_index_base_PKT3_PKiS7_S2_PS3_PiS9_.has_recursion, 0
	.set _ZN9rocsparseL44csr2gebsr_wavefront_per_row_multipass_kernelILi256ELi4ELi32ELi32EdEEv20rocsparse_direction_iiiiii21rocsparse_index_base_PKT3_PKiS7_S2_PS3_PiS9_.has_indirect_call, 0
	.section	.AMDGPU.csdata,"",@progbits
; Kernel info:
; codeLenInByte = 1888
; TotalNumSgprs: 28
; NumVgprs: 44
; ScratchSize: 0
; MemoryBound: 0
; FloatMode: 240
; IeeeMode: 1
; LDSByteSize: 8200 bytes/workgroup (compile time only)
; SGPRBlocks: 0
; VGPRBlocks: 2
; NumSGPRsForWavesPerEU: 28
; NumVGPRsForWavesPerEU: 44
; NamedBarCnt: 0
; Occupancy: 16
; WaveLimiterHint : 0
; COMPUTE_PGM_RSRC2:SCRATCH_EN: 0
; COMPUTE_PGM_RSRC2:USER_SGPR: 2
; COMPUTE_PGM_RSRC2:TRAP_HANDLER: 0
; COMPUTE_PGM_RSRC2:TGID_X_EN: 1
; COMPUTE_PGM_RSRC2:TGID_Y_EN: 0
; COMPUTE_PGM_RSRC2:TGID_Z_EN: 0
; COMPUTE_PGM_RSRC2:TIDIG_COMP_CNT: 0
	.section	.text._ZN9rocsparseL44csr2gebsr_wavefront_per_row_multipass_kernelILi256ELi4ELi64ELi64EdEEv20rocsparse_direction_iiiiii21rocsparse_index_base_PKT3_PKiS7_S2_PS3_PiS9_,"axG",@progbits,_ZN9rocsparseL44csr2gebsr_wavefront_per_row_multipass_kernelILi256ELi4ELi64ELi64EdEEv20rocsparse_direction_iiiiii21rocsparse_index_base_PKT3_PKiS7_S2_PS3_PiS9_,comdat
	.globl	_ZN9rocsparseL44csr2gebsr_wavefront_per_row_multipass_kernelILi256ELi4ELi64ELi64EdEEv20rocsparse_direction_iiiiii21rocsparse_index_base_PKT3_PKiS7_S2_PS3_PiS9_ ; -- Begin function _ZN9rocsparseL44csr2gebsr_wavefront_per_row_multipass_kernelILi256ELi4ELi64ELi64EdEEv20rocsparse_direction_iiiiii21rocsparse_index_base_PKT3_PKiS7_S2_PS3_PiS9_
	.p2align	8
	.type	_ZN9rocsparseL44csr2gebsr_wavefront_per_row_multipass_kernelILi256ELi4ELi64ELi64EdEEv20rocsparse_direction_iiiiii21rocsparse_index_base_PKT3_PKiS7_S2_PS3_PiS9_,@function
_ZN9rocsparseL44csr2gebsr_wavefront_per_row_multipass_kernelILi256ELi4ELi64ELi64EdEEv20rocsparse_direction_iiiiii21rocsparse_index_base_PKT3_PKiS7_S2_PS3_PiS9_: ; @_ZN9rocsparseL44csr2gebsr_wavefront_per_row_multipass_kernelILi256ELi4ELi64ELi64EdEEv20rocsparse_direction_iiiiii21rocsparse_index_base_PKT3_PKiS7_S2_PS3_PiS9_
; %bb.0:
	s_clause 0x1
	s_load_b128 s[4:7], s[0:1], 0xc
	s_load_b64 s[14:15], s[0:1], 0x0
	s_bfe_u32 s2, ttmp6, 0x4000c
	s_and_b32 s3, ttmp6, 15
	s_add_co_i32 s2, s2, 1
	s_getreg_b32 s8, hwreg(HW_REG_IB_STS2, 6, 4)
	s_mul_i32 s2, ttmp9, s2
	v_dual_lshrrev_b32 v24, 6, v0 :: v_dual_mov_b32 v2, 0
	s_add_co_i32 s3, s3, s2
	s_cmp_eq_u32 s8, 0
	v_bfe_u32 v3, v0, 4, 2
	s_cselect_b32 s2, ttmp9, s3
	s_clause 0x1
	s_load_b32 s20, s[0:1], 0x1c
	s_load_b64 s[8:9], s[0:1], 0x28
	v_lshl_or_b32 v1, s2, 2, v24
	v_mov_b32_e32 v35, 0
	s_wait_kmcnt 0x0
	s_delay_alu instid0(VALU_DEP_2) | instskip(SKIP_1) | instid1(VALU_DEP_2)
	v_mad_u32 v4, v1, s6, v3
	v_cmp_gt_i32_e32 vcc_lo, s6, v3
	v_cmp_gt_i32_e64 s2, s15, v4
	s_and_b32 s2, vcc_lo, s2
	s_delay_alu instid0(SALU_CYCLE_1)
	s_and_saveexec_b32 s3, s2
	s_cbranch_execz .LBB87_2
; %bb.1:
	global_load_b32 v5, v4, s[8:9] scale_offset
	s_wait_loadcnt 0x0
	v_subrev_nc_u32_e32 v35, s20, v5
.LBB87_2:
	s_or_b32 exec_lo, exec_lo, s3
	v_mov_b32_e32 v25, 0
	s_and_saveexec_b32 s3, s2
	s_cbranch_execz .LBB87_4
; %bb.3:
	global_load_b32 v4, v4, s[8:9] offset:4 scale_offset
	s_wait_loadcnt 0x0
	v_subrev_nc_u32_e32 v25, s20, v4
.LBB87_4:
	s_or_b32 exec_lo, exec_lo, s3
	s_load_b32 s21, s[0:1], 0x38
	s_mov_b32 s3, exec_lo
	v_cmpx_gt_i32_e64 s4, v1
	s_cbranch_execz .LBB87_6
; %bb.5:
	s_load_b64 s[8:9], s[0:1], 0x48
	s_wait_kmcnt 0x0
	global_load_b32 v1, v1, s[8:9] scale_offset
	s_wait_loadcnt 0x0
	v_subrev_nc_u32_e32 v2, s21, v1
.LBB87_6:
	s_or_b32 exec_lo, exec_lo, s3
	s_cmp_lt_i32 s5, 1
	s_cbranch_scc1 .LBB87_41
; %bb.7:
	v_mbcnt_lo_u32_b32 v10, -1, 0
	s_clause 0x3
	s_load_b64 s[8:9], s[0:1], 0x50
	s_load_b64 s[2:3], s[0:1], 0x40
	;; [unrolled: 1-line block ×4, first 2 shown]
	s_cmp_lg_u32 s14, 0
	s_mov_b32 s15, 0
	s_cselect_b32 s4, -1, 0
	v_xor_b32_e32 v1, 8, v10
	v_dual_lshlrev_b32 v0, 9, v3 :: v_dual_bitop2_b32 v26, 15, v0 bitop3:0x40
	v_or_b32_e32 v11, 32, v10
	s_mov_b32 s14, s6
	s_wait_xcnt 0x0
	v_cmp_gt_i32_e64 s0, 32, v1
	s_ashr_i32 s17, s7, 31
	v_lshl_or_b32 v27, v24, 11, v0
	s_mov_b32 s16, s7
	v_lshl_or_b32 v32, v10, 2, 60
	v_dual_cndmask_b32 v1, v10, v1, s0 :: v_dual_bitop2_b32 v4, 4, v10 bitop3:0x14
	s_mul_u64 s[18:19], s[16:17], s[14:15]
	s_abs_i32 s16, s7
	v_mov_b64_e32 v[16:17], 0
	s_delay_alu instid0(VALU_DEP_2)
	v_lshlrev_b32_e32 v28, 2, v1
	v_cmp_gt_i32_e64 s0, 32, v4
	v_xor_b32_e32 v0, 2, v10
	s_cvt_f32_u32 s1, s16
	v_bfrev_b32_e32 v37, 0.5
	v_dual_mov_b32 v39, 1 :: v_dual_bitop2_b32 v38, -16, v26 bitop3:0x54
	v_cndmask_b32_e64 v1, v10, v4, s0
	v_cmp_gt_i32_e64 s0, 32, v0
	v_xor_b32_e32 v5, 1, v10
	v_mul_lo_u32 v4, s7, v3
	s_delay_alu instid0(VALU_DEP_4) | instskip(NEXT) | instid1(VALU_DEP_4)
	v_dual_lshlrev_b32 v6, 3, v26 :: v_dual_lshlrev_b32 v29, 2, v1
	v_cndmask_b32_e64 v0, v10, v0, s0
	s_delay_alu instid0(VALU_DEP_4) | instskip(SKIP_4) | instid1(VALU_DEP_2)
	v_cmp_gt_i32_e64 s0, 32, v5
	v_mov_b32_e32 v41, 0
	s_mov_b32 s22, s15
	v_dual_mov_b32 v1, 0 :: v_dual_lshlrev_b32 v30, 2, v0
	v_dual_cndmask_b32 v5, v10, v5, s0 :: v_dual_lshlrev_b32 v0, 3, v3
	v_dual_mov_b32 v7, v1 :: v_dual_bitop2_b32 v3, 16, v10 bitop3:0x14
	v_cmp_gt_i32_e64 s0, 32, v11
	s_delay_alu instid0(VALU_DEP_3) | instskip(SKIP_1) | instid1(VALU_DEP_3)
	v_dual_lshlrev_b32 v31, 2, v5 :: v_dual_bitop2_b32 v33, v27, v6 bitop3:0x54
	v_dual_ashrrev_i32 v5, 31, v4 :: v_dual_mov_b32 v13, v1
	v_cndmask_b32_e64 v11, v10, v11, s0
	v_cmp_gt_i32_e64 s0, 32, v3
	v_mov_b32_e32 v15, v1
	s_wait_kmcnt 0x0
	v_lshl_add_u64 v[8:9], v[4:5], 3, s[2:3]
	v_add_nc_u64_e32 v[4:5], s[2:3], v[0:1]
	v_cndmask_b32_e64 v0, v10, v3, s0
	v_rcp_iflag_f32_e32 v3, s1
	s_delay_alu instid0(VALU_DEP_3) | instskip(SKIP_4) | instid1(TRANS32_DEP_1)
	v_add_nc_u64_e32 v[6:7], v[8:9], v[6:7]
	v_mul_lo_u32 v8, v26, s6
	s_lshl_b32 s6, s6, 4
	v_dual_mov_b32 v9, v1 :: v_dual_lshlrev_b32 v36, 2, v0
	v_dual_lshlrev_b32 v34, 2, v11 :: v_dual_bitop2_b32 v0, 16, v26 bitop3:0x54
	v_readfirstlane_b32 s3, v3
	v_cmp_gt_u32_e64 s0, s7, v26
	v_dual_mov_b32 v11, v1 :: v_dual_bitop2_b32 v3, 48, v26 bitop3:0x54
	s_delay_alu instid0(VALU_DEP_4)
	v_cmp_gt_u32_e64 s1, s7, v0
	v_dual_add_nc_u32 v10, s6, v8 :: v_dual_bitop2_b32 v0, 32, v26 bitop3:0x54
	s_mul_f32 s14, s3, 0x4f7ffffe
	v_cmp_gt_u32_e64 s3, s7, v3
	s_and_b32 s1, vcc_lo, s1
	v_add_nc_u32_e32 v12, s6, v10
	s_cvt_u32_f32 s14, s14
	v_cmp_gt_u32_e64 s2, s7, v0
	s_and_b32 s3, vcc_lo, s3
	v_add_nc_u32_e32 v14, s6, v12
	s_and_b32 s6, s0, vcc_lo
	s_sub_co_i32 s0, 0, s16
	s_and_b32 s2, vcc_lo, s2
	s_mul_i32 s0, s0, s14
	s_delay_alu instid0(SALU_CYCLE_1) | instskip(NEXT) | instid1(SALU_CYCLE_1)
	s_mul_hi_u32 s0, s14, s0
	s_add_co_i32 s14, s14, s0
	s_branch .LBB87_10
.LBB87_8:                               ;   in Loop: Header=BB87_10 Depth=1
	s_wait_xcnt 0x0
	s_or_b32 exec_lo, exec_lo, s23
	v_mov_b32_e32 v0, 1
.LBB87_9:                               ;   in Loop: Header=BB87_10 Depth=1
	s_or_b32 exec_lo, exec_lo, s0
	ds_bpermute_b32 v3, v34, v40
	s_wait_storecnt_dscnt 0x0
	v_dual_add_nc_u32 v2, v0, v2 :: v_dual_min_i32 v3, v3, v40
	ds_bpermute_b32 v18, v36, v3
	s_wait_dscnt 0x0
	v_min_i32_e32 v3, v18, v3
	ds_bpermute_b32 v18, v28, v3
	s_wait_dscnt 0x0
	v_min_i32_e32 v3, v18, v3
	;; [unrolled: 3-line block ×5, first 2 shown]
	ds_bpermute_b32 v41, v37, v3
	s_wait_dscnt 0x0
	v_cmp_le_i32_e32 vcc_lo, s5, v41
	s_or_b32 s22, vcc_lo, s22
	s_delay_alu instid0(SALU_CYCLE_1)
	s_and_not1_b32 exec_lo, exec_lo, s22
	s_cbranch_execz .LBB87_41
.LBB87_10:                              ; =>This Loop Header: Depth=1
                                        ;     Child Loop BB87_11 Depth 2
                                        ;     Child Loop BB87_15 Depth 2
	v_dual_mov_b32 v0, v33 :: v_dual_mov_b32 v3, v38
	s_mov_b32 s0, 0
	ds_store_b8 v24, v1 offset:8192
.LBB87_11:                              ;   Parent Loop BB87_10 Depth=1
                                        ; =>  This Inner Loop Header: Depth=2
	v_add_nc_u32_e32 v3, 16, v3
	ds_store_b64 v0, v[16:17]
	v_add_nc_u32_e32 v0, 0x80, v0
	v_cmp_lt_u32_e32 vcc_lo, 47, v3
	s_or_b32 s0, vcc_lo, s0
	s_delay_alu instid0(SALU_CYCLE_1)
	s_and_not1_b32 exec_lo, exec_lo, s0
	s_cbranch_execnz .LBB87_11
; %bb.12:                               ;   in Loop: Header=BB87_10 Depth=1
	s_or_b32 exec_lo, exec_lo, s0
	v_dual_add_nc_u32 v18, v35, v26 :: v_dual_mov_b32 v40, s5
	v_mov_b32_e32 v19, v25
	s_mov_b32 s23, exec_lo
	s_wait_dscnt 0x0
	s_delay_alu instid0(VALU_DEP_2)
	v_cmpx_lt_i32_e64 v18, v25
	s_cbranch_execz .LBB87_20
; %bb.13:                               ;   in Loop: Header=BB87_10 Depth=1
	v_mul_lo_u32 v3, v41, s7
	v_dual_mov_b32 v40, s5 :: v_dual_ashrrev_i32 v19, 31, v18
	s_mov_b32 s24, 0
	s_delay_alu instid0(VALU_DEP_1)
	v_lshl_add_u64 v[20:21], v[18:19], 2, s[12:13]
	v_lshl_add_u64 v[22:23], v[18:19], 3, s[10:11]
	v_mov_b32_e32 v19, v25
	s_branch .LBB87_15
.LBB87_14:                              ;   in Loop: Header=BB87_15 Depth=2
	s_wait_xcnt 0x0
	s_or_b32 exec_lo, exec_lo, s0
	v_add_nc_u32_e32 v18, 16, v18
	s_xor_b32 s25, vcc_lo, -1
	v_add_nc_u64_e32 v[20:21], 64, v[20:21]
	v_add_nc_u64_e32 v[22:23], 0x80, v[22:23]
	s_delay_alu instid0(VALU_DEP_3) | instskip(SKIP_1) | instid1(SALU_CYCLE_1)
	v_cmp_ge_i32_e64 s0, v18, v25
	s_or_b32 s0, s25, s0
	s_and_b32 s0, exec_lo, s0
	s_delay_alu instid0(SALU_CYCLE_1) | instskip(NEXT) | instid1(SALU_CYCLE_1)
	s_or_b32 s24, s0, s24
	s_and_not1_b32 exec_lo, exec_lo, s24
	s_cbranch_execz .LBB87_19
.LBB87_15:                              ;   Parent Loop BB87_10 Depth=1
                                        ; =>  This Inner Loop Header: Depth=2
	global_load_b32 v0, v[20:21], off
	s_wait_loadcnt 0x0
	v_subrev_nc_u32_e32 v35, s20, v0
	s_delay_alu instid0(VALU_DEP_1) | instskip(NEXT) | instid1(VALU_DEP_1)
	v_sub_nc_u32_e32 v0, 0, v35
	v_max_i32_e32 v0, v35, v0
	s_delay_alu instid0(VALU_DEP_1) | instskip(NEXT) | instid1(VALU_DEP_1)
	v_mul_u64_e32 v[42:43], s[14:15], v[0:1]
	v_mul_lo_u32 v42, v43, s16
	s_delay_alu instid0(VALU_DEP_1) | instskip(NEXT) | instid1(VALU_DEP_1)
	v_dual_sub_nc_u32 v0, v0, v42 :: v_dual_add_nc_u32 v42, 1, v43
	v_cmp_le_u32_e32 vcc_lo, s16, v0
	s_delay_alu instid0(VALU_DEP_2) | instskip(SKIP_1) | instid1(VALU_DEP_1)
	v_dual_cndmask_b32 v42, v43, v42 :: v_dual_ashrrev_i32 v43, 31, v35
	v_subrev_nc_u32_e32 v44, s16, v0
	v_dual_cndmask_b32 v0, v0, v44, vcc_lo :: v_dual_add_nc_u32 v44, 1, v42
	s_delay_alu instid0(VALU_DEP_1) | instskip(NEXT) | instid1(VALU_DEP_2)
	v_cmp_le_u32_e32 vcc_lo, s16, v0
	v_dual_cndmask_b32 v0, v42, v44, vcc_lo :: v_dual_bitop2_b32 v43, s17, v43 bitop3:0x14
	s_delay_alu instid0(VALU_DEP_1) | instskip(NEXT) | instid1(VALU_DEP_1)
	v_xor_b32_e32 v0, v0, v43
	v_dual_sub_nc_u32 v42, v0, v43 :: v_dual_mov_b32 v0, v19
	s_delay_alu instid0(VALU_DEP_1) | instskip(SKIP_3) | instid1(SALU_CYCLE_1)
	v_cmp_ne_u32_e64 s0, v42, v41
	v_cmp_eq_u32_e32 vcc_lo, v42, v41
	s_wait_xcnt 0x0
	s_and_saveexec_b32 s25, s0
	s_xor_b32 s0, exec_lo, s25
; %bb.16:                               ;   in Loop: Header=BB87_15 Depth=2
	v_min_i32_e32 v40, v42, v40
                                        ; implicit-def: $vgpr35
                                        ; implicit-def: $vgpr0
; %bb.17:                               ;   in Loop: Header=BB87_15 Depth=2
	s_or_saveexec_b32 s0, s0
	v_mov_b32_e32 v19, v18
	s_xor_b32 exec_lo, exec_lo, s0
	s_cbranch_execz .LBB87_14
; %bb.18:                               ;   in Loop: Header=BB87_15 Depth=2
	global_load_b64 v[42:43], v[22:23], off
	v_sub_nc_u32_e32 v19, v35, v3
	s_delay_alu instid0(VALU_DEP_1)
	v_lshl_add_u32 v35, v19, 3, v27
	v_mov_b32_e32 v19, v0
	ds_store_b8 v24, v39 offset:8192
	s_wait_loadcnt 0x0
	ds_store_b64 v35, v[42:43]
	s_branch .LBB87_14
.LBB87_19:                              ;   in Loop: Header=BB87_10 Depth=1
	s_or_b32 exec_lo, exec_lo, s24
.LBB87_20:                              ;   in Loop: Header=BB87_10 Depth=1
	s_delay_alu instid0(SALU_CYCLE_1)
	s_or_b32 exec_lo, exec_lo, s23
	ds_bpermute_b32 v0, v28, v19
	s_wait_dscnt 0x0
	ds_load_u8 v18, v24 offset:8192
	v_min_i32_e32 v0, v0, v19
	ds_bpermute_b32 v3, v29, v0
	s_wait_dscnt 0x0
	v_min_i32_e32 v0, v3, v0
	ds_bpermute_b32 v3, v30, v0
	s_wait_dscnt 0x0
	;; [unrolled: 3-line block ×3, first 2 shown]
	v_min_i32_e32 v0, v3, v0
	ds_bpermute_b32 v35, v32, v0
	v_and_b32_e32 v0, 1, v18
	s_delay_alu instid0(VALU_DEP_1)
	v_cmp_eq_u32_e32 vcc_lo, 1, v0
	v_mov_b32_e32 v0, 0
	s_and_saveexec_b32 s0, vcc_lo
	s_cbranch_execz .LBB87_9
; %bb.21:                               ;   in Loop: Header=BB87_10 Depth=1
	v_dual_ashrrev_i32 v3, 31, v2 :: v_dual_add_nc_u32 v0, s21, v41
	s_delay_alu instid0(VALU_DEP_1) | instskip(SKIP_2) | instid1(VALU_DEP_1)
	v_mul_u64_e32 v[18:19], s[18:19], v[2:3]
	global_store_b32 v2, v0, s[8:9] scale_offset
	v_lshlrev_b64_e32 v[18:19], 3, v[18:19]
	v_add_nc_u64_e32 v[20:21], v[4:5], v[18:19]
	v_add_nc_u64_e32 v[18:19], v[6:7], v[18:19]
	s_wait_xcnt 0x0
	s_and_saveexec_b32 s23, s6
	s_cbranch_execz .LBB87_25
; %bb.22:                               ;   in Loop: Header=BB87_10 Depth=1
	ds_load_b64 v[22:23], v33
	s_and_b32 vcc_lo, exec_lo, s4
	s_cbranch_vccz .LBB87_36
; %bb.23:                               ;   in Loop: Header=BB87_10 Depth=1
	v_lshl_add_u64 v[42:43], v[8:9], 3, v[20:21]
	s_wait_dscnt 0x0
	global_store_b64 v[42:43], v[22:23], off
	s_cbranch_execnz .LBB87_25
.LBB87_24:                              ;   in Loop: Header=BB87_10 Depth=1
	s_wait_dscnt 0x0
	global_store_b64 v[18:19], v[22:23], off
.LBB87_25:                              ;   in Loop: Header=BB87_10 Depth=1
	s_wait_xcnt 0x0
	s_or_b32 exec_lo, exec_lo, s23
	s_and_saveexec_b32 s23, s1
	s_cbranch_execz .LBB87_29
; %bb.26:                               ;   in Loop: Header=BB87_10 Depth=1
	s_and_not1_b32 vcc_lo, exec_lo, s4
	s_cbranch_vccnz .LBB87_37
; %bb.27:                               ;   in Loop: Header=BB87_10 Depth=1
	s_wait_dscnt 0x0
	ds_load_b64 v[22:23], v33 offset:128
	v_lshl_add_u64 v[42:43], v[10:11], 3, v[20:21]
	s_wait_dscnt 0x0
	global_store_b64 v[42:43], v[22:23], off
	s_cbranch_execnz .LBB87_29
.LBB87_28:                              ;   in Loop: Header=BB87_10 Depth=1
	s_wait_dscnt 0x0
	s_wait_xcnt 0x0
	ds_load_b64 v[22:23], v33 offset:128
	s_wait_dscnt 0x0
	global_store_b64 v[18:19], v[22:23], off offset:128
.LBB87_29:                              ;   in Loop: Header=BB87_10 Depth=1
	s_wait_xcnt 0x0
	s_or_b32 exec_lo, exec_lo, s23
	s_and_saveexec_b32 s23, s2
	s_cbranch_execz .LBB87_33
; %bb.30:                               ;   in Loop: Header=BB87_10 Depth=1
	s_and_not1_b32 vcc_lo, exec_lo, s4
	s_cbranch_vccnz .LBB87_38
; %bb.31:                               ;   in Loop: Header=BB87_10 Depth=1
	s_wait_dscnt 0x0
	ds_load_b64 v[22:23], v33 offset:256
	v_lshl_add_u64 v[42:43], v[12:13], 3, v[20:21]
	s_wait_dscnt 0x0
	global_store_b64 v[42:43], v[22:23], off
	s_cbranch_execnz .LBB87_33
.LBB87_32:                              ;   in Loop: Header=BB87_10 Depth=1
	s_wait_dscnt 0x0
	s_wait_xcnt 0x0
	ds_load_b64 v[22:23], v33 offset:256
	s_wait_dscnt 0x0
	global_store_b64 v[18:19], v[22:23], off offset:256
.LBB87_33:                              ;   in Loop: Header=BB87_10 Depth=1
	s_wait_xcnt 0x0
	s_or_b32 exec_lo, exec_lo, s23
	s_and_saveexec_b32 s23, s3
	s_cbranch_execz .LBB87_8
; %bb.34:                               ;   in Loop: Header=BB87_10 Depth=1
	s_and_not1_b32 vcc_lo, exec_lo, s4
	s_cbranch_vccnz .LBB87_39
; %bb.35:                               ;   in Loop: Header=BB87_10 Depth=1
	s_wait_dscnt 0x0
	ds_load_b64 v[22:23], v33 offset:384
	v_lshl_add_u64 v[20:21], v[14:15], 3, v[20:21]
	s_wait_dscnt 0x0
	global_store_b64 v[20:21], v[22:23], off
	s_cbranch_execnz .LBB87_8
	s_branch .LBB87_40
.LBB87_36:                              ;   in Loop: Header=BB87_10 Depth=1
	s_branch .LBB87_24
.LBB87_37:                              ;   in Loop: Header=BB87_10 Depth=1
	s_branch .LBB87_28
.LBB87_38:                              ;   in Loop: Header=BB87_10 Depth=1
	s_branch .LBB87_32
.LBB87_39:                              ;   in Loop: Header=BB87_10 Depth=1
.LBB87_40:                              ;   in Loop: Header=BB87_10 Depth=1
	s_wait_xcnt 0x0
	ds_load_b64 v[20:21], v33 offset:384
	s_wait_dscnt 0x0
	global_store_b64 v[18:19], v[20:21], off offset:384
	s_branch .LBB87_8
.LBB87_41:
	s_endpgm
	.section	.rodata,"a",@progbits
	.p2align	6, 0x0
	.amdhsa_kernel _ZN9rocsparseL44csr2gebsr_wavefront_per_row_multipass_kernelILi256ELi4ELi64ELi64EdEEv20rocsparse_direction_iiiiii21rocsparse_index_base_PKT3_PKiS7_S2_PS3_PiS9_
		.amdhsa_group_segment_fixed_size 8200
		.amdhsa_private_segment_fixed_size 0
		.amdhsa_kernarg_size 88
		.amdhsa_user_sgpr_count 2
		.amdhsa_user_sgpr_dispatch_ptr 0
		.amdhsa_user_sgpr_queue_ptr 0
		.amdhsa_user_sgpr_kernarg_segment_ptr 1
		.amdhsa_user_sgpr_dispatch_id 0
		.amdhsa_user_sgpr_kernarg_preload_length 0
		.amdhsa_user_sgpr_kernarg_preload_offset 0
		.amdhsa_user_sgpr_private_segment_size 0
		.amdhsa_wavefront_size32 1
		.amdhsa_uses_dynamic_stack 0
		.amdhsa_enable_private_segment 0
		.amdhsa_system_sgpr_workgroup_id_x 1
		.amdhsa_system_sgpr_workgroup_id_y 0
		.amdhsa_system_sgpr_workgroup_id_z 0
		.amdhsa_system_sgpr_workgroup_info 0
		.amdhsa_system_vgpr_workitem_id 0
		.amdhsa_next_free_vgpr 45
		.amdhsa_next_free_sgpr 26
		.amdhsa_named_barrier_count 0
		.amdhsa_reserve_vcc 1
		.amdhsa_float_round_mode_32 0
		.amdhsa_float_round_mode_16_64 0
		.amdhsa_float_denorm_mode_32 3
		.amdhsa_float_denorm_mode_16_64 3
		.amdhsa_fp16_overflow 0
		.amdhsa_memory_ordered 1
		.amdhsa_forward_progress 1
		.amdhsa_inst_pref_size 16
		.amdhsa_round_robin_scheduling 0
		.amdhsa_exception_fp_ieee_invalid_op 0
		.amdhsa_exception_fp_denorm_src 0
		.amdhsa_exception_fp_ieee_div_zero 0
		.amdhsa_exception_fp_ieee_overflow 0
		.amdhsa_exception_fp_ieee_underflow 0
		.amdhsa_exception_fp_ieee_inexact 0
		.amdhsa_exception_int_div_zero 0
	.end_amdhsa_kernel
	.section	.text._ZN9rocsparseL44csr2gebsr_wavefront_per_row_multipass_kernelILi256ELi4ELi64ELi64EdEEv20rocsparse_direction_iiiiii21rocsparse_index_base_PKT3_PKiS7_S2_PS3_PiS9_,"axG",@progbits,_ZN9rocsparseL44csr2gebsr_wavefront_per_row_multipass_kernelILi256ELi4ELi64ELi64EdEEv20rocsparse_direction_iiiiii21rocsparse_index_base_PKT3_PKiS7_S2_PS3_PiS9_,comdat
.Lfunc_end87:
	.size	_ZN9rocsparseL44csr2gebsr_wavefront_per_row_multipass_kernelILi256ELi4ELi64ELi64EdEEv20rocsparse_direction_iiiiii21rocsparse_index_base_PKT3_PKiS7_S2_PS3_PiS9_, .Lfunc_end87-_ZN9rocsparseL44csr2gebsr_wavefront_per_row_multipass_kernelILi256ELi4ELi64ELi64EdEEv20rocsparse_direction_iiiiii21rocsparse_index_base_PKT3_PKiS7_S2_PS3_PiS9_
                                        ; -- End function
	.set _ZN9rocsparseL44csr2gebsr_wavefront_per_row_multipass_kernelILi256ELi4ELi64ELi64EdEEv20rocsparse_direction_iiiiii21rocsparse_index_base_PKT3_PKiS7_S2_PS3_PiS9_.num_vgpr, 45
	.set _ZN9rocsparseL44csr2gebsr_wavefront_per_row_multipass_kernelILi256ELi4ELi64ELi64EdEEv20rocsparse_direction_iiiiii21rocsparse_index_base_PKT3_PKiS7_S2_PS3_PiS9_.num_agpr, 0
	.set _ZN9rocsparseL44csr2gebsr_wavefront_per_row_multipass_kernelILi256ELi4ELi64ELi64EdEEv20rocsparse_direction_iiiiii21rocsparse_index_base_PKT3_PKiS7_S2_PS3_PiS9_.numbered_sgpr, 26
	.set _ZN9rocsparseL44csr2gebsr_wavefront_per_row_multipass_kernelILi256ELi4ELi64ELi64EdEEv20rocsparse_direction_iiiiii21rocsparse_index_base_PKT3_PKiS7_S2_PS3_PiS9_.num_named_barrier, 0
	.set _ZN9rocsparseL44csr2gebsr_wavefront_per_row_multipass_kernelILi256ELi4ELi64ELi64EdEEv20rocsparse_direction_iiiiii21rocsparse_index_base_PKT3_PKiS7_S2_PS3_PiS9_.private_seg_size, 0
	.set _ZN9rocsparseL44csr2gebsr_wavefront_per_row_multipass_kernelILi256ELi4ELi64ELi64EdEEv20rocsparse_direction_iiiiii21rocsparse_index_base_PKT3_PKiS7_S2_PS3_PiS9_.uses_vcc, 1
	.set _ZN9rocsparseL44csr2gebsr_wavefront_per_row_multipass_kernelILi256ELi4ELi64ELi64EdEEv20rocsparse_direction_iiiiii21rocsparse_index_base_PKT3_PKiS7_S2_PS3_PiS9_.uses_flat_scratch, 0
	.set _ZN9rocsparseL44csr2gebsr_wavefront_per_row_multipass_kernelILi256ELi4ELi64ELi64EdEEv20rocsparse_direction_iiiiii21rocsparse_index_base_PKT3_PKiS7_S2_PS3_PiS9_.has_dyn_sized_stack, 0
	.set _ZN9rocsparseL44csr2gebsr_wavefront_per_row_multipass_kernelILi256ELi4ELi64ELi64EdEEv20rocsparse_direction_iiiiii21rocsparse_index_base_PKT3_PKiS7_S2_PS3_PiS9_.has_recursion, 0
	.set _ZN9rocsparseL44csr2gebsr_wavefront_per_row_multipass_kernelILi256ELi4ELi64ELi64EdEEv20rocsparse_direction_iiiiii21rocsparse_index_base_PKT3_PKiS7_S2_PS3_PiS9_.has_indirect_call, 0
	.section	.AMDGPU.csdata,"",@progbits
; Kernel info:
; codeLenInByte = 1960
; TotalNumSgprs: 28
; NumVgprs: 45
; ScratchSize: 0
; MemoryBound: 0
; FloatMode: 240
; IeeeMode: 1
; LDSByteSize: 8200 bytes/workgroup (compile time only)
; SGPRBlocks: 0
; VGPRBlocks: 2
; NumSGPRsForWavesPerEU: 28
; NumVGPRsForWavesPerEU: 45
; NamedBarCnt: 0
; Occupancy: 16
; WaveLimiterHint : 0
; COMPUTE_PGM_RSRC2:SCRATCH_EN: 0
; COMPUTE_PGM_RSRC2:USER_SGPR: 2
; COMPUTE_PGM_RSRC2:TRAP_HANDLER: 0
; COMPUTE_PGM_RSRC2:TGID_X_EN: 1
; COMPUTE_PGM_RSRC2:TGID_Y_EN: 0
; COMPUTE_PGM_RSRC2:TGID_Z_EN: 0
; COMPUTE_PGM_RSRC2:TIDIG_COMP_CNT: 0
	.section	.text._ZN9rocsparseL44csr2gebsr_wavefront_per_row_multipass_kernelILi256ELi4ELi64ELi32EdEEv20rocsparse_direction_iiiiii21rocsparse_index_base_PKT3_PKiS7_S2_PS3_PiS9_,"axG",@progbits,_ZN9rocsparseL44csr2gebsr_wavefront_per_row_multipass_kernelILi256ELi4ELi64ELi32EdEEv20rocsparse_direction_iiiiii21rocsparse_index_base_PKT3_PKiS7_S2_PS3_PiS9_,comdat
	.globl	_ZN9rocsparseL44csr2gebsr_wavefront_per_row_multipass_kernelILi256ELi4ELi64ELi32EdEEv20rocsparse_direction_iiiiii21rocsparse_index_base_PKT3_PKiS7_S2_PS3_PiS9_ ; -- Begin function _ZN9rocsparseL44csr2gebsr_wavefront_per_row_multipass_kernelILi256ELi4ELi64ELi32EdEEv20rocsparse_direction_iiiiii21rocsparse_index_base_PKT3_PKiS7_S2_PS3_PiS9_
	.p2align	8
	.type	_ZN9rocsparseL44csr2gebsr_wavefront_per_row_multipass_kernelILi256ELi4ELi64ELi32EdEEv20rocsparse_direction_iiiiii21rocsparse_index_base_PKT3_PKiS7_S2_PS3_PiS9_,@function
_ZN9rocsparseL44csr2gebsr_wavefront_per_row_multipass_kernelILi256ELi4ELi64ELi32EdEEv20rocsparse_direction_iiiiii21rocsparse_index_base_PKT3_PKiS7_S2_PS3_PiS9_: ; @_ZN9rocsparseL44csr2gebsr_wavefront_per_row_multipass_kernelILi256ELi4ELi64ELi32EdEEv20rocsparse_direction_iiiiii21rocsparse_index_base_PKT3_PKiS7_S2_PS3_PiS9_
; %bb.0:
	s_clause 0x1
	s_load_b128 s[8:11], s[0:1], 0xc
	s_load_b64 s[4:5], s[0:1], 0x0
	s_bfe_u32 s2, ttmp6, 0x4000c
	s_and_b32 s3, ttmp6, 15
	s_add_co_i32 s2, s2, 1
	s_getreg_b32 s6, hwreg(HW_REG_IB_STS2, 6, 4)
	s_mul_i32 s2, ttmp9, s2
	v_dual_lshrrev_b32 v32, 5, v0 :: v_dual_mov_b32 v2, 0
	s_add_co_i32 s3, s3, s2
	s_cmp_eq_u32 s6, 0
	v_bfe_u32 v3, v0, 3, 2
	s_cselect_b32 s2, ttmp9, s3
	s_clause 0x1
	s_load_b32 s24, s[0:1], 0x1c
	s_load_b64 s[6:7], s[0:1], 0x28
	v_lshl_or_b32 v1, s2, 3, v32
	v_mov_b32_e32 v44, 0
	s_wait_kmcnt 0x0
	s_delay_alu instid0(VALU_DEP_2) | instskip(SKIP_1) | instid1(VALU_DEP_2)
	v_mad_u32 v4, v1, s10, v3
	v_cmp_gt_i32_e32 vcc_lo, s10, v3
	v_cmp_gt_i32_e64 s2, s5, v4
	s_and_b32 s2, vcc_lo, s2
	s_delay_alu instid0(SALU_CYCLE_1)
	s_and_saveexec_b32 s3, s2
	s_cbranch_execz .LBB88_2
; %bb.1:
	global_load_b32 v5, v4, s[6:7] scale_offset
	s_wait_loadcnt 0x0
	v_subrev_nc_u32_e32 v44, s24, v5
.LBB88_2:
	s_or_b32 exec_lo, exec_lo, s3
	v_mov_b32_e32 v33, 0
	s_and_saveexec_b32 s3, s2
	s_cbranch_execz .LBB88_4
; %bb.3:
	global_load_b32 v4, v4, s[6:7] offset:4 scale_offset
	s_wait_loadcnt 0x0
	v_subrev_nc_u32_e32 v33, s24, v4
.LBB88_4:
	s_or_b32 exec_lo, exec_lo, s3
	s_load_b32 s25, s[0:1], 0x38
	s_mov_b32 s3, exec_lo
	v_cmpx_gt_i32_e64 s8, v1
	s_cbranch_execz .LBB88_6
; %bb.5:
	s_load_b64 s[6:7], s[0:1], 0x48
	s_wait_kmcnt 0x0
	global_load_b32 v1, v1, s[6:7] scale_offset
	s_wait_loadcnt 0x0
	v_subrev_nc_u32_e32 v2, s25, v1
.LBB88_6:
	s_or_b32 exec_lo, exec_lo, s3
	s_cmp_lt_i32 s9, 1
	s_cbranch_scc1 .LBB88_61
; %bb.7:
	v_dual_lshlrev_b32 v1, 9, v3 :: v_dual_bitop2_b32 v34, 7, v0 bitop3:0x40
	v_mbcnt_lo_u32_b32 v6, -1, 0
	s_clause 0x3
	s_load_b64 s[12:13], s[0:1], 0x50
	s_load_b64 s[2:3], s[0:1], 0x40
	;; [unrolled: 1-line block ×4, first 2 shown]
	s_cmp_lg_u32 s4, 0
	v_lshl_or_b32 v35, v32, 11, v1
	s_mov_b32 s19, 0
	v_xor_b32_e32 v1, 2, v6
	v_xor_b32_e32 v0, 4, v6
	s_cselect_b32 s8, -1, 0
	s_mov_b32 s18, s10
	s_ashr_i32 s21, s11, 31
	s_mov_b32 s20, s11
	s_wait_xcnt 0x0
	v_cmp_gt_i32_e64 s0, 32, v0
	s_mul_u64 s[22:23], s[20:21], s[18:19]
	s_lshl_b32 s18, s10, 3
	v_lshl_or_b32 v39, v6, 2, 28
	v_mov_b64_e32 v[24:25], 0
	v_dual_cndmask_b32 v0, v6, v0, s0 :: v_dual_bitop2_b32 v4, 1, v6 bitop3:0x14
	v_cmp_gt_i32_e64 s0, 32, v1
	v_dual_mov_b32 v46, 1 :: v_dual_bitop2_b32 v45, -8, v34 bitop3:0x54
	s_delay_alu instid0(VALU_DEP_3) | instskip(NEXT) | instid1(VALU_DEP_3)
	v_dual_lshlrev_b32 v36, 2, v0 :: v_dual_lshlrev_b32 v0, 3, v3
	v_cndmask_b32_e64 v1, v6, v1, s0
	v_cmp_gt_i32_e64 s0, 32, v4
	v_dual_mov_b32 v48, 0 :: v_dual_bitop2_b32 v7, 16, v6 bitop3:0x14
	v_mov_b32_e32 v43, 0x7c
	s_delay_alu instid0(VALU_DEP_3) | instskip(SKIP_2) | instid1(VALU_DEP_3)
	v_dual_lshlrev_b32 v37, 2, v1 :: v_dual_cndmask_b32 v5, v6, v4, s0
	v_mul_lo_u32 v4, s11, v3
	v_dual_mov_b32 v1, 0 :: v_dual_lshlrev_b32 v8, 3, v34
	v_dual_lshlrev_b32 v38, 2, v5 :: v_dual_bitop2_b32 v3, 8, v6 bitop3:0x14
	v_cmp_gt_i32_e64 s0, 32, v7
	s_delay_alu instid0(VALU_DEP_3) | instskip(SKIP_4) | instid1(VALU_DEP_2)
	v_dual_mov_b32 v9, v1 :: v_dual_bitop2_b32 v40, v35, v8 bitop3:0x54
	v_dual_mov_b32 v19, v1 :: v_dual_mov_b32 v13, v1
	v_dual_mov_b32 v17, v1 :: v_dual_ashrrev_i32 v5, 31, v4
	v_dual_mov_b32 v21, v1 :: v_dual_mov_b32 v23, v1
	s_wait_kmcnt 0x0
	v_lshl_add_u64 v[10:11], v[4:5], 3, s[2:3]
	v_mul_lo_u32 v4, v34, s10
	v_cndmask_b32_e64 v5, v6, v7, s0
	v_cmp_gt_i32_e64 s0, 32, v3
	s_abs_i32 s10, s11
	v_add_nc_u64_e32 v[8:9], v[10:11], v[8:9]
	s_cvt_f32_u32 s5, s10
	v_dual_mov_b32 v11, v1 :: v_dual_cndmask_b32 v3, v6, v3, s0
	v_lshlrev_b32_e32 v41, 2, v5
	v_add_nc_u64_e32 v[6:7], s[2:3], v[0:1]
	v_dual_add_nc_u32 v10, s18, v4 :: v_dual_bitop2_b32 v0, 8, v34 bitop3:0x54
	v_rcp_iflag_f32_e32 v22, s5
	v_dual_mov_b32 v5, v1 :: v_dual_lshlrev_b32 v42, 2, v3
	v_or_b32_e32 v3, 16, v34
	s_delay_alu instid0(VALU_DEP_3)
	v_add_nc_u32_e32 v12, s18, v10
	v_cmp_gt_u32_e64 s1, s11, v0
	v_or_b32_e32 v0, 24, v34
	v_cmp_gt_u32_e64 s0, s11, v34
	v_readfirstlane_b32 s26, v22
	v_dual_mov_b32 v15, v1 :: v_dual_add_nc_u32 v14, s18, v12
	v_cmp_gt_u32_e64 s2, s11, v3
	v_or_b32_e32 v3, 32, v34
	v_cmp_gt_u32_e64 s3, s11, v0
	s_delay_alu instid0(VALU_DEP_4)
	v_add_nc_u32_e32 v16, s18, v14
	v_or_b32_e32 v0, 40, v34
	s_and_b32 s20, s0, vcc_lo
	s_mul_f32 s0, s26, 0x4f7ffffe
	v_cmp_gt_u32_e64 s4, s11, v3
	v_dual_add_nc_u32 v18, s18, v16 :: v_dual_bitop2_b32 v3, 48, v34 bitop3:0x54
	v_cmp_gt_u32_e64 s5, s11, v0
	v_or_b32_e32 v0, 56, v34
	s_cvt_u32_f32 s0, s0
	v_add_nc_u32_e32 v20, s18, v18
	v_cmp_gt_u32_e64 s6, s11, v3
	s_and_b32 s1, vcc_lo, s1
	v_cmp_gt_u32_e64 s7, s11, v0
	s_and_b32 s2, vcc_lo, s2
	v_add_nc_u32_e32 v22, s18, v20
	s_sub_co_i32 s18, 0, s10
	s_and_b32 s3, vcc_lo, s3
	s_mul_i32 s18, s18, s0
	s_and_b32 s4, vcc_lo, s4
	s_mul_hi_u32 s18, s0, s18
	s_and_b32 s5, vcc_lo, s5
	s_and_b32 s6, vcc_lo, s6
	;; [unrolled: 1-line block ×3, first 2 shown]
	s_add_co_i32 s18, s0, s18
	s_mov_b32 s26, s19
	s_branch .LBB88_10
.LBB88_8:                               ;   in Loop: Header=BB88_10 Depth=1
	s_wait_xcnt 0x0
	s_or_b32 exec_lo, exec_lo, s27
	v_mov_b32_e32 v0, 1
.LBB88_9:                               ;   in Loop: Header=BB88_10 Depth=1
	s_or_b32 exec_lo, exec_lo, s0
	ds_bpermute_b32 v3, v41, v47
	s_wait_storecnt_dscnt 0x0
	v_dual_add_nc_u32 v2, v0, v2 :: v_dual_min_i32 v3, v3, v47
	ds_bpermute_b32 v26, v42, v3
	s_wait_dscnt 0x0
	v_min_i32_e32 v3, v26, v3
	ds_bpermute_b32 v26, v36, v3
	s_wait_dscnt 0x0
	v_min_i32_e32 v3, v26, v3
	;; [unrolled: 3-line block ×4, first 2 shown]
	ds_bpermute_b32 v48, v43, v3
	s_wait_dscnt 0x0
	v_cmp_le_i32_e32 vcc_lo, s9, v48
	s_or_b32 s26, vcc_lo, s26
	s_delay_alu instid0(SALU_CYCLE_1)
	s_and_not1_b32 exec_lo, exec_lo, s26
	s_cbranch_execz .LBB88_61
.LBB88_10:                              ; =>This Loop Header: Depth=1
                                        ;     Child Loop BB88_11 Depth 2
                                        ;     Child Loop BB88_15 Depth 2
	v_dual_mov_b32 v0, v40 :: v_dual_mov_b32 v3, v45
	s_mov_b32 s0, 0
	ds_store_b8 v32, v1 offset:16384
.LBB88_11:                              ;   Parent Loop BB88_10 Depth=1
                                        ; =>  This Inner Loop Header: Depth=2
	v_add_nc_u32_e32 v3, 8, v3
	ds_store_b64 v0, v[24:25]
	v_add_nc_u32_e32 v0, 64, v0
	v_cmp_lt_u32_e32 vcc_lo, 55, v3
	s_or_b32 s0, vcc_lo, s0
	s_delay_alu instid0(SALU_CYCLE_1)
	s_and_not1_b32 exec_lo, exec_lo, s0
	s_cbranch_execnz .LBB88_11
; %bb.12:                               ;   in Loop: Header=BB88_10 Depth=1
	s_or_b32 exec_lo, exec_lo, s0
	v_dual_mov_b32 v47, s9 :: v_dual_add_nc_u32 v26, v44, v34
	v_mov_b32_e32 v27, v33
	s_mov_b32 s27, exec_lo
	s_wait_dscnt 0x0
	s_delay_alu instid0(VALU_DEP_2)
	v_cmpx_lt_i32_e64 v26, v33
	s_cbranch_execz .LBB88_20
; %bb.13:                               ;   in Loop: Header=BB88_10 Depth=1
	v_mul_lo_u32 v3, v48, s11
	v_dual_ashrrev_i32 v27, 31, v26 :: v_dual_mov_b32 v47, s9
	s_mov_b32 s28, 0
	s_delay_alu instid0(VALU_DEP_1)
	v_lshl_add_u64 v[28:29], v[26:27], 2, s[16:17]
	v_lshl_add_u64 v[30:31], v[26:27], 3, s[14:15]
	v_mov_b32_e32 v27, v33
	s_branch .LBB88_15
.LBB88_14:                              ;   in Loop: Header=BB88_15 Depth=2
	s_wait_xcnt 0x0
	s_or_b32 exec_lo, exec_lo, s0
	v_add_nc_u32_e32 v26, 8, v26
	s_xor_b32 s29, vcc_lo, -1
	v_add_nc_u64_e32 v[28:29], 32, v[28:29]
	v_add_nc_u64_e32 v[30:31], 64, v[30:31]
	s_delay_alu instid0(VALU_DEP_3) | instskip(SKIP_1) | instid1(SALU_CYCLE_1)
	v_cmp_ge_i32_e64 s0, v26, v33
	s_or_b32 s0, s29, s0
	s_and_b32 s0, exec_lo, s0
	s_delay_alu instid0(SALU_CYCLE_1) | instskip(NEXT) | instid1(SALU_CYCLE_1)
	s_or_b32 s28, s0, s28
	s_and_not1_b32 exec_lo, exec_lo, s28
	s_cbranch_execz .LBB88_19
.LBB88_15:                              ;   Parent Loop BB88_10 Depth=1
                                        ; =>  This Inner Loop Header: Depth=2
	global_load_b32 v0, v[28:29], off
	s_wait_loadcnt 0x0
	v_subrev_nc_u32_e32 v44, s24, v0
	s_delay_alu instid0(VALU_DEP_1) | instskip(NEXT) | instid1(VALU_DEP_1)
	v_sub_nc_u32_e32 v0, 0, v44
	v_max_i32_e32 v0, v44, v0
	s_delay_alu instid0(VALU_DEP_1) | instskip(NEXT) | instid1(VALU_DEP_1)
	v_mul_u64_e32 v[50:51], s[18:19], v[0:1]
	v_mul_lo_u32 v49, v51, s10
	s_delay_alu instid0(VALU_DEP_1) | instskip(NEXT) | instid1(VALU_DEP_1)
	v_dual_sub_nc_u32 v0, v0, v49 :: v_dual_add_nc_u32 v49, 1, v51
	v_cmp_le_u32_e32 vcc_lo, s10, v0
	s_delay_alu instid0(VALU_DEP_2) | instskip(SKIP_1) | instid1(VALU_DEP_1)
	v_dual_cndmask_b32 v49, v51, v49, vcc_lo :: v_dual_ashrrev_i32 v51, 31, v44
	v_subrev_nc_u32_e32 v50, s10, v0
	v_dual_cndmask_b32 v0, v0, v50, vcc_lo :: v_dual_add_nc_u32 v50, 1, v49
	s_delay_alu instid0(VALU_DEP_1) | instskip(NEXT) | instid1(VALU_DEP_2)
	v_cmp_le_u32_e32 vcc_lo, s10, v0
	v_dual_cndmask_b32 v0, v49, v50, vcc_lo :: v_dual_bitop2_b32 v51, s21, v51 bitop3:0x14
	s_delay_alu instid0(VALU_DEP_1) | instskip(NEXT) | instid1(VALU_DEP_1)
	v_xor_b32_e32 v0, v0, v51
	v_dual_mov_b32 v0, v27 :: v_dual_sub_nc_u32 v49, v0, v51
	s_delay_alu instid0(VALU_DEP_1) | instskip(SKIP_3) | instid1(SALU_CYCLE_1)
	v_cmp_ne_u32_e64 s0, v49, v48
	v_cmp_eq_u32_e32 vcc_lo, v49, v48
	s_wait_xcnt 0x0
	s_and_saveexec_b32 s29, s0
	s_xor_b32 s0, exec_lo, s29
; %bb.16:                               ;   in Loop: Header=BB88_15 Depth=2
	v_min_i32_e32 v47, v49, v47
                                        ; implicit-def: $vgpr44
                                        ; implicit-def: $vgpr0
; %bb.17:                               ;   in Loop: Header=BB88_15 Depth=2
	s_or_saveexec_b32 s0, s0
	v_mov_b32_e32 v27, v26
	s_xor_b32 exec_lo, exec_lo, s0
	s_cbranch_execz .LBB88_14
; %bb.18:                               ;   in Loop: Header=BB88_15 Depth=2
	global_load_b64 v[50:51], v[30:31], off
	v_sub_nc_u32_e32 v27, v44, v3
	s_delay_alu instid0(VALU_DEP_1)
	v_lshl_add_u32 v44, v27, 3, v35
	v_mov_b32_e32 v27, v0
	ds_store_b8 v32, v46 offset:16384
	s_wait_loadcnt 0x0
	ds_store_b64 v44, v[50:51]
	s_branch .LBB88_14
.LBB88_19:                              ;   in Loop: Header=BB88_10 Depth=1
	s_or_b32 exec_lo, exec_lo, s28
.LBB88_20:                              ;   in Loop: Header=BB88_10 Depth=1
	s_delay_alu instid0(SALU_CYCLE_1)
	s_or_b32 exec_lo, exec_lo, s27
	ds_bpermute_b32 v0, v36, v27
	s_wait_dscnt 0x0
	ds_load_u8 v26, v32 offset:16384
	v_min_i32_e32 v0, v0, v27
	ds_bpermute_b32 v3, v37, v0
	s_wait_dscnt 0x0
	v_min_i32_e32 v0, v3, v0
	ds_bpermute_b32 v3, v38, v0
	s_wait_dscnt 0x0
	v_min_i32_e32 v0, v3, v0
	ds_bpermute_b32 v44, v39, v0
	v_and_b32_e32 v0, 1, v26
	s_delay_alu instid0(VALU_DEP_1)
	v_cmp_eq_u32_e32 vcc_lo, 1, v0
	v_mov_b32_e32 v0, 0
	s_and_saveexec_b32 s0, vcc_lo
	s_cbranch_execz .LBB88_9
; %bb.21:                               ;   in Loop: Header=BB88_10 Depth=1
	v_dual_ashrrev_i32 v3, 31, v2 :: v_dual_add_nc_u32 v0, s25, v48
	s_delay_alu instid0(VALU_DEP_1) | instskip(SKIP_2) | instid1(VALU_DEP_1)
	v_mul_u64_e32 v[26:27], s[22:23], v[2:3]
	global_store_b32 v2, v0, s[12:13] scale_offset
	v_lshlrev_b64_e32 v[26:27], 3, v[26:27]
	v_add_nc_u64_e32 v[28:29], v[6:7], v[26:27]
	v_add_nc_u64_e32 v[26:27], v[8:9], v[26:27]
	s_wait_xcnt 0x0
	s_and_saveexec_b32 s27, s20
	s_cbranch_execz .LBB88_25
; %bb.22:                               ;   in Loop: Header=BB88_10 Depth=1
	ds_load_b64 v[30:31], v40
	s_and_b32 vcc_lo, exec_lo, s8
	s_cbranch_vccz .LBB88_52
; %bb.23:                               ;   in Loop: Header=BB88_10 Depth=1
	v_lshl_add_u64 v[48:49], v[4:5], 3, v[28:29]
	s_wait_dscnt 0x0
	global_store_b64 v[48:49], v[30:31], off
	s_cbranch_execnz .LBB88_25
.LBB88_24:                              ;   in Loop: Header=BB88_10 Depth=1
	s_wait_dscnt 0x0
	global_store_b64 v[26:27], v[30:31], off
.LBB88_25:                              ;   in Loop: Header=BB88_10 Depth=1
	s_wait_xcnt 0x0
	s_or_b32 exec_lo, exec_lo, s27
	s_and_saveexec_b32 s27, s1
	s_cbranch_execz .LBB88_29
; %bb.26:                               ;   in Loop: Header=BB88_10 Depth=1
	s_and_not1_b32 vcc_lo, exec_lo, s8
	s_cbranch_vccnz .LBB88_53
; %bb.27:                               ;   in Loop: Header=BB88_10 Depth=1
	s_wait_dscnt 0x0
	ds_load_b64 v[30:31], v40 offset:64
	v_lshl_add_u64 v[48:49], v[10:11], 3, v[28:29]
	s_wait_dscnt 0x0
	global_store_b64 v[48:49], v[30:31], off
	s_cbranch_execnz .LBB88_29
.LBB88_28:                              ;   in Loop: Header=BB88_10 Depth=1
	s_wait_dscnt 0x0
	s_wait_xcnt 0x0
	ds_load_b64 v[30:31], v40 offset:64
	s_wait_dscnt 0x0
	global_store_b64 v[26:27], v[30:31], off offset:64
.LBB88_29:                              ;   in Loop: Header=BB88_10 Depth=1
	s_wait_xcnt 0x0
	s_or_b32 exec_lo, exec_lo, s27
	s_and_saveexec_b32 s27, s2
	s_cbranch_execz .LBB88_33
; %bb.30:                               ;   in Loop: Header=BB88_10 Depth=1
	s_and_not1_b32 vcc_lo, exec_lo, s8
	s_cbranch_vccnz .LBB88_54
; %bb.31:                               ;   in Loop: Header=BB88_10 Depth=1
	s_wait_dscnt 0x0
	ds_load_b64 v[30:31], v40 offset:128
	v_lshl_add_u64 v[48:49], v[12:13], 3, v[28:29]
	s_wait_dscnt 0x0
	global_store_b64 v[48:49], v[30:31], off
	s_cbranch_execnz .LBB88_33
.LBB88_32:                              ;   in Loop: Header=BB88_10 Depth=1
	s_wait_dscnt 0x0
	s_wait_xcnt 0x0
	ds_load_b64 v[30:31], v40 offset:128
	s_wait_dscnt 0x0
	global_store_b64 v[26:27], v[30:31], off offset:128
.LBB88_33:                              ;   in Loop: Header=BB88_10 Depth=1
	s_wait_xcnt 0x0
	s_or_b32 exec_lo, exec_lo, s27
	s_and_saveexec_b32 s27, s3
	s_cbranch_execz .LBB88_37
; %bb.34:                               ;   in Loop: Header=BB88_10 Depth=1
	s_and_not1_b32 vcc_lo, exec_lo, s8
	s_cbranch_vccnz .LBB88_55
; %bb.35:                               ;   in Loop: Header=BB88_10 Depth=1
	s_wait_dscnt 0x0
	ds_load_b64 v[30:31], v40 offset:192
	v_lshl_add_u64 v[48:49], v[14:15], 3, v[28:29]
	s_wait_dscnt 0x0
	global_store_b64 v[48:49], v[30:31], off
	s_cbranch_execnz .LBB88_37
.LBB88_36:                              ;   in Loop: Header=BB88_10 Depth=1
	s_wait_dscnt 0x0
	s_wait_xcnt 0x0
	ds_load_b64 v[30:31], v40 offset:192
	s_wait_dscnt 0x0
	global_store_b64 v[26:27], v[30:31], off offset:192
.LBB88_37:                              ;   in Loop: Header=BB88_10 Depth=1
	s_wait_xcnt 0x0
	s_or_b32 exec_lo, exec_lo, s27
	s_and_saveexec_b32 s27, s4
	s_cbranch_execz .LBB88_41
; %bb.38:                               ;   in Loop: Header=BB88_10 Depth=1
	s_and_not1_b32 vcc_lo, exec_lo, s8
	s_cbranch_vccnz .LBB88_56
; %bb.39:                               ;   in Loop: Header=BB88_10 Depth=1
	s_wait_dscnt 0x0
	ds_load_b64 v[30:31], v40 offset:256
	v_lshl_add_u64 v[48:49], v[16:17], 3, v[28:29]
	s_wait_dscnt 0x0
	global_store_b64 v[48:49], v[30:31], off
	s_cbranch_execnz .LBB88_41
.LBB88_40:                              ;   in Loop: Header=BB88_10 Depth=1
	s_wait_dscnt 0x0
	s_wait_xcnt 0x0
	ds_load_b64 v[30:31], v40 offset:256
	s_wait_dscnt 0x0
	global_store_b64 v[26:27], v[30:31], off offset:256
.LBB88_41:                              ;   in Loop: Header=BB88_10 Depth=1
	s_wait_xcnt 0x0
	s_or_b32 exec_lo, exec_lo, s27
	s_and_saveexec_b32 s27, s5
	s_cbranch_execz .LBB88_45
; %bb.42:                               ;   in Loop: Header=BB88_10 Depth=1
	s_and_not1_b32 vcc_lo, exec_lo, s8
	s_cbranch_vccnz .LBB88_57
; %bb.43:                               ;   in Loop: Header=BB88_10 Depth=1
	s_wait_dscnt 0x0
	ds_load_b64 v[30:31], v40 offset:320
	v_lshl_add_u64 v[48:49], v[18:19], 3, v[28:29]
	s_wait_dscnt 0x0
	global_store_b64 v[48:49], v[30:31], off
	s_cbranch_execnz .LBB88_45
.LBB88_44:                              ;   in Loop: Header=BB88_10 Depth=1
	s_wait_dscnt 0x0
	s_wait_xcnt 0x0
	ds_load_b64 v[30:31], v40 offset:320
	s_wait_dscnt 0x0
	global_store_b64 v[26:27], v[30:31], off offset:320
.LBB88_45:                              ;   in Loop: Header=BB88_10 Depth=1
	s_wait_xcnt 0x0
	s_or_b32 exec_lo, exec_lo, s27
	s_and_saveexec_b32 s27, s6
	s_cbranch_execz .LBB88_49
; %bb.46:                               ;   in Loop: Header=BB88_10 Depth=1
	s_and_not1_b32 vcc_lo, exec_lo, s8
	s_cbranch_vccnz .LBB88_58
; %bb.47:                               ;   in Loop: Header=BB88_10 Depth=1
	s_wait_dscnt 0x0
	ds_load_b64 v[30:31], v40 offset:384
	v_lshl_add_u64 v[48:49], v[20:21], 3, v[28:29]
	s_wait_dscnt 0x0
	global_store_b64 v[48:49], v[30:31], off
	s_cbranch_execnz .LBB88_49
.LBB88_48:                              ;   in Loop: Header=BB88_10 Depth=1
	s_wait_dscnt 0x0
	s_wait_xcnt 0x0
	ds_load_b64 v[30:31], v40 offset:384
	s_wait_dscnt 0x0
	global_store_b64 v[26:27], v[30:31], off offset:384
.LBB88_49:                              ;   in Loop: Header=BB88_10 Depth=1
	s_wait_xcnt 0x0
	s_or_b32 exec_lo, exec_lo, s27
	s_and_saveexec_b32 s27, s7
	s_cbranch_execz .LBB88_8
; %bb.50:                               ;   in Loop: Header=BB88_10 Depth=1
	s_and_not1_b32 vcc_lo, exec_lo, s8
	s_cbranch_vccnz .LBB88_59
; %bb.51:                               ;   in Loop: Header=BB88_10 Depth=1
	s_wait_dscnt 0x0
	ds_load_b64 v[30:31], v40 offset:448
	v_lshl_add_u64 v[28:29], v[22:23], 3, v[28:29]
	s_wait_dscnt 0x0
	global_store_b64 v[28:29], v[30:31], off
	s_cbranch_execnz .LBB88_8
	s_branch .LBB88_60
.LBB88_52:                              ;   in Loop: Header=BB88_10 Depth=1
	s_branch .LBB88_24
.LBB88_53:                              ;   in Loop: Header=BB88_10 Depth=1
	s_branch .LBB88_28
.LBB88_54:                              ;   in Loop: Header=BB88_10 Depth=1
	s_branch .LBB88_32
.LBB88_55:                              ;   in Loop: Header=BB88_10 Depth=1
	s_branch .LBB88_36
.LBB88_56:                              ;   in Loop: Header=BB88_10 Depth=1
	s_branch .LBB88_40
.LBB88_57:                              ;   in Loop: Header=BB88_10 Depth=1
	s_branch .LBB88_44
.LBB88_58:                              ;   in Loop: Header=BB88_10 Depth=1
	s_branch .LBB88_48
.LBB88_59:                              ;   in Loop: Header=BB88_10 Depth=1
.LBB88_60:                              ;   in Loop: Header=BB88_10 Depth=1
	s_wait_xcnt 0x0
	ds_load_b64 v[28:29], v40 offset:448
	s_wait_dscnt 0x0
	global_store_b64 v[26:27], v[28:29], off offset:448
	s_branch .LBB88_8
.LBB88_61:
	s_endpgm
	.section	.rodata,"a",@progbits
	.p2align	6, 0x0
	.amdhsa_kernel _ZN9rocsparseL44csr2gebsr_wavefront_per_row_multipass_kernelILi256ELi4ELi64ELi32EdEEv20rocsparse_direction_iiiiii21rocsparse_index_base_PKT3_PKiS7_S2_PS3_PiS9_
		.amdhsa_group_segment_fixed_size 16392
		.amdhsa_private_segment_fixed_size 0
		.amdhsa_kernarg_size 88
		.amdhsa_user_sgpr_count 2
		.amdhsa_user_sgpr_dispatch_ptr 0
		.amdhsa_user_sgpr_queue_ptr 0
		.amdhsa_user_sgpr_kernarg_segment_ptr 1
		.amdhsa_user_sgpr_dispatch_id 0
		.amdhsa_user_sgpr_kernarg_preload_length 0
		.amdhsa_user_sgpr_kernarg_preload_offset 0
		.amdhsa_user_sgpr_private_segment_size 0
		.amdhsa_wavefront_size32 1
		.amdhsa_uses_dynamic_stack 0
		.amdhsa_enable_private_segment 0
		.amdhsa_system_sgpr_workgroup_id_x 1
		.amdhsa_system_sgpr_workgroup_id_y 0
		.amdhsa_system_sgpr_workgroup_id_z 0
		.amdhsa_system_sgpr_workgroup_info 0
		.amdhsa_system_vgpr_workitem_id 0
		.amdhsa_next_free_vgpr 52
		.amdhsa_next_free_sgpr 30
		.amdhsa_named_barrier_count 0
		.amdhsa_reserve_vcc 1
		.amdhsa_float_round_mode_32 0
		.amdhsa_float_round_mode_16_64 0
		.amdhsa_float_denorm_mode_32 3
		.amdhsa_float_denorm_mode_16_64 3
		.amdhsa_fp16_overflow 0
		.amdhsa_memory_ordered 1
		.amdhsa_forward_progress 1
		.amdhsa_inst_pref_size 19
		.amdhsa_round_robin_scheduling 0
		.amdhsa_exception_fp_ieee_invalid_op 0
		.amdhsa_exception_fp_denorm_src 0
		.amdhsa_exception_fp_ieee_div_zero 0
		.amdhsa_exception_fp_ieee_overflow 0
		.amdhsa_exception_fp_ieee_underflow 0
		.amdhsa_exception_fp_ieee_inexact 0
		.amdhsa_exception_int_div_zero 0
	.end_amdhsa_kernel
	.section	.text._ZN9rocsparseL44csr2gebsr_wavefront_per_row_multipass_kernelILi256ELi4ELi64ELi32EdEEv20rocsparse_direction_iiiiii21rocsparse_index_base_PKT3_PKiS7_S2_PS3_PiS9_,"axG",@progbits,_ZN9rocsparseL44csr2gebsr_wavefront_per_row_multipass_kernelILi256ELi4ELi64ELi32EdEEv20rocsparse_direction_iiiiii21rocsparse_index_base_PKT3_PKiS7_S2_PS3_PiS9_,comdat
.Lfunc_end88:
	.size	_ZN9rocsparseL44csr2gebsr_wavefront_per_row_multipass_kernelILi256ELi4ELi64ELi32EdEEv20rocsparse_direction_iiiiii21rocsparse_index_base_PKT3_PKiS7_S2_PS3_PiS9_, .Lfunc_end88-_ZN9rocsparseL44csr2gebsr_wavefront_per_row_multipass_kernelILi256ELi4ELi64ELi32EdEEv20rocsparse_direction_iiiiii21rocsparse_index_base_PKT3_PKiS7_S2_PS3_PiS9_
                                        ; -- End function
	.set _ZN9rocsparseL44csr2gebsr_wavefront_per_row_multipass_kernelILi256ELi4ELi64ELi32EdEEv20rocsparse_direction_iiiiii21rocsparse_index_base_PKT3_PKiS7_S2_PS3_PiS9_.num_vgpr, 52
	.set _ZN9rocsparseL44csr2gebsr_wavefront_per_row_multipass_kernelILi256ELi4ELi64ELi32EdEEv20rocsparse_direction_iiiiii21rocsparse_index_base_PKT3_PKiS7_S2_PS3_PiS9_.num_agpr, 0
	.set _ZN9rocsparseL44csr2gebsr_wavefront_per_row_multipass_kernelILi256ELi4ELi64ELi32EdEEv20rocsparse_direction_iiiiii21rocsparse_index_base_PKT3_PKiS7_S2_PS3_PiS9_.numbered_sgpr, 30
	.set _ZN9rocsparseL44csr2gebsr_wavefront_per_row_multipass_kernelILi256ELi4ELi64ELi32EdEEv20rocsparse_direction_iiiiii21rocsparse_index_base_PKT3_PKiS7_S2_PS3_PiS9_.num_named_barrier, 0
	.set _ZN9rocsparseL44csr2gebsr_wavefront_per_row_multipass_kernelILi256ELi4ELi64ELi32EdEEv20rocsparse_direction_iiiiii21rocsparse_index_base_PKT3_PKiS7_S2_PS3_PiS9_.private_seg_size, 0
	.set _ZN9rocsparseL44csr2gebsr_wavefront_per_row_multipass_kernelILi256ELi4ELi64ELi32EdEEv20rocsparse_direction_iiiiii21rocsparse_index_base_PKT3_PKiS7_S2_PS3_PiS9_.uses_vcc, 1
	.set _ZN9rocsparseL44csr2gebsr_wavefront_per_row_multipass_kernelILi256ELi4ELi64ELi32EdEEv20rocsparse_direction_iiiiii21rocsparse_index_base_PKT3_PKiS7_S2_PS3_PiS9_.uses_flat_scratch, 0
	.set _ZN9rocsparseL44csr2gebsr_wavefront_per_row_multipass_kernelILi256ELi4ELi64ELi32EdEEv20rocsparse_direction_iiiiii21rocsparse_index_base_PKT3_PKiS7_S2_PS3_PiS9_.has_dyn_sized_stack, 0
	.set _ZN9rocsparseL44csr2gebsr_wavefront_per_row_multipass_kernelILi256ELi4ELi64ELi32EdEEv20rocsparse_direction_iiiiii21rocsparse_index_base_PKT3_PKiS7_S2_PS3_PiS9_.has_recursion, 0
	.set _ZN9rocsparseL44csr2gebsr_wavefront_per_row_multipass_kernelILi256ELi4ELi64ELi32EdEEv20rocsparse_direction_iiiiii21rocsparse_index_base_PKT3_PKiS7_S2_PS3_PiS9_.has_indirect_call, 0
	.section	.AMDGPU.csdata,"",@progbits
; Kernel info:
; codeLenInByte = 2396
; TotalNumSgprs: 32
; NumVgprs: 52
; ScratchSize: 0
; MemoryBound: 0
; FloatMode: 240
; IeeeMode: 1
; LDSByteSize: 16392 bytes/workgroup (compile time only)
; SGPRBlocks: 0
; VGPRBlocks: 3
; NumSGPRsForWavesPerEU: 32
; NumVGPRsForWavesPerEU: 52
; NamedBarCnt: 0
; Occupancy: 16
; WaveLimiterHint : 0
; COMPUTE_PGM_RSRC2:SCRATCH_EN: 0
; COMPUTE_PGM_RSRC2:USER_SGPR: 2
; COMPUTE_PGM_RSRC2:TRAP_HANDLER: 0
; COMPUTE_PGM_RSRC2:TGID_X_EN: 1
; COMPUTE_PGM_RSRC2:TGID_Y_EN: 0
; COMPUTE_PGM_RSRC2:TGID_Z_EN: 0
; COMPUTE_PGM_RSRC2:TIDIG_COMP_CNT: 0
	.section	.text._ZN9rocsparseL44csr2gebsr_wavefront_per_row_multipass_kernelILi256ELi8ELi2ELi16EdEEv20rocsparse_direction_iiiiii21rocsparse_index_base_PKT3_PKiS7_S2_PS3_PiS9_,"axG",@progbits,_ZN9rocsparseL44csr2gebsr_wavefront_per_row_multipass_kernelILi256ELi8ELi2ELi16EdEEv20rocsparse_direction_iiiiii21rocsparse_index_base_PKT3_PKiS7_S2_PS3_PiS9_,comdat
	.globl	_ZN9rocsparseL44csr2gebsr_wavefront_per_row_multipass_kernelILi256ELi8ELi2ELi16EdEEv20rocsparse_direction_iiiiii21rocsparse_index_base_PKT3_PKiS7_S2_PS3_PiS9_ ; -- Begin function _ZN9rocsparseL44csr2gebsr_wavefront_per_row_multipass_kernelILi256ELi8ELi2ELi16EdEEv20rocsparse_direction_iiiiii21rocsparse_index_base_PKT3_PKiS7_S2_PS3_PiS9_
	.p2align	8
	.type	_ZN9rocsparseL44csr2gebsr_wavefront_per_row_multipass_kernelILi256ELi8ELi2ELi16EdEEv20rocsparse_direction_iiiiii21rocsparse_index_base_PKT3_PKiS7_S2_PS3_PiS9_,@function
_ZN9rocsparseL44csr2gebsr_wavefront_per_row_multipass_kernelILi256ELi8ELi2ELi16EdEEv20rocsparse_direction_iiiiii21rocsparse_index_base_PKT3_PKiS7_S2_PS3_PiS9_: ; @_ZN9rocsparseL44csr2gebsr_wavefront_per_row_multipass_kernelILi256ELi8ELi2ELi16EdEEv20rocsparse_direction_iiiiii21rocsparse_index_base_PKT3_PKiS7_S2_PS3_PiS9_
; %bb.0:
	s_clause 0x1
	s_load_b128 s[4:7], s[0:1], 0xc
	s_load_b64 s[12:13], s[0:1], 0x0
	s_bfe_u32 s2, ttmp6, 0x4000c
	s_and_b32 s3, ttmp6, 15
	s_add_co_i32 s2, s2, 1
	s_getreg_b32 s8, hwreg(HW_REG_IB_STS2, 6, 4)
	s_mul_i32 s2, ttmp9, s2
	v_dual_lshrrev_b32 v18, 4, v0 :: v_dual_mov_b32 v2, 0
	s_add_co_i32 s3, s3, s2
	s_cmp_eq_u32 s8, 0
	v_bfe_u32 v1, v0, 1, 3
	s_cselect_b32 s2, ttmp9, s3
	s_clause 0x1
	s_load_b32 s16, s[0:1], 0x1c
	s_load_b64 s[8:9], s[0:1], 0x28
	v_lshl_or_b32 v3, s2, 4, v18
	v_mov_b32_e32 v6, 0
	s_wait_kmcnt 0x0
	s_delay_alu instid0(VALU_DEP_2) | instskip(SKIP_1) | instid1(VALU_DEP_2)
	v_mad_u32 v4, v3, s6, v1
	v_cmp_gt_i32_e32 vcc_lo, s6, v1
	v_cmp_gt_i32_e64 s2, s13, v4
	s_and_b32 s2, vcc_lo, s2
	s_delay_alu instid0(SALU_CYCLE_1)
	s_and_saveexec_b32 s3, s2
	s_cbranch_execz .LBB89_2
; %bb.1:
	global_load_b32 v5, v4, s[8:9] scale_offset
	s_wait_loadcnt 0x0
	v_subrev_nc_u32_e32 v6, s16, v5
.LBB89_2:
	s_or_b32 exec_lo, exec_lo, s3
	v_mov_b32_e32 v19, 0
	s_and_saveexec_b32 s3, s2
	s_cbranch_execz .LBB89_4
; %bb.3:
	global_load_b32 v4, v4, s[8:9] offset:4 scale_offset
	s_wait_loadcnt 0x0
	v_subrev_nc_u32_e32 v19, s16, v4
.LBB89_4:
	s_or_b32 exec_lo, exec_lo, s3
	s_load_b32 s17, s[0:1], 0x38
	s_mov_b32 s3, exec_lo
	v_cmpx_gt_i32_e64 s4, v3
	s_cbranch_execz .LBB89_6
; %bb.5:
	s_load_b64 s[8:9], s[0:1], 0x48
	s_wait_kmcnt 0x0
	global_load_b32 v2, v3, s[8:9] scale_offset
	s_wait_loadcnt 0x0
	v_subrev_nc_u32_e32 v2, s17, v2
.LBB89_6:
	s_or_b32 exec_lo, exec_lo, s3
	s_cmp_lt_i32 s5, 1
	s_cbranch_scc1 .LBB89_24
; %bb.7:
	v_mbcnt_lo_u32_b32 v3, -1, 0
	s_clause 0x3
	s_load_b64 s[2:3], s[0:1], 0x50
	s_load_b64 s[14:15], s[0:1], 0x40
	;; [unrolled: 1-line block ×4, first 2 shown]
	v_and_b32_e32 v5, 0xf0, v0
	v_and_b32_e32 v0, 1, v0
	v_mul_lo_u32 v8, s7, v1
	v_dual_lshlrev_b32 v7, 4, v1 :: v_dual_bitop2_b32 v4, 1, v3 bitop3:0x14
	s_mov_b32 s13, 0
	v_mov_b32_e32 v28, 1
	s_wait_xcnt 0x0
	s_delay_alu instid0(VALU_DEP_2) | instskip(SKIP_2) | instid1(VALU_DEP_3)
	v_cmp_gt_i32_e64 s0, 32, v4
	v_lshl_or_b32 v20, v5, 3, v7
	v_dual_lshlrev_b32 v7, 2, v3 :: v_dual_lshlrev_b32 v10, 3, v0
	v_dual_mov_b32 v5, 0 :: v_dual_cndmask_b32 v4, v3, v4, s0
	v_cmp_gt_u32_e64 s0, s7, v0
	s_delay_alu instid0(VALU_DEP_3) | instskip(NEXT) | instid1(VALU_DEP_3)
	v_dual_ashrrev_i32 v9, 31, v8 :: v_dual_bitop2_b32 v22, 4, v7 bitop3:0x54
	v_dual_mov_b32 v11, v5 :: v_dual_lshlrev_b32 v21, 2, v4
	v_mul_lo_u32 v4, s6, v0
	s_and_b32 s4, vcc_lo, s0
	s_cmp_lg_u32 s12, 0
	s_mov_b32 s12, s6
	s_cselect_b32 s18, -1, 0
	s_abs_i32 s6, s7
	s_wait_kmcnt 0x0
	v_lshl_add_u64 v[14:15], v[8:9], 3, s[14:15]
	s_cvt_f32_u32 s19, s6
	v_or_b32_e32 v27, 60, v7
	s_ashr_i32 s1, s7, 31
	s_mov_b32 s0, s7
	v_lshl_add_u64 v[12:13], v[4:5], 3, s[14:15]
	v_dual_lshlrev_b32 v4, 3, v1 :: v_dual_bitop2_b32 v23, v20, v10 bitop3:0x54
	v_rcp_iflag_f32_e32 v16, s19
	v_mov_b32_e32 v1, v5
	v_add_nc_u64_e32 v[10:11], v[14:15], v[10:11]
	s_delay_alu instid0(VALU_DEP_3) | instskip(SKIP_2) | instid1(TRANS32_DEP_1)
	v_add_nc_u64_e32 v[8:9], v[12:13], v[4:5]
	v_xor_b32_e32 v12, 4, v3
	v_xor_b32_e32 v4, 8, v3
	v_readfirstlane_b32 s14, v16
	s_delay_alu instid0(VALU_DEP_2) | instskip(SKIP_3) | instid1(SALU_CYCLE_1)
	v_cmp_gt_i32_e32 vcc_lo, 32, v4
	s_mul_f32 s14, s14, 0x4f7ffffe
	v_dual_cndmask_b32 v4, v3, v4, vcc_lo :: v_dual_bitop2_b32 v13, 2, v3 bitop3:0x14
	v_cmp_gt_i32_e32 vcc_lo, 32, v12
	s_cvt_u32_f32 s19, s14
	s_sub_co_i32 s14, 0, s6
	s_delay_alu instid0(VALU_DEP_2) | instskip(SKIP_3) | instid1(SALU_CYCLE_1)
	v_lshlrev_b32_e32 v24, 2, v4
	v_cndmask_b32_e32 v12, v3, v12, vcc_lo
	v_cmp_gt_i32_e32 vcc_lo, 32, v13
	s_mul_i32 s14, s14, s19
	s_mul_hi_u32 s20, s19, s14
	s_delay_alu instid0(VALU_DEP_2)
	v_dual_lshlrev_b32 v25, 2, v12 :: v_dual_cndmask_b32 v3, v3, v13, vcc_lo
	v_mov_b64_e32 v[12:13], 0
	s_mul_u64 s[14:15], s[0:1], s[12:13]
	s_add_co_i32 s12, s19, s20
	s_mov_b32 s19, s13
	v_dual_mov_b32 v3, 0 :: v_dual_lshlrev_b32 v26, 2, v3
	s_branch .LBB89_10
.LBB89_8:                               ;   in Loop: Header=BB89_10 Depth=1
	s_wait_xcnt 0x0
	s_or_b32 exec_lo, exec_lo, s20
	v_mov_b32_e32 v4, 1
.LBB89_9:                               ;   in Loop: Header=BB89_10 Depth=1
	s_or_b32 exec_lo, exec_lo, s0
	ds_bpermute_b32 v3, v24, v29
	s_wait_storecnt_dscnt 0x0
	v_dual_add_nc_u32 v2, v4, v2 :: v_dual_min_i32 v3, v3, v29
	ds_bpermute_b32 v7, v25, v3
	s_wait_dscnt 0x0
	v_min_i32_e32 v3, v7, v3
	ds_bpermute_b32 v7, v26, v3
	s_wait_dscnt 0x0
	v_min_i32_e32 v3, v7, v3
	;; [unrolled: 3-line block ×3, first 2 shown]
	ds_bpermute_b32 v3, v27, v3
	s_wait_dscnt 0x0
	v_cmp_le_i32_e32 vcc_lo, s5, v3
	s_or_b32 s19, vcc_lo, s19
	s_delay_alu instid0(SALU_CYCLE_1)
	s_and_not1_b32 exec_lo, exec_lo, s19
	s_cbranch_execz .LBB89_24
.LBB89_10:                              ; =>This Loop Header: Depth=1
                                        ;     Child Loop BB89_13 Depth 2
	v_dual_mov_b32 v29, s5 :: v_dual_add_nc_u32 v16, v6, v0
	v_mov_b32_e32 v30, v19
	s_mov_b32 s20, exec_lo
	ds_store_b8 v18, v5 offset:2048
	ds_store_b64 v23, v[12:13]
	s_wait_dscnt 0x0
	v_cmpx_lt_i32_e64 v16, v19
	s_cbranch_execz .LBB89_18
; %bb.11:                               ;   in Loop: Header=BB89_10 Depth=1
	v_dual_ashrrev_i32 v7, 31, v6 :: v_dual_mov_b32 v29, s5
	v_mul_lo_u32 v17, v3, s7
	v_mov_b32_e32 v30, v19
	s_mov_b32 s21, 0
	s_delay_alu instid0(VALU_DEP_3) | instskip(NEXT) | instid1(VALU_DEP_1)
	v_add_nc_u64_e32 v[14:15], v[0:1], v[6:7]
	v_lshl_add_u64 v[6:7], v[14:15], 2, s[10:11]
	v_lshl_add_u64 v[14:15], v[14:15], 3, s[8:9]
	s_branch .LBB89_13
.LBB89_12:                              ;   in Loop: Header=BB89_13 Depth=2
	s_wait_xcnt 0x0
	s_or_b32 exec_lo, exec_lo, s0
	v_add_nc_u32_e32 v16, 2, v16
	s_xor_b32 s22, vcc_lo, -1
	v_add_nc_u64_e32 v[6:7], 8, v[6:7]
	v_add_nc_u64_e32 v[14:15], 16, v[14:15]
	s_delay_alu instid0(VALU_DEP_3) | instskip(SKIP_1) | instid1(SALU_CYCLE_1)
	v_cmp_ge_i32_e64 s0, v16, v19
	s_or_b32 s0, s22, s0
	s_and_b32 s0, exec_lo, s0
	s_delay_alu instid0(SALU_CYCLE_1) | instskip(NEXT) | instid1(SALU_CYCLE_1)
	s_or_b32 s21, s0, s21
	s_and_not1_b32 exec_lo, exec_lo, s21
	s_cbranch_execz .LBB89_17
.LBB89_13:                              ;   Parent Loop BB89_10 Depth=1
                                        ; =>  This Inner Loop Header: Depth=2
	global_load_b32 v4, v[6:7], off
	s_wait_loadcnt 0x0
	v_subrev_nc_u32_e32 v31, s16, v4
	s_delay_alu instid0(VALU_DEP_1) | instskip(NEXT) | instid1(VALU_DEP_1)
	v_sub_nc_u32_e32 v4, 0, v31
	v_max_i32_e32 v4, v31, v4
	s_delay_alu instid0(VALU_DEP_1) | instskip(NEXT) | instid1(VALU_DEP_1)
	v_mul_u64_e32 v[32:33], s[12:13], v[4:5]
	v_mul_lo_u32 v32, v33, s6
	s_delay_alu instid0(VALU_DEP_1) | instskip(NEXT) | instid1(VALU_DEP_1)
	v_dual_sub_nc_u32 v4, v4, v32 :: v_dual_add_nc_u32 v32, 1, v33
	v_cmp_le_u32_e32 vcc_lo, s6, v4
	s_delay_alu instid0(VALU_DEP_2) | instskip(SKIP_1) | instid1(VALU_DEP_1)
	v_cndmask_b32_e32 v32, v33, v32, vcc_lo
	v_subrev_nc_u32_e32 v34, s6, v4
	v_dual_cndmask_b32 v4, v4, v34 :: v_dual_ashrrev_i32 v33, 31, v31
	s_delay_alu instid0(VALU_DEP_3) | instskip(NEXT) | instid1(VALU_DEP_2)
	v_add_nc_u32_e32 v34, 1, v32
	v_cmp_le_u32_e32 vcc_lo, s6, v4
	s_delay_alu instid0(VALU_DEP_2) | instskip(NEXT) | instid1(VALU_DEP_1)
	v_dual_cndmask_b32 v4, v32, v34, vcc_lo :: v_dual_bitop2_b32 v33, s1, v33 bitop3:0x14
	v_xor_b32_e32 v4, v4, v33
	s_delay_alu instid0(VALU_DEP_1) | instskip(NEXT) | instid1(VALU_DEP_1)
	v_dual_sub_nc_u32 v32, v4, v33 :: v_dual_mov_b32 v4, v30
	v_cmp_ne_u32_e64 s0, v32, v3
	v_cmp_eq_u32_e32 vcc_lo, v32, v3
	s_wait_xcnt 0x0
	s_and_saveexec_b32 s22, s0
	s_delay_alu instid0(SALU_CYCLE_1)
	s_xor_b32 s0, exec_lo, s22
; %bb.14:                               ;   in Loop: Header=BB89_13 Depth=2
	v_min_i32_e32 v29, v32, v29
                                        ; implicit-def: $vgpr31
                                        ; implicit-def: $vgpr4
; %bb.15:                               ;   in Loop: Header=BB89_13 Depth=2
	s_or_saveexec_b32 s0, s0
	v_mov_b32_e32 v30, v16
	s_xor_b32 exec_lo, exec_lo, s0
	s_cbranch_execz .LBB89_12
; %bb.16:                               ;   in Loop: Header=BB89_13 Depth=2
	global_load_b64 v[32:33], v[14:15], off
	v_sub_nc_u32_e32 v30, v31, v17
	s_delay_alu instid0(VALU_DEP_1)
	v_lshl_add_u32 v31, v30, 3, v20
	v_mov_b32_e32 v30, v4
	ds_store_b8 v18, v28 offset:2048
	s_wait_loadcnt 0x0
	ds_store_b64 v31, v[32:33]
	s_branch .LBB89_12
.LBB89_17:                              ;   in Loop: Header=BB89_10 Depth=1
	s_or_b32 exec_lo, exec_lo, s21
.LBB89_18:                              ;   in Loop: Header=BB89_10 Depth=1
	s_delay_alu instid0(SALU_CYCLE_1)
	s_or_b32 exec_lo, exec_lo, s20
	ds_bpermute_b32 v4, v21, v30
	s_wait_dscnt 0x0
	ds_load_u8 v7, v18 offset:2048
	v_min_i32_e32 v4, v4, v30
	ds_bpermute_b32 v6, v22, v4
	s_wait_dscnt 0x1
	v_and_b32_e32 v4, 1, v7
	s_delay_alu instid0(VALU_DEP_1)
	v_cmp_eq_u32_e32 vcc_lo, 1, v4
	v_mov_b32_e32 v4, 0
	s_and_saveexec_b32 s0, vcc_lo
	s_cbranch_execz .LBB89_9
; %bb.19:                               ;   in Loop: Header=BB89_10 Depth=1
	v_add_nc_u32_e32 v3, s17, v3
	global_store_b32 v2, v3, s[2:3] scale_offset
	s_wait_xcnt 0x0
	s_and_saveexec_b32 s20, s4
	s_cbranch_execz .LBB89_8
; %bb.20:                               ;   in Loop: Header=BB89_10 Depth=1
	v_ashrrev_i32_e32 v3, 31, v2
	ds_load_b64 v[16:17], v23
	s_and_b32 vcc_lo, exec_lo, s18
	v_mul_u64_e32 v[14:15], s[14:15], v[2:3]
	s_cbranch_vccz .LBB89_22
; %bb.21:                               ;   in Loop: Header=BB89_10 Depth=1
	s_delay_alu instid0(VALU_DEP_1)
	v_lshl_add_u64 v[30:31], v[14:15], 3, v[8:9]
	s_wait_dscnt 0x0
	global_store_b64 v[30:31], v[16:17], off
	s_cbranch_execnz .LBB89_8
	s_branch .LBB89_23
.LBB89_22:                              ;   in Loop: Header=BB89_10 Depth=1
.LBB89_23:                              ;   in Loop: Header=BB89_10 Depth=1
	s_delay_alu instid0(VALU_DEP_1)
	v_lshl_add_u64 v[14:15], v[14:15], 3, v[10:11]
	s_wait_dscnt 0x0
	global_store_b64 v[14:15], v[16:17], off
	s_branch .LBB89_8
.LBB89_24:
	s_endpgm
	.section	.rodata,"a",@progbits
	.p2align	6, 0x0
	.amdhsa_kernel _ZN9rocsparseL44csr2gebsr_wavefront_per_row_multipass_kernelILi256ELi8ELi2ELi16EdEEv20rocsparse_direction_iiiiii21rocsparse_index_base_PKT3_PKiS7_S2_PS3_PiS9_
		.amdhsa_group_segment_fixed_size 2064
		.amdhsa_private_segment_fixed_size 0
		.amdhsa_kernarg_size 88
		.amdhsa_user_sgpr_count 2
		.amdhsa_user_sgpr_dispatch_ptr 0
		.amdhsa_user_sgpr_queue_ptr 0
		.amdhsa_user_sgpr_kernarg_segment_ptr 1
		.amdhsa_user_sgpr_dispatch_id 0
		.amdhsa_user_sgpr_kernarg_preload_length 0
		.amdhsa_user_sgpr_kernarg_preload_offset 0
		.amdhsa_user_sgpr_private_segment_size 0
		.amdhsa_wavefront_size32 1
		.amdhsa_uses_dynamic_stack 0
		.amdhsa_enable_private_segment 0
		.amdhsa_system_sgpr_workgroup_id_x 1
		.amdhsa_system_sgpr_workgroup_id_y 0
		.amdhsa_system_sgpr_workgroup_id_z 0
		.amdhsa_system_sgpr_workgroup_info 0
		.amdhsa_system_vgpr_workitem_id 0
		.amdhsa_next_free_vgpr 35
		.amdhsa_next_free_sgpr 23
		.amdhsa_named_barrier_count 0
		.amdhsa_reserve_vcc 1
		.amdhsa_float_round_mode_32 0
		.amdhsa_float_round_mode_16_64 0
		.amdhsa_float_denorm_mode_32 3
		.amdhsa_float_denorm_mode_16_64 3
		.amdhsa_fp16_overflow 0
		.amdhsa_memory_ordered 1
		.amdhsa_forward_progress 1
		.amdhsa_inst_pref_size 11
		.amdhsa_round_robin_scheduling 0
		.amdhsa_exception_fp_ieee_invalid_op 0
		.amdhsa_exception_fp_denorm_src 0
		.amdhsa_exception_fp_ieee_div_zero 0
		.amdhsa_exception_fp_ieee_overflow 0
		.amdhsa_exception_fp_ieee_underflow 0
		.amdhsa_exception_fp_ieee_inexact 0
		.amdhsa_exception_int_div_zero 0
	.end_amdhsa_kernel
	.section	.text._ZN9rocsparseL44csr2gebsr_wavefront_per_row_multipass_kernelILi256ELi8ELi2ELi16EdEEv20rocsparse_direction_iiiiii21rocsparse_index_base_PKT3_PKiS7_S2_PS3_PiS9_,"axG",@progbits,_ZN9rocsparseL44csr2gebsr_wavefront_per_row_multipass_kernelILi256ELi8ELi2ELi16EdEEv20rocsparse_direction_iiiiii21rocsparse_index_base_PKT3_PKiS7_S2_PS3_PiS9_,comdat
.Lfunc_end89:
	.size	_ZN9rocsparseL44csr2gebsr_wavefront_per_row_multipass_kernelILi256ELi8ELi2ELi16EdEEv20rocsparse_direction_iiiiii21rocsparse_index_base_PKT3_PKiS7_S2_PS3_PiS9_, .Lfunc_end89-_ZN9rocsparseL44csr2gebsr_wavefront_per_row_multipass_kernelILi256ELi8ELi2ELi16EdEEv20rocsparse_direction_iiiiii21rocsparse_index_base_PKT3_PKiS7_S2_PS3_PiS9_
                                        ; -- End function
	.set _ZN9rocsparseL44csr2gebsr_wavefront_per_row_multipass_kernelILi256ELi8ELi2ELi16EdEEv20rocsparse_direction_iiiiii21rocsparse_index_base_PKT3_PKiS7_S2_PS3_PiS9_.num_vgpr, 35
	.set _ZN9rocsparseL44csr2gebsr_wavefront_per_row_multipass_kernelILi256ELi8ELi2ELi16EdEEv20rocsparse_direction_iiiiii21rocsparse_index_base_PKT3_PKiS7_S2_PS3_PiS9_.num_agpr, 0
	.set _ZN9rocsparseL44csr2gebsr_wavefront_per_row_multipass_kernelILi256ELi8ELi2ELi16EdEEv20rocsparse_direction_iiiiii21rocsparse_index_base_PKT3_PKiS7_S2_PS3_PiS9_.numbered_sgpr, 23
	.set _ZN9rocsparseL44csr2gebsr_wavefront_per_row_multipass_kernelILi256ELi8ELi2ELi16EdEEv20rocsparse_direction_iiiiii21rocsparse_index_base_PKT3_PKiS7_S2_PS3_PiS9_.num_named_barrier, 0
	.set _ZN9rocsparseL44csr2gebsr_wavefront_per_row_multipass_kernelILi256ELi8ELi2ELi16EdEEv20rocsparse_direction_iiiiii21rocsparse_index_base_PKT3_PKiS7_S2_PS3_PiS9_.private_seg_size, 0
	.set _ZN9rocsparseL44csr2gebsr_wavefront_per_row_multipass_kernelILi256ELi8ELi2ELi16EdEEv20rocsparse_direction_iiiiii21rocsparse_index_base_PKT3_PKiS7_S2_PS3_PiS9_.uses_vcc, 1
	.set _ZN9rocsparseL44csr2gebsr_wavefront_per_row_multipass_kernelILi256ELi8ELi2ELi16EdEEv20rocsparse_direction_iiiiii21rocsparse_index_base_PKT3_PKiS7_S2_PS3_PiS9_.uses_flat_scratch, 0
	.set _ZN9rocsparseL44csr2gebsr_wavefront_per_row_multipass_kernelILi256ELi8ELi2ELi16EdEEv20rocsparse_direction_iiiiii21rocsparse_index_base_PKT3_PKiS7_S2_PS3_PiS9_.has_dyn_sized_stack, 0
	.set _ZN9rocsparseL44csr2gebsr_wavefront_per_row_multipass_kernelILi256ELi8ELi2ELi16EdEEv20rocsparse_direction_iiiiii21rocsparse_index_base_PKT3_PKiS7_S2_PS3_PiS9_.has_recursion, 0
	.set _ZN9rocsparseL44csr2gebsr_wavefront_per_row_multipass_kernelILi256ELi8ELi2ELi16EdEEv20rocsparse_direction_iiiiii21rocsparse_index_base_PKT3_PKiS7_S2_PS3_PiS9_.has_indirect_call, 0
	.section	.AMDGPU.csdata,"",@progbits
; Kernel info:
; codeLenInByte = 1384
; TotalNumSgprs: 25
; NumVgprs: 35
; ScratchSize: 0
; MemoryBound: 0
; FloatMode: 240
; IeeeMode: 1
; LDSByteSize: 2064 bytes/workgroup (compile time only)
; SGPRBlocks: 0
; VGPRBlocks: 2
; NumSGPRsForWavesPerEU: 25
; NumVGPRsForWavesPerEU: 35
; NamedBarCnt: 0
; Occupancy: 16
; WaveLimiterHint : 0
; COMPUTE_PGM_RSRC2:SCRATCH_EN: 0
; COMPUTE_PGM_RSRC2:USER_SGPR: 2
; COMPUTE_PGM_RSRC2:TRAP_HANDLER: 0
; COMPUTE_PGM_RSRC2:TGID_X_EN: 1
; COMPUTE_PGM_RSRC2:TGID_Y_EN: 0
; COMPUTE_PGM_RSRC2:TGID_Z_EN: 0
; COMPUTE_PGM_RSRC2:TIDIG_COMP_CNT: 0
	.section	.text._ZN9rocsparseL44csr2gebsr_wavefront_per_row_multipass_kernelILi256ELi8ELi4ELi32EdEEv20rocsparse_direction_iiiiii21rocsparse_index_base_PKT3_PKiS7_S2_PS3_PiS9_,"axG",@progbits,_ZN9rocsparseL44csr2gebsr_wavefront_per_row_multipass_kernelILi256ELi8ELi4ELi32EdEEv20rocsparse_direction_iiiiii21rocsparse_index_base_PKT3_PKiS7_S2_PS3_PiS9_,comdat
	.globl	_ZN9rocsparseL44csr2gebsr_wavefront_per_row_multipass_kernelILi256ELi8ELi4ELi32EdEEv20rocsparse_direction_iiiiii21rocsparse_index_base_PKT3_PKiS7_S2_PS3_PiS9_ ; -- Begin function _ZN9rocsparseL44csr2gebsr_wavefront_per_row_multipass_kernelILi256ELi8ELi4ELi32EdEEv20rocsparse_direction_iiiiii21rocsparse_index_base_PKT3_PKiS7_S2_PS3_PiS9_
	.p2align	8
	.type	_ZN9rocsparseL44csr2gebsr_wavefront_per_row_multipass_kernelILi256ELi8ELi4ELi32EdEEv20rocsparse_direction_iiiiii21rocsparse_index_base_PKT3_PKiS7_S2_PS3_PiS9_,@function
_ZN9rocsparseL44csr2gebsr_wavefront_per_row_multipass_kernelILi256ELi8ELi4ELi32EdEEv20rocsparse_direction_iiiiii21rocsparse_index_base_PKT3_PKiS7_S2_PS3_PiS9_: ; @_ZN9rocsparseL44csr2gebsr_wavefront_per_row_multipass_kernelILi256ELi8ELi4ELi32EdEEv20rocsparse_direction_iiiiii21rocsparse_index_base_PKT3_PKiS7_S2_PS3_PiS9_
; %bb.0:
	s_clause 0x1
	s_load_b128 s[4:7], s[0:1], 0xc
	s_load_b64 s[12:13], s[0:1], 0x0
	s_bfe_u32 s2, ttmp6, 0x4000c
	s_and_b32 s3, ttmp6, 15
	s_add_co_i32 s2, s2, 1
	s_getreg_b32 s8, hwreg(HW_REG_IB_STS2, 6, 4)
	s_mul_i32 s2, ttmp9, s2
	v_dual_lshrrev_b32 v18, 5, v0 :: v_dual_mov_b32 v2, 0
	s_add_co_i32 s3, s3, s2
	s_cmp_eq_u32 s8, 0
	v_bfe_u32 v1, v0, 2, 3
	s_cselect_b32 s2, ttmp9, s3
	s_clause 0x1
	s_load_b32 s16, s[0:1], 0x1c
	s_load_b64 s[8:9], s[0:1], 0x28
	v_lshl_or_b32 v3, s2, 3, v18
	v_mov_b32_e32 v6, 0
	s_wait_kmcnt 0x0
	s_delay_alu instid0(VALU_DEP_2) | instskip(SKIP_1) | instid1(VALU_DEP_2)
	v_mad_u32 v4, v3, s6, v1
	v_cmp_gt_i32_e32 vcc_lo, s6, v1
	v_cmp_gt_i32_e64 s2, s13, v4
	s_and_b32 s2, vcc_lo, s2
	s_delay_alu instid0(SALU_CYCLE_1)
	s_and_saveexec_b32 s3, s2
	s_cbranch_execz .LBB90_2
; %bb.1:
	global_load_b32 v5, v4, s[8:9] scale_offset
	s_wait_loadcnt 0x0
	v_subrev_nc_u32_e32 v6, s16, v5
.LBB90_2:
	s_or_b32 exec_lo, exec_lo, s3
	v_mov_b32_e32 v19, 0
	s_and_saveexec_b32 s3, s2
	s_cbranch_execz .LBB90_4
; %bb.3:
	global_load_b32 v4, v4, s[8:9] offset:4 scale_offset
	s_wait_loadcnt 0x0
	v_subrev_nc_u32_e32 v19, s16, v4
.LBB90_4:
	s_or_b32 exec_lo, exec_lo, s3
	s_load_b32 s17, s[0:1], 0x38
	s_mov_b32 s3, exec_lo
	v_cmpx_gt_i32_e64 s4, v3
	s_cbranch_execz .LBB90_6
; %bb.5:
	s_load_b64 s[8:9], s[0:1], 0x48
	s_wait_kmcnt 0x0
	global_load_b32 v2, v3, s[8:9] scale_offset
	s_wait_loadcnt 0x0
	v_subrev_nc_u32_e32 v2, s17, v2
.LBB90_6:
	s_or_b32 exec_lo, exec_lo, s3
	s_cmp_lt_i32 s5, 1
	s_cbranch_scc1 .LBB90_24
; %bb.7:
	v_mbcnt_lo_u32_b32 v3, -1, 0
	s_clause 0x3
	s_load_b64 s[2:3], s[0:1], 0x50
	s_load_b64 s[14:15], s[0:1], 0x40
	;; [unrolled: 1-line block ×4, first 2 shown]
	v_and_b32_e32 v7, 0xe0, v0
	s_mov_b32 s13, 0
	v_dual_lshlrev_b32 v8, 5, v1 :: v_dual_bitop2_b32 v4, 2, v3 bitop3:0x14
	v_lshl_or_b32 v23, v3, 2, 12
	v_dual_mov_b32 v29, 1 :: v_dual_bitop2_b32 v0, 3, v0 bitop3:0x40
	s_delay_alu instid0(VALU_DEP_3)
	v_lshl_or_b32 v20, v7, 3, v8
	s_wait_xcnt 0x0
	v_cmp_gt_i32_e64 s0, 32, v4
	v_xor_b32_e32 v5, 1, v3
	v_mul_lo_u32 v8, s7, v1
	v_lshlrev_b32_e32 v10, 3, v0
	v_mov_b32_e32 v28, 0x7c
	v_cndmask_b32_e64 v4, v3, v4, s0
	v_cmp_gt_i32_e64 s0, 32, v5
	s_delay_alu instid0(VALU_DEP_1) | instskip(SKIP_2) | instid1(VALU_DEP_3)
	v_dual_cndmask_b32 v5, v3, v5, s0 :: v_dual_lshlrev_b32 v21, 2, v4
	v_mul_lo_u32 v4, s6, v0
	v_cmp_gt_u32_e64 s0, s7, v0
	v_dual_ashrrev_i32 v9, 31, v8 :: v_dual_lshlrev_b32 v22, 2, v5
	v_dual_mov_b32 v5, 0 :: v_dual_bitop2_b32 v24, v20, v10 bitop3:0x54
	s_and_b32 s4, vcc_lo, s0
	s_cmp_lg_u32 s12, 0
	s_mov_b32 s12, s6
	s_cselect_b32 s18, -1, 0
	s_abs_i32 s6, s7
	s_wait_kmcnt 0x0
	v_lshl_add_u64 v[12:13], v[4:5], 3, s[14:15]
	v_dual_mov_b32 v11, v5 :: v_dual_lshlrev_b32 v4, 3, v1
	s_cvt_f32_u32 s19, s6
	v_lshl_add_u64 v[14:15], v[8:9], 3, s[14:15]
	v_mov_b32_e32 v1, v5
	s_delay_alu instid0(VALU_DEP_3)
	v_add_nc_u64_e32 v[8:9], v[12:13], v[4:5]
	v_xor_b32_e32 v4, 16, v3
	v_rcp_iflag_f32_e32 v7, s19
	v_add_nc_u64_e32 v[10:11], v[14:15], v[10:11]
	s_ashr_i32 s1, s7, 31
	s_mov_b32 s0, s7
	v_cmp_gt_i32_e32 vcc_lo, 32, v4
	v_xor_b32_e32 v12, 8, v3
	s_delay_alu instid0(TRANS32_DEP_1) | instskip(SKIP_1) | instid1(VALU_DEP_3)
	v_readfirstlane_b32 s14, v7
	v_cndmask_b32_e32 v4, v3, v4, vcc_lo
	v_cmp_gt_i32_e32 vcc_lo, 32, v12
	v_xor_b32_e32 v13, 4, v3
	s_mul_f32 s14, s14, 0x4f7ffffe
	s_delay_alu instid0(VALU_DEP_3) | instskip(SKIP_1) | instid1(VALU_DEP_3)
	v_lshlrev_b32_e32 v25, 2, v4
	v_cndmask_b32_e32 v7, v3, v12, vcc_lo
	v_cmp_gt_i32_e32 vcc_lo, 32, v13
	s_cvt_u32_f32 s19, s14
	s_sub_co_i32 s14, 0, s6
	s_delay_alu instid0(VALU_DEP_2) | instskip(SKIP_2) | instid1(SALU_CYCLE_1)
	v_dual_cndmask_b32 v3, v3, v13 :: v_dual_lshlrev_b32 v26, 2, v7
	v_mov_b64_e32 v[12:13], 0
	s_mul_i32 s14, s14, s19
	s_mul_hi_u32 s20, s19, s14
	s_delay_alu instid0(VALU_DEP_2)
	v_dual_lshlrev_b32 v27, 2, v3 :: v_dual_mov_b32 v3, 0
	s_mul_u64 s[14:15], s[0:1], s[12:13]
	s_add_co_i32 s12, s19, s20
	s_mov_b32 s19, s13
	s_branch .LBB90_10
.LBB90_8:                               ;   in Loop: Header=BB90_10 Depth=1
	s_wait_xcnt 0x0
	s_or_b32 exec_lo, exec_lo, s20
	v_mov_b32_e32 v4, 1
.LBB90_9:                               ;   in Loop: Header=BB90_10 Depth=1
	s_or_b32 exec_lo, exec_lo, s0
	ds_bpermute_b32 v3, v25, v30
	s_wait_storecnt_dscnt 0x0
	v_add_nc_u32_e32 v2, v4, v2
	v_min_i32_e32 v3, v3, v30
	ds_bpermute_b32 v7, v26, v3
	s_wait_dscnt 0x0
	v_min_i32_e32 v3, v7, v3
	ds_bpermute_b32 v7, v27, v3
	s_wait_dscnt 0x0
	;; [unrolled: 3-line block ×5, first 2 shown]
	v_cmp_le_i32_e32 vcc_lo, s5, v3
	s_or_b32 s19, vcc_lo, s19
	s_delay_alu instid0(SALU_CYCLE_1)
	s_and_not1_b32 exec_lo, exec_lo, s19
	s_cbranch_execz .LBB90_24
.LBB90_10:                              ; =>This Loop Header: Depth=1
                                        ;     Child Loop BB90_13 Depth 2
	v_dual_add_nc_u32 v16, v6, v0 :: v_dual_mov_b32 v30, s5
	v_mov_b32_e32 v31, v19
	s_mov_b32 s20, exec_lo
	ds_store_b8 v18, v5 offset:2048
	ds_store_b64 v24, v[12:13]
	s_wait_dscnt 0x0
	v_cmpx_lt_i32_e64 v16, v19
	s_cbranch_execz .LBB90_18
; %bb.11:                               ;   in Loop: Header=BB90_10 Depth=1
	v_dual_mov_b32 v30, s5 :: v_dual_ashrrev_i32 v7, 31, v6
	v_mul_lo_u32 v17, v3, s7
	v_mov_b32_e32 v31, v19
	s_mov_b32 s21, 0
	s_delay_alu instid0(VALU_DEP_3) | instskip(NEXT) | instid1(VALU_DEP_1)
	v_add_nc_u64_e32 v[14:15], v[0:1], v[6:7]
	v_lshl_add_u64 v[6:7], v[14:15], 2, s[10:11]
	v_lshl_add_u64 v[14:15], v[14:15], 3, s[8:9]
	s_branch .LBB90_13
.LBB90_12:                              ;   in Loop: Header=BB90_13 Depth=2
	s_wait_xcnt 0x0
	s_or_b32 exec_lo, exec_lo, s0
	v_add_nc_u32_e32 v16, 4, v16
	s_xor_b32 s22, vcc_lo, -1
	v_add_nc_u64_e32 v[6:7], 16, v[6:7]
	v_add_nc_u64_e32 v[14:15], 32, v[14:15]
	s_delay_alu instid0(VALU_DEP_3) | instskip(SKIP_1) | instid1(SALU_CYCLE_1)
	v_cmp_ge_i32_e64 s0, v16, v19
	s_or_b32 s0, s22, s0
	s_and_b32 s0, exec_lo, s0
	s_delay_alu instid0(SALU_CYCLE_1) | instskip(NEXT) | instid1(SALU_CYCLE_1)
	s_or_b32 s21, s0, s21
	s_and_not1_b32 exec_lo, exec_lo, s21
	s_cbranch_execz .LBB90_17
.LBB90_13:                              ;   Parent Loop BB90_10 Depth=1
                                        ; =>  This Inner Loop Header: Depth=2
	global_load_b32 v4, v[6:7], off
	s_wait_loadcnt 0x0
	v_subrev_nc_u32_e32 v32, s16, v4
	s_delay_alu instid0(VALU_DEP_1) | instskip(NEXT) | instid1(VALU_DEP_1)
	v_sub_nc_u32_e32 v4, 0, v32
	v_max_i32_e32 v4, v32, v4
	s_delay_alu instid0(VALU_DEP_1) | instskip(NEXT) | instid1(VALU_DEP_1)
	v_mul_u64_e32 v[34:35], s[12:13], v[4:5]
	v_mul_lo_u32 v33, v35, s6
	s_delay_alu instid0(VALU_DEP_1) | instskip(NEXT) | instid1(VALU_DEP_1)
	v_dual_sub_nc_u32 v4, v4, v33 :: v_dual_add_nc_u32 v33, 1, v35
	v_cmp_le_u32_e32 vcc_lo, s6, v4
	s_delay_alu instid0(VALU_DEP_2) | instskip(SKIP_1) | instid1(VALU_DEP_1)
	v_dual_cndmask_b32 v33, v35, v33, vcc_lo :: v_dual_ashrrev_i32 v35, 31, v32
	v_subrev_nc_u32_e32 v34, s6, v4
	v_dual_cndmask_b32 v4, v4, v34, vcc_lo :: v_dual_add_nc_u32 v34, 1, v33
	s_delay_alu instid0(VALU_DEP_1) | instskip(NEXT) | instid1(VALU_DEP_2)
	v_cmp_le_u32_e32 vcc_lo, s6, v4
	v_dual_cndmask_b32 v4, v33, v34, vcc_lo :: v_dual_bitop2_b32 v35, s1, v35 bitop3:0x14
	s_delay_alu instid0(VALU_DEP_1) | instskip(NEXT) | instid1(VALU_DEP_1)
	v_xor_b32_e32 v4, v4, v35
	v_dual_mov_b32 v4, v31 :: v_dual_sub_nc_u32 v33, v4, v35
	s_delay_alu instid0(VALU_DEP_1) | instskip(SKIP_3) | instid1(SALU_CYCLE_1)
	v_cmp_ne_u32_e64 s0, v33, v3
	v_cmp_eq_u32_e32 vcc_lo, v33, v3
	s_wait_xcnt 0x0
	s_and_saveexec_b32 s22, s0
	s_xor_b32 s0, exec_lo, s22
; %bb.14:                               ;   in Loop: Header=BB90_13 Depth=2
	v_min_i32_e32 v30, v33, v30
                                        ; implicit-def: $vgpr32
                                        ; implicit-def: $vgpr4
; %bb.15:                               ;   in Loop: Header=BB90_13 Depth=2
	s_or_saveexec_b32 s0, s0
	v_mov_b32_e32 v31, v16
	s_xor_b32 exec_lo, exec_lo, s0
	s_cbranch_execz .LBB90_12
; %bb.16:                               ;   in Loop: Header=BB90_13 Depth=2
	global_load_b64 v[34:35], v[14:15], off
	v_sub_nc_u32_e32 v31, v32, v17
	s_delay_alu instid0(VALU_DEP_1)
	v_lshl_add_u32 v32, v31, 3, v20
	v_mov_b32_e32 v31, v4
	ds_store_b8 v18, v29 offset:2048
	s_wait_loadcnt 0x0
	ds_store_b64 v32, v[34:35]
	s_branch .LBB90_12
.LBB90_17:                              ;   in Loop: Header=BB90_10 Depth=1
	s_or_b32 exec_lo, exec_lo, s21
.LBB90_18:                              ;   in Loop: Header=BB90_10 Depth=1
	s_delay_alu instid0(SALU_CYCLE_1)
	s_or_b32 exec_lo, exec_lo, s20
	ds_bpermute_b32 v4, v21, v31
	s_wait_dscnt 0x0
	ds_load_u8 v7, v18 offset:2048
	v_min_i32_e32 v4, v4, v31
	ds_bpermute_b32 v6, v22, v4
	s_wait_dscnt 0x0
	v_min_i32_e32 v4, v6, v4
	ds_bpermute_b32 v6, v23, v4
	v_and_b32_e32 v4, 1, v7
	s_delay_alu instid0(VALU_DEP_1)
	v_cmp_eq_u32_e32 vcc_lo, 1, v4
	v_mov_b32_e32 v4, 0
	s_and_saveexec_b32 s0, vcc_lo
	s_cbranch_execz .LBB90_9
; %bb.19:                               ;   in Loop: Header=BB90_10 Depth=1
	v_add_nc_u32_e32 v3, s17, v3
	global_store_b32 v2, v3, s[2:3] scale_offset
	s_wait_xcnt 0x0
	s_and_saveexec_b32 s20, s4
	s_cbranch_execz .LBB90_8
; %bb.20:                               ;   in Loop: Header=BB90_10 Depth=1
	v_ashrrev_i32_e32 v3, 31, v2
	ds_load_b64 v[16:17], v24
	s_and_b32 vcc_lo, exec_lo, s18
	v_mul_u64_e32 v[14:15], s[14:15], v[2:3]
	s_cbranch_vccz .LBB90_22
; %bb.21:                               ;   in Loop: Header=BB90_10 Depth=1
	s_delay_alu instid0(VALU_DEP_1)
	v_lshl_add_u64 v[32:33], v[14:15], 3, v[8:9]
	s_wait_dscnt 0x0
	global_store_b64 v[32:33], v[16:17], off
	s_cbranch_execnz .LBB90_8
	s_branch .LBB90_23
.LBB90_22:                              ;   in Loop: Header=BB90_10 Depth=1
.LBB90_23:                              ;   in Loop: Header=BB90_10 Depth=1
	s_delay_alu instid0(VALU_DEP_1)
	v_lshl_add_u64 v[14:15], v[14:15], 3, v[10:11]
	s_wait_dscnt 0x0
	global_store_b64 v[14:15], v[16:17], off
	s_branch .LBB90_8
.LBB90_24:
	s_endpgm
	.section	.rodata,"a",@progbits
	.p2align	6, 0x0
	.amdhsa_kernel _ZN9rocsparseL44csr2gebsr_wavefront_per_row_multipass_kernelILi256ELi8ELi4ELi32EdEEv20rocsparse_direction_iiiiii21rocsparse_index_base_PKT3_PKiS7_S2_PS3_PiS9_
		.amdhsa_group_segment_fixed_size 2056
		.amdhsa_private_segment_fixed_size 0
		.amdhsa_kernarg_size 88
		.amdhsa_user_sgpr_count 2
		.amdhsa_user_sgpr_dispatch_ptr 0
		.amdhsa_user_sgpr_queue_ptr 0
		.amdhsa_user_sgpr_kernarg_segment_ptr 1
		.amdhsa_user_sgpr_dispatch_id 0
		.amdhsa_user_sgpr_kernarg_preload_length 0
		.amdhsa_user_sgpr_kernarg_preload_offset 0
		.amdhsa_user_sgpr_private_segment_size 0
		.amdhsa_wavefront_size32 1
		.amdhsa_uses_dynamic_stack 0
		.amdhsa_enable_private_segment 0
		.amdhsa_system_sgpr_workgroup_id_x 1
		.amdhsa_system_sgpr_workgroup_id_y 0
		.amdhsa_system_sgpr_workgroup_id_z 0
		.amdhsa_system_sgpr_workgroup_info 0
		.amdhsa_system_vgpr_workitem_id 0
		.amdhsa_next_free_vgpr 36
		.amdhsa_next_free_sgpr 23
		.amdhsa_named_barrier_count 0
		.amdhsa_reserve_vcc 1
		.amdhsa_float_round_mode_32 0
		.amdhsa_float_round_mode_16_64 0
		.amdhsa_float_denorm_mode_32 3
		.amdhsa_float_denorm_mode_16_64 3
		.amdhsa_fp16_overflow 0
		.amdhsa_memory_ordered 1
		.amdhsa_forward_progress 1
		.amdhsa_inst_pref_size 12
		.amdhsa_round_robin_scheduling 0
		.amdhsa_exception_fp_ieee_invalid_op 0
		.amdhsa_exception_fp_denorm_src 0
		.amdhsa_exception_fp_ieee_div_zero 0
		.amdhsa_exception_fp_ieee_overflow 0
		.amdhsa_exception_fp_ieee_underflow 0
		.amdhsa_exception_fp_ieee_inexact 0
		.amdhsa_exception_int_div_zero 0
	.end_amdhsa_kernel
	.section	.text._ZN9rocsparseL44csr2gebsr_wavefront_per_row_multipass_kernelILi256ELi8ELi4ELi32EdEEv20rocsparse_direction_iiiiii21rocsparse_index_base_PKT3_PKiS7_S2_PS3_PiS9_,"axG",@progbits,_ZN9rocsparseL44csr2gebsr_wavefront_per_row_multipass_kernelILi256ELi8ELi4ELi32EdEEv20rocsparse_direction_iiiiii21rocsparse_index_base_PKT3_PKiS7_S2_PS3_PiS9_,comdat
.Lfunc_end90:
	.size	_ZN9rocsparseL44csr2gebsr_wavefront_per_row_multipass_kernelILi256ELi8ELi4ELi32EdEEv20rocsparse_direction_iiiiii21rocsparse_index_base_PKT3_PKiS7_S2_PS3_PiS9_, .Lfunc_end90-_ZN9rocsparseL44csr2gebsr_wavefront_per_row_multipass_kernelILi256ELi8ELi4ELi32EdEEv20rocsparse_direction_iiiiii21rocsparse_index_base_PKT3_PKiS7_S2_PS3_PiS9_
                                        ; -- End function
	.set _ZN9rocsparseL44csr2gebsr_wavefront_per_row_multipass_kernelILi256ELi8ELi4ELi32EdEEv20rocsparse_direction_iiiiii21rocsparse_index_base_PKT3_PKiS7_S2_PS3_PiS9_.num_vgpr, 36
	.set _ZN9rocsparseL44csr2gebsr_wavefront_per_row_multipass_kernelILi256ELi8ELi4ELi32EdEEv20rocsparse_direction_iiiiii21rocsparse_index_base_PKT3_PKiS7_S2_PS3_PiS9_.num_agpr, 0
	.set _ZN9rocsparseL44csr2gebsr_wavefront_per_row_multipass_kernelILi256ELi8ELi4ELi32EdEEv20rocsparse_direction_iiiiii21rocsparse_index_base_PKT3_PKiS7_S2_PS3_PiS9_.numbered_sgpr, 23
	.set _ZN9rocsparseL44csr2gebsr_wavefront_per_row_multipass_kernelILi256ELi8ELi4ELi32EdEEv20rocsparse_direction_iiiiii21rocsparse_index_base_PKT3_PKiS7_S2_PS3_PiS9_.num_named_barrier, 0
	.set _ZN9rocsparseL44csr2gebsr_wavefront_per_row_multipass_kernelILi256ELi8ELi4ELi32EdEEv20rocsparse_direction_iiiiii21rocsparse_index_base_PKT3_PKiS7_S2_PS3_PiS9_.private_seg_size, 0
	.set _ZN9rocsparseL44csr2gebsr_wavefront_per_row_multipass_kernelILi256ELi8ELi4ELi32EdEEv20rocsparse_direction_iiiiii21rocsparse_index_base_PKT3_PKiS7_S2_PS3_PiS9_.uses_vcc, 1
	.set _ZN9rocsparseL44csr2gebsr_wavefront_per_row_multipass_kernelILi256ELi8ELi4ELi32EdEEv20rocsparse_direction_iiiiii21rocsparse_index_base_PKT3_PKiS7_S2_PS3_PiS9_.uses_flat_scratch, 0
	.set _ZN9rocsparseL44csr2gebsr_wavefront_per_row_multipass_kernelILi256ELi8ELi4ELi32EdEEv20rocsparse_direction_iiiiii21rocsparse_index_base_PKT3_PKiS7_S2_PS3_PiS9_.has_dyn_sized_stack, 0
	.set _ZN9rocsparseL44csr2gebsr_wavefront_per_row_multipass_kernelILi256ELi8ELi4ELi32EdEEv20rocsparse_direction_iiiiii21rocsparse_index_base_PKT3_PKiS7_S2_PS3_PiS9_.has_recursion, 0
	.set _ZN9rocsparseL44csr2gebsr_wavefront_per_row_multipass_kernelILi256ELi8ELi4ELi32EdEEv20rocsparse_direction_iiiiii21rocsparse_index_base_PKT3_PKiS7_S2_PS3_PiS9_.has_indirect_call, 0
	.section	.AMDGPU.csdata,"",@progbits
; Kernel info:
; codeLenInByte = 1432
; TotalNumSgprs: 25
; NumVgprs: 36
; ScratchSize: 0
; MemoryBound: 0
; FloatMode: 240
; IeeeMode: 1
; LDSByteSize: 2056 bytes/workgroup (compile time only)
; SGPRBlocks: 0
; VGPRBlocks: 2
; NumSGPRsForWavesPerEU: 25
; NumVGPRsForWavesPerEU: 36
; NamedBarCnt: 0
; Occupancy: 16
; WaveLimiterHint : 0
; COMPUTE_PGM_RSRC2:SCRATCH_EN: 0
; COMPUTE_PGM_RSRC2:USER_SGPR: 2
; COMPUTE_PGM_RSRC2:TRAP_HANDLER: 0
; COMPUTE_PGM_RSRC2:TGID_X_EN: 1
; COMPUTE_PGM_RSRC2:TGID_Y_EN: 0
; COMPUTE_PGM_RSRC2:TGID_Z_EN: 0
; COMPUTE_PGM_RSRC2:TIDIG_COMP_CNT: 0
	.section	.text._ZN9rocsparseL44csr2gebsr_wavefront_per_row_multipass_kernelILi256ELi8ELi8ELi64EdEEv20rocsparse_direction_iiiiii21rocsparse_index_base_PKT3_PKiS7_S2_PS3_PiS9_,"axG",@progbits,_ZN9rocsparseL44csr2gebsr_wavefront_per_row_multipass_kernelILi256ELi8ELi8ELi64EdEEv20rocsparse_direction_iiiiii21rocsparse_index_base_PKT3_PKiS7_S2_PS3_PiS9_,comdat
	.globl	_ZN9rocsparseL44csr2gebsr_wavefront_per_row_multipass_kernelILi256ELi8ELi8ELi64EdEEv20rocsparse_direction_iiiiii21rocsparse_index_base_PKT3_PKiS7_S2_PS3_PiS9_ ; -- Begin function _ZN9rocsparseL44csr2gebsr_wavefront_per_row_multipass_kernelILi256ELi8ELi8ELi64EdEEv20rocsparse_direction_iiiiii21rocsparse_index_base_PKT3_PKiS7_S2_PS3_PiS9_
	.p2align	8
	.type	_ZN9rocsparseL44csr2gebsr_wavefront_per_row_multipass_kernelILi256ELi8ELi8ELi64EdEEv20rocsparse_direction_iiiiii21rocsparse_index_base_PKT3_PKiS7_S2_PS3_PiS9_,@function
_ZN9rocsparseL44csr2gebsr_wavefront_per_row_multipass_kernelILi256ELi8ELi8ELi64EdEEv20rocsparse_direction_iiiiii21rocsparse_index_base_PKT3_PKiS7_S2_PS3_PiS9_: ; @_ZN9rocsparseL44csr2gebsr_wavefront_per_row_multipass_kernelILi256ELi8ELi8ELi64EdEEv20rocsparse_direction_iiiiii21rocsparse_index_base_PKT3_PKiS7_S2_PS3_PiS9_
; %bb.0:
	s_clause 0x1
	s_load_b128 s[4:7], s[0:1], 0xc
	s_load_b64 s[12:13], s[0:1], 0x0
	s_bfe_u32 s2, ttmp6, 0x4000c
	s_and_b32 s3, ttmp6, 15
	s_add_co_i32 s2, s2, 1
	s_getreg_b32 s8, hwreg(HW_REG_IB_STS2, 6, 4)
	s_mul_i32 s2, ttmp9, s2
	v_dual_lshrrev_b32 v18, 6, v0 :: v_dual_mov_b32 v2, 0
	s_add_co_i32 s3, s3, s2
	s_cmp_eq_u32 s8, 0
	v_bfe_u32 v3, v0, 3, 3
	s_cselect_b32 s2, ttmp9, s3
	s_clause 0x1
	s_load_b32 s16, s[0:1], 0x1c
	s_load_b64 s[8:9], s[0:1], 0x28
	v_lshl_or_b32 v1, s2, 2, v18
	v_mov_b32_e32 v6, 0
	s_wait_kmcnt 0x0
	s_delay_alu instid0(VALU_DEP_2) | instskip(SKIP_1) | instid1(VALU_DEP_2)
	v_mad_u32 v4, v1, s6, v3
	v_cmp_gt_i32_e32 vcc_lo, s6, v3
	v_cmp_gt_i32_e64 s2, s13, v4
	s_and_b32 s2, vcc_lo, s2
	s_delay_alu instid0(SALU_CYCLE_1)
	s_and_saveexec_b32 s3, s2
	s_cbranch_execz .LBB91_2
; %bb.1:
	global_load_b32 v5, v4, s[8:9] scale_offset
	s_wait_loadcnt 0x0
	v_subrev_nc_u32_e32 v6, s16, v5
.LBB91_2:
	s_or_b32 exec_lo, exec_lo, s3
	v_mov_b32_e32 v19, 0
	s_and_saveexec_b32 s3, s2
	s_cbranch_execz .LBB91_4
; %bb.3:
	global_load_b32 v4, v4, s[8:9] offset:4 scale_offset
	s_wait_loadcnt 0x0
	v_subrev_nc_u32_e32 v19, s16, v4
.LBB91_4:
	s_or_b32 exec_lo, exec_lo, s3
	s_load_b32 s17, s[0:1], 0x38
	s_mov_b32 s3, exec_lo
	v_cmpx_gt_i32_e64 s4, v1
	s_cbranch_execz .LBB91_6
; %bb.5:
	s_load_b64 s[8:9], s[0:1], 0x48
	s_wait_kmcnt 0x0
	global_load_b32 v1, v1, s[8:9] scale_offset
	s_wait_loadcnt 0x0
	v_subrev_nc_u32_e32 v2, s17, v1
.LBB91_6:
	s_or_b32 exec_lo, exec_lo, s3
	s_cmp_lt_i32 s5, 1
	s_cbranch_scc1 .LBB91_24
; %bb.7:
	v_mbcnt_lo_u32_b32 v7, -1, 0
	s_clause 0x3
	s_load_b64 s[2:3], s[0:1], 0x50
	s_load_b64 s[14:15], s[0:1], 0x40
	;; [unrolled: 1-line block ×4, first 2 shown]
	v_dual_lshlrev_b32 v8, 6, v3 :: v_dual_bitop2_b32 v4, 7, v0 bitop3:0x40
	v_and_b32_e32 v0, 0xc0, v0
	v_xor_b32_e32 v5, 2, v7
	v_xor_b32_e32 v1, 4, v7
	v_lshl_or_b32 v24, v7, 2, 28
	v_bfrev_b32_e32 v29, 0.5
	v_lshl_or_b32 v20, v0, 3, v8
	v_mul_lo_u32 v0, s6, v4
	s_wait_xcnt 0x0
	v_cmp_gt_i32_e64 s0, 32, v1
	v_mul_lo_u32 v8, s7, v3
	s_mov_b32 s13, 0
	v_dual_lshlrev_b32 v10, 3, v4 :: v_dual_mov_b32 v30, 1
	v_dual_cndmask_b32 v1, v7, v1, s0 :: v_dual_bitop2_b32 v9, 1, v7 bitop3:0x14
	v_cmp_gt_i32_e64 s0, 32, v5
	s_delay_alu instid0(VALU_DEP_2) | instskip(NEXT) | instid1(VALU_DEP_2)
	v_dual_lshlrev_b32 v21, 2, v1 :: v_dual_bitop2_b32 v25, v20, v10 bitop3:0x54
	v_dual_mov_b32 v1, 0 :: v_dual_cndmask_b32 v5, v7, v5, s0
	s_delay_alu instid0(VALU_DEP_4) | instskip(SKIP_1) | instid1(VALU_DEP_2)
	v_cmp_gt_i32_e64 s0, 32, v9
	s_wait_kmcnt 0x0
	v_lshl_add_u64 v[12:13], v[0:1], 3, s[14:15]
	s_delay_alu instid0(VALU_DEP_3) | instskip(NEXT) | instid1(VALU_DEP_3)
	v_lshlrev_b32_e32 v22, 2, v5
	v_cndmask_b32_e64 v9, v7, v9, s0
	v_cmp_gt_u32_e64 s0, s7, v4
	v_dual_mov_b32 v11, v1 :: v_dual_lshlrev_b32 v0, 3, v3
	s_delay_alu instid0(VALU_DEP_3)
	v_dual_mov_b32 v5, v1 :: v_dual_lshlrev_b32 v23, 2, v9
	s_and_b32 s4, vcc_lo, s0
	v_ashrrev_i32_e32 v9, 31, v8
	s_cmp_lg_u32 s12, 0
	s_mov_b32 s12, s6
	s_cselect_b32 s18, -1, 0
	s_abs_i32 s6, s7
	v_lshl_add_u64 v[14:15], v[8:9], 3, s[14:15]
	s_cvt_f32_u32 s19, s6
	v_add_nc_u64_e32 v[8:9], v[12:13], v[0:1]
	v_xor_b32_e32 v12, 16, v7
	v_or_b32_e32 v0, 32, v7
	v_rcp_iflag_f32_e32 v3, s19
	v_add_nc_u64_e32 v[10:11], v[14:15], v[10:11]
	s_ashr_i32 s1, s7, 31
	s_mov_b32 s0, s7
	v_cmp_gt_i32_e32 vcc_lo, 32, v0
	s_delay_alu instid0(TRANS32_DEP_1) | instskip(SKIP_3) | instid1(VALU_DEP_2)
	v_readfirstlane_b32 s14, v3
	v_dual_cndmask_b32 v0, v7, v0, vcc_lo :: v_dual_bitop2_b32 v13, 8, v7 bitop3:0x14
	v_cmp_gt_i32_e32 vcc_lo, 32, v12
	s_mul_f32 s14, s14, 0x4f7ffffe
	v_lshlrev_b32_e32 v26, 2, v0
	v_cndmask_b32_e32 v3, v7, v12, vcc_lo
	v_cmp_gt_i32_e32 vcc_lo, 32, v13
	s_cvt_u32_f32 s19, s14
	s_sub_co_i32 s14, 0, s6
	s_delay_alu instid0(VALU_DEP_2)
	v_dual_lshlrev_b32 v27, 2, v3 :: v_dual_cndmask_b32 v7, v7, v13, vcc_lo
	v_mov_b64_e32 v[12:13], 0
	s_mul_i32 s14, s14, s19
	v_mov_b32_e32 v3, 0
	s_mul_hi_u32 s20, s19, s14
	v_lshlrev_b32_e32 v28, 2, v7
	s_mul_u64 s[14:15], s[0:1], s[12:13]
	s_add_co_i32 s12, s19, s20
	s_mov_b32 s19, s13
	s_branch .LBB91_10
.LBB91_8:                               ;   in Loop: Header=BB91_10 Depth=1
	s_wait_xcnt 0x0
	s_or_b32 exec_lo, exec_lo, s20
	v_mov_b32_e32 v0, 1
.LBB91_9:                               ;   in Loop: Header=BB91_10 Depth=1
	s_or_b32 exec_lo, exec_lo, s0
	ds_bpermute_b32 v3, v26, v31
	s_wait_storecnt_dscnt 0x0
	v_dual_add_nc_u32 v2, v0, v2 :: v_dual_min_i32 v3, v3, v31
	ds_bpermute_b32 v7, v27, v3
	s_wait_dscnt 0x0
	v_min_i32_e32 v3, v7, v3
	ds_bpermute_b32 v7, v28, v3
	s_wait_dscnt 0x0
	v_min_i32_e32 v3, v7, v3
	;; [unrolled: 3-line block ×5, first 2 shown]
	ds_bpermute_b32 v3, v29, v3
	s_wait_dscnt 0x0
	v_cmp_le_i32_e32 vcc_lo, s5, v3
	s_or_b32 s19, vcc_lo, s19
	s_delay_alu instid0(SALU_CYCLE_1)
	s_and_not1_b32 exec_lo, exec_lo, s19
	s_cbranch_execz .LBB91_24
.LBB91_10:                              ; =>This Loop Header: Depth=1
                                        ;     Child Loop BB91_13 Depth 2
	v_dual_mov_b32 v31, s5 :: v_dual_add_nc_u32 v16, v6, v4
	v_mov_b32_e32 v32, v19
	s_mov_b32 s20, exec_lo
	ds_store_b8 v18, v1 offset:2048
	ds_store_b64 v25, v[12:13]
	s_wait_dscnt 0x0
	v_cmpx_lt_i32_e64 v16, v19
	s_cbranch_execz .LBB91_18
; %bb.11:                               ;   in Loop: Header=BB91_10 Depth=1
	v_dual_ashrrev_i32 v7, 31, v6 :: v_dual_mov_b32 v31, s5
	v_mul_lo_u32 v17, v3, s7
	v_mov_b32_e32 v32, v19
	s_mov_b32 s21, 0
	s_delay_alu instid0(VALU_DEP_3) | instskip(NEXT) | instid1(VALU_DEP_1)
	v_add_nc_u64_e32 v[14:15], v[4:5], v[6:7]
	v_lshl_add_u64 v[6:7], v[14:15], 2, s[10:11]
	v_lshl_add_u64 v[14:15], v[14:15], 3, s[8:9]
	s_branch .LBB91_13
.LBB91_12:                              ;   in Loop: Header=BB91_13 Depth=2
	s_wait_xcnt 0x0
	s_or_b32 exec_lo, exec_lo, s0
	v_add_nc_u32_e32 v16, 8, v16
	s_xor_b32 s22, vcc_lo, -1
	v_add_nc_u64_e32 v[6:7], 32, v[6:7]
	v_add_nc_u64_e32 v[14:15], 64, v[14:15]
	s_delay_alu instid0(VALU_DEP_3) | instskip(SKIP_1) | instid1(SALU_CYCLE_1)
	v_cmp_ge_i32_e64 s0, v16, v19
	s_or_b32 s0, s22, s0
	s_and_b32 s0, exec_lo, s0
	s_delay_alu instid0(SALU_CYCLE_1) | instskip(NEXT) | instid1(SALU_CYCLE_1)
	s_or_b32 s21, s0, s21
	s_and_not1_b32 exec_lo, exec_lo, s21
	s_cbranch_execz .LBB91_17
.LBB91_13:                              ;   Parent Loop BB91_10 Depth=1
                                        ; =>  This Inner Loop Header: Depth=2
	global_load_b32 v0, v[6:7], off
	s_wait_loadcnt 0x0
	v_subrev_nc_u32_e32 v33, s16, v0
	s_delay_alu instid0(VALU_DEP_1) | instskip(NEXT) | instid1(VALU_DEP_1)
	v_sub_nc_u32_e32 v0, 0, v33
	v_max_i32_e32 v0, v33, v0
	s_delay_alu instid0(VALU_DEP_1) | instskip(NEXT) | instid1(VALU_DEP_1)
	v_mul_u64_e32 v[34:35], s[12:13], v[0:1]
	v_mul_lo_u32 v34, v35, s6
	s_delay_alu instid0(VALU_DEP_1) | instskip(NEXT) | instid1(VALU_DEP_1)
	v_dual_sub_nc_u32 v0, v0, v34 :: v_dual_add_nc_u32 v34, 1, v35
	v_cmp_le_u32_e32 vcc_lo, s6, v0
	s_delay_alu instid0(VALU_DEP_2) | instskip(SKIP_1) | instid1(VALU_DEP_1)
	v_dual_cndmask_b32 v34, v35, v34 :: v_dual_ashrrev_i32 v35, 31, v33
	v_subrev_nc_u32_e32 v36, s6, v0
	v_dual_cndmask_b32 v0, v0, v36, vcc_lo :: v_dual_add_nc_u32 v36, 1, v34
	s_delay_alu instid0(VALU_DEP_1) | instskip(NEXT) | instid1(VALU_DEP_2)
	v_cmp_le_u32_e32 vcc_lo, s6, v0
	v_dual_cndmask_b32 v0, v34, v36, vcc_lo :: v_dual_bitop2_b32 v35, s1, v35 bitop3:0x14
	s_delay_alu instid0(VALU_DEP_1) | instskip(NEXT) | instid1(VALU_DEP_1)
	v_xor_b32_e32 v0, v0, v35
	v_sub_nc_u32_e32 v34, v0, v35
	v_mov_b32_e32 v0, v32
	s_delay_alu instid0(VALU_DEP_2) | instskip(SKIP_3) | instid1(SALU_CYCLE_1)
	v_cmp_ne_u32_e64 s0, v34, v3
	v_cmp_eq_u32_e32 vcc_lo, v34, v3
	s_wait_xcnt 0x0
	s_and_saveexec_b32 s22, s0
	s_xor_b32 s0, exec_lo, s22
; %bb.14:                               ;   in Loop: Header=BB91_13 Depth=2
	v_min_i32_e32 v31, v34, v31
                                        ; implicit-def: $vgpr33
                                        ; implicit-def: $vgpr0
; %bb.15:                               ;   in Loop: Header=BB91_13 Depth=2
	s_or_saveexec_b32 s0, s0
	v_mov_b32_e32 v32, v16
	s_xor_b32 exec_lo, exec_lo, s0
	s_cbranch_execz .LBB91_12
; %bb.16:                               ;   in Loop: Header=BB91_13 Depth=2
	global_load_b64 v[34:35], v[14:15], off
	v_sub_nc_u32_e32 v32, v33, v17
	s_delay_alu instid0(VALU_DEP_1)
	v_lshl_add_u32 v33, v32, 3, v20
	v_mov_b32_e32 v32, v0
	ds_store_b8 v18, v30 offset:2048
	s_wait_loadcnt 0x0
	ds_store_b64 v33, v[34:35]
	s_branch .LBB91_12
.LBB91_17:                              ;   in Loop: Header=BB91_10 Depth=1
	s_or_b32 exec_lo, exec_lo, s21
.LBB91_18:                              ;   in Loop: Header=BB91_10 Depth=1
	s_delay_alu instid0(SALU_CYCLE_1)
	s_or_b32 exec_lo, exec_lo, s20
	ds_bpermute_b32 v0, v21, v32
	s_wait_dscnt 0x0
	ds_load_u8 v7, v18 offset:2048
	v_min_i32_e32 v0, v0, v32
	ds_bpermute_b32 v6, v22, v0
	s_wait_dscnt 0x0
	v_min_i32_e32 v0, v6, v0
	ds_bpermute_b32 v6, v23, v0
	s_wait_dscnt 0x0
	v_min_i32_e32 v0, v6, v0
	ds_bpermute_b32 v6, v24, v0
	v_and_b32_e32 v0, 1, v7
	s_delay_alu instid0(VALU_DEP_1)
	v_cmp_eq_u32_e32 vcc_lo, 1, v0
	v_mov_b32_e32 v0, 0
	s_and_saveexec_b32 s0, vcc_lo
	s_cbranch_execz .LBB91_9
; %bb.19:                               ;   in Loop: Header=BB91_10 Depth=1
	v_add_nc_u32_e32 v0, s17, v3
	global_store_b32 v2, v0, s[2:3] scale_offset
	s_wait_xcnt 0x0
	s_and_saveexec_b32 s20, s4
	s_cbranch_execz .LBB91_8
; %bb.20:                               ;   in Loop: Header=BB91_10 Depth=1
	v_ashrrev_i32_e32 v3, 31, v2
	ds_load_b64 v[16:17], v25
	s_and_b32 vcc_lo, exec_lo, s18
	v_mul_u64_e32 v[14:15], s[14:15], v[2:3]
	s_cbranch_vccz .LBB91_22
; %bb.21:                               ;   in Loop: Header=BB91_10 Depth=1
	s_delay_alu instid0(VALU_DEP_1)
	v_lshl_add_u64 v[32:33], v[14:15], 3, v[8:9]
	s_wait_dscnt 0x0
	global_store_b64 v[32:33], v[16:17], off
	s_cbranch_execnz .LBB91_8
	s_branch .LBB91_23
.LBB91_22:                              ;   in Loop: Header=BB91_10 Depth=1
.LBB91_23:                              ;   in Loop: Header=BB91_10 Depth=1
	s_delay_alu instid0(VALU_DEP_1)
	v_lshl_add_u64 v[14:15], v[14:15], 3, v[10:11]
	s_wait_dscnt 0x0
	global_store_b64 v[14:15], v[16:17], off
	s_branch .LBB91_8
.LBB91_24:
	s_endpgm
	.section	.rodata,"a",@progbits
	.p2align	6, 0x0
	.amdhsa_kernel _ZN9rocsparseL44csr2gebsr_wavefront_per_row_multipass_kernelILi256ELi8ELi8ELi64EdEEv20rocsparse_direction_iiiiii21rocsparse_index_base_PKT3_PKiS7_S2_PS3_PiS9_
		.amdhsa_group_segment_fixed_size 2056
		.amdhsa_private_segment_fixed_size 0
		.amdhsa_kernarg_size 88
		.amdhsa_user_sgpr_count 2
		.amdhsa_user_sgpr_dispatch_ptr 0
		.amdhsa_user_sgpr_queue_ptr 0
		.amdhsa_user_sgpr_kernarg_segment_ptr 1
		.amdhsa_user_sgpr_dispatch_id 0
		.amdhsa_user_sgpr_kernarg_preload_length 0
		.amdhsa_user_sgpr_kernarg_preload_offset 0
		.amdhsa_user_sgpr_private_segment_size 0
		.amdhsa_wavefront_size32 1
		.amdhsa_uses_dynamic_stack 0
		.amdhsa_enable_private_segment 0
		.amdhsa_system_sgpr_workgroup_id_x 1
		.amdhsa_system_sgpr_workgroup_id_y 0
		.amdhsa_system_sgpr_workgroup_id_z 0
		.amdhsa_system_sgpr_workgroup_info 0
		.amdhsa_system_vgpr_workitem_id 0
		.amdhsa_next_free_vgpr 37
		.amdhsa_next_free_sgpr 23
		.amdhsa_named_barrier_count 0
		.amdhsa_reserve_vcc 1
		.amdhsa_float_round_mode_32 0
		.amdhsa_float_round_mode_16_64 0
		.amdhsa_float_denorm_mode_32 3
		.amdhsa_float_denorm_mode_16_64 3
		.amdhsa_fp16_overflow 0
		.amdhsa_memory_ordered 1
		.amdhsa_forward_progress 1
		.amdhsa_inst_pref_size 12
		.amdhsa_round_robin_scheduling 0
		.amdhsa_exception_fp_ieee_invalid_op 0
		.amdhsa_exception_fp_denorm_src 0
		.amdhsa_exception_fp_ieee_div_zero 0
		.amdhsa_exception_fp_ieee_overflow 0
		.amdhsa_exception_fp_ieee_underflow 0
		.amdhsa_exception_fp_ieee_inexact 0
		.amdhsa_exception_int_div_zero 0
	.end_amdhsa_kernel
	.section	.text._ZN9rocsparseL44csr2gebsr_wavefront_per_row_multipass_kernelILi256ELi8ELi8ELi64EdEEv20rocsparse_direction_iiiiii21rocsparse_index_base_PKT3_PKiS7_S2_PS3_PiS9_,"axG",@progbits,_ZN9rocsparseL44csr2gebsr_wavefront_per_row_multipass_kernelILi256ELi8ELi8ELi64EdEEv20rocsparse_direction_iiiiii21rocsparse_index_base_PKT3_PKiS7_S2_PS3_PiS9_,comdat
.Lfunc_end91:
	.size	_ZN9rocsparseL44csr2gebsr_wavefront_per_row_multipass_kernelILi256ELi8ELi8ELi64EdEEv20rocsparse_direction_iiiiii21rocsparse_index_base_PKT3_PKiS7_S2_PS3_PiS9_, .Lfunc_end91-_ZN9rocsparseL44csr2gebsr_wavefront_per_row_multipass_kernelILi256ELi8ELi8ELi64EdEEv20rocsparse_direction_iiiiii21rocsparse_index_base_PKT3_PKiS7_S2_PS3_PiS9_
                                        ; -- End function
	.set _ZN9rocsparseL44csr2gebsr_wavefront_per_row_multipass_kernelILi256ELi8ELi8ELi64EdEEv20rocsparse_direction_iiiiii21rocsparse_index_base_PKT3_PKiS7_S2_PS3_PiS9_.num_vgpr, 37
	.set _ZN9rocsparseL44csr2gebsr_wavefront_per_row_multipass_kernelILi256ELi8ELi8ELi64EdEEv20rocsparse_direction_iiiiii21rocsparse_index_base_PKT3_PKiS7_S2_PS3_PiS9_.num_agpr, 0
	.set _ZN9rocsparseL44csr2gebsr_wavefront_per_row_multipass_kernelILi256ELi8ELi8ELi64EdEEv20rocsparse_direction_iiiiii21rocsparse_index_base_PKT3_PKiS7_S2_PS3_PiS9_.numbered_sgpr, 23
	.set _ZN9rocsparseL44csr2gebsr_wavefront_per_row_multipass_kernelILi256ELi8ELi8ELi64EdEEv20rocsparse_direction_iiiiii21rocsparse_index_base_PKT3_PKiS7_S2_PS3_PiS9_.num_named_barrier, 0
	.set _ZN9rocsparseL44csr2gebsr_wavefront_per_row_multipass_kernelILi256ELi8ELi8ELi64EdEEv20rocsparse_direction_iiiiii21rocsparse_index_base_PKT3_PKiS7_S2_PS3_PiS9_.private_seg_size, 0
	.set _ZN9rocsparseL44csr2gebsr_wavefront_per_row_multipass_kernelILi256ELi8ELi8ELi64EdEEv20rocsparse_direction_iiiiii21rocsparse_index_base_PKT3_PKiS7_S2_PS3_PiS9_.uses_vcc, 1
	.set _ZN9rocsparseL44csr2gebsr_wavefront_per_row_multipass_kernelILi256ELi8ELi8ELi64EdEEv20rocsparse_direction_iiiiii21rocsparse_index_base_PKT3_PKiS7_S2_PS3_PiS9_.uses_flat_scratch, 0
	.set _ZN9rocsparseL44csr2gebsr_wavefront_per_row_multipass_kernelILi256ELi8ELi8ELi64EdEEv20rocsparse_direction_iiiiii21rocsparse_index_base_PKT3_PKiS7_S2_PS3_PiS9_.has_dyn_sized_stack, 0
	.set _ZN9rocsparseL44csr2gebsr_wavefront_per_row_multipass_kernelILi256ELi8ELi8ELi64EdEEv20rocsparse_direction_iiiiii21rocsparse_index_base_PKT3_PKiS7_S2_PS3_PiS9_.has_recursion, 0
	.set _ZN9rocsparseL44csr2gebsr_wavefront_per_row_multipass_kernelILi256ELi8ELi8ELi64EdEEv20rocsparse_direction_iiiiii21rocsparse_index_base_PKT3_PKiS7_S2_PS3_PiS9_.has_indirect_call, 0
	.section	.AMDGPU.csdata,"",@progbits
; Kernel info:
; codeLenInByte = 1484
; TotalNumSgprs: 25
; NumVgprs: 37
; ScratchSize: 0
; MemoryBound: 0
; FloatMode: 240
; IeeeMode: 1
; LDSByteSize: 2056 bytes/workgroup (compile time only)
; SGPRBlocks: 0
; VGPRBlocks: 2
; NumSGPRsForWavesPerEU: 25
; NumVGPRsForWavesPerEU: 37
; NamedBarCnt: 0
; Occupancy: 16
; WaveLimiterHint : 0
; COMPUTE_PGM_RSRC2:SCRATCH_EN: 0
; COMPUTE_PGM_RSRC2:USER_SGPR: 2
; COMPUTE_PGM_RSRC2:TRAP_HANDLER: 0
; COMPUTE_PGM_RSRC2:TGID_X_EN: 1
; COMPUTE_PGM_RSRC2:TGID_Y_EN: 0
; COMPUTE_PGM_RSRC2:TGID_Z_EN: 0
; COMPUTE_PGM_RSRC2:TIDIG_COMP_CNT: 0
	.section	.text._ZN9rocsparseL44csr2gebsr_wavefront_per_row_multipass_kernelILi256ELi8ELi8ELi32EdEEv20rocsparse_direction_iiiiii21rocsparse_index_base_PKT3_PKiS7_S2_PS3_PiS9_,"axG",@progbits,_ZN9rocsparseL44csr2gebsr_wavefront_per_row_multipass_kernelILi256ELi8ELi8ELi32EdEEv20rocsparse_direction_iiiiii21rocsparse_index_base_PKT3_PKiS7_S2_PS3_PiS9_,comdat
	.globl	_ZN9rocsparseL44csr2gebsr_wavefront_per_row_multipass_kernelILi256ELi8ELi8ELi32EdEEv20rocsparse_direction_iiiiii21rocsparse_index_base_PKT3_PKiS7_S2_PS3_PiS9_ ; -- Begin function _ZN9rocsparseL44csr2gebsr_wavefront_per_row_multipass_kernelILi256ELi8ELi8ELi32EdEEv20rocsparse_direction_iiiiii21rocsparse_index_base_PKT3_PKiS7_S2_PS3_PiS9_
	.p2align	8
	.type	_ZN9rocsparseL44csr2gebsr_wavefront_per_row_multipass_kernelILi256ELi8ELi8ELi32EdEEv20rocsparse_direction_iiiiii21rocsparse_index_base_PKT3_PKiS7_S2_PS3_PiS9_,@function
_ZN9rocsparseL44csr2gebsr_wavefront_per_row_multipass_kernelILi256ELi8ELi8ELi32EdEEv20rocsparse_direction_iiiiii21rocsparse_index_base_PKT3_PKiS7_S2_PS3_PiS9_: ; @_ZN9rocsparseL44csr2gebsr_wavefront_per_row_multipass_kernelILi256ELi8ELi8ELi32EdEEv20rocsparse_direction_iiiiii21rocsparse_index_base_PKT3_PKiS7_S2_PS3_PiS9_
; %bb.0:
	s_clause 0x1
	s_load_b128 s[4:7], s[0:1], 0xc
	s_load_b64 s[12:13], s[0:1], 0x0
	s_bfe_u32 s2, ttmp6, 0x4000c
	s_and_b32 s3, ttmp6, 15
	s_add_co_i32 s2, s2, 1
	s_getreg_b32 s8, hwreg(HW_REG_IB_STS2, 6, 4)
	s_mul_i32 s2, ttmp9, s2
	v_dual_lshrrev_b32 v20, 5, v0 :: v_dual_mov_b32 v2, 0
	s_add_co_i32 s3, s3, s2
	s_cmp_eq_u32 s8, 0
	v_bfe_u32 v3, v0, 2, 3
	s_cselect_b32 s2, ttmp9, s3
	s_clause 0x1
	s_load_b32 s18, s[0:1], 0x1c
	s_load_b64 s[8:9], s[0:1], 0x28
	v_lshl_or_b32 v1, s2, 3, v20
	v_mov_b32_e32 v28, 0
	s_wait_kmcnt 0x0
	s_delay_alu instid0(VALU_DEP_2) | instskip(SKIP_1) | instid1(VALU_DEP_2)
	v_mad_u32 v4, v1, s6, v3
	v_cmp_gt_i32_e32 vcc_lo, s6, v3
	v_cmp_gt_i32_e64 s2, s13, v4
	s_and_b32 s2, vcc_lo, s2
	s_delay_alu instid0(SALU_CYCLE_1)
	s_and_saveexec_b32 s3, s2
	s_cbranch_execz .LBB92_2
; %bb.1:
	global_load_b32 v5, v4, s[8:9] scale_offset
	s_wait_loadcnt 0x0
	v_subrev_nc_u32_e32 v28, s18, v5
.LBB92_2:
	s_or_b32 exec_lo, exec_lo, s3
	v_mov_b32_e32 v21, 0
	s_and_saveexec_b32 s3, s2
	s_cbranch_execz .LBB92_4
; %bb.3:
	global_load_b32 v4, v4, s[8:9] offset:4 scale_offset
	s_wait_loadcnt 0x0
	v_subrev_nc_u32_e32 v21, s18, v4
.LBB92_4:
	s_or_b32 exec_lo, exec_lo, s3
	s_load_b32 s19, s[0:1], 0x38
	s_mov_b32 s3, exec_lo
	v_cmpx_gt_i32_e64 s4, v1
	s_cbranch_execz .LBB92_6
; %bb.5:
	s_load_b64 s[8:9], s[0:1], 0x48
	s_wait_kmcnt 0x0
	global_load_b32 v1, v1, s[8:9] scale_offset
	s_wait_loadcnt 0x0
	v_subrev_nc_u32_e32 v2, s19, v1
.LBB92_6:
	s_or_b32 exec_lo, exec_lo, s3
	s_cmp_lt_i32 s5, 1
	s_cbranch_scc1 .LBB92_31
; %bb.7:
	v_mbcnt_lo_u32_b32 v10, -1, 0
	s_clause 0x3
	s_load_b64 s[2:3], s[0:1], 0x50
	s_load_b64 s[20:21], s[0:1], 0x40
	;; [unrolled: 1-line block ×4, first 2 shown]
	v_mul_lo_u32 v4, s7, v3
	s_cmp_lg_u32 s12, 0
	s_mov_b32 s13, 0
	v_dual_lshlrev_b32 v6, 6, v3 :: v_dual_bitop2_b32 v1, 2, v10 bitop3:0x14
	s_cselect_b32 s4, -1, 0
	s_mov_b32 s12, s6
	s_ashr_i32 s15, s7, 31
	s_wait_xcnt 0x0
	v_cmp_gt_i32_e64 s0, 32, v1
	v_xor_b32_e32 v5, 1, v10
	v_lshl_or_b32 v23, v20, 9, v6
	s_mov_b32 s14, s7
	v_lshl_or_b32 v26, v10, 2, 12
	v_cndmask_b32_e64 v1, v10, v1, s0
	v_cmp_gt_i32_e64 s0, 32, v5
	s_mul_u64 s[16:17], s[14:15], s[12:13]
	s_abs_i32 s14, s7
	v_mov_b64_e32 v[12:13], 0
	v_dual_cndmask_b32 v5, v10, v5, s0 :: v_dual_bitop2_b32 v22, 3, v0 bitop3:0x40
	v_dual_mov_b32 v1, 0 :: v_dual_lshlrev_b32 v24, 2, v1
	v_dual_lshlrev_b32 v0, 3, v3 :: v_dual_bitop2_b32 v3, 8, v10 bitop3:0x14
	s_delay_alu instid0(VALU_DEP_3) | instskip(NEXT) | instid1(VALU_DEP_3)
	v_dual_lshlrev_b32 v25, 2, v5 :: v_dual_ashrrev_i32 v5, 31, v4
	v_dual_mov_b32 v7, v1 :: v_dual_lshlrev_b32 v6, 3, v22
	s_cvt_f32_u32 s1, s14
	v_dual_mov_b32 v11, v1 :: v_dual_bitop2_b32 v33, -4, v22 bitop3:0x54
	s_wait_kmcnt 0x0
	v_lshl_add_u64 v[8:9], v[4:5], 3, s[20:21]
	v_add_nc_u64_e32 v[4:5], s[20:21], v[0:1]
	v_xor_b32_e32 v0, 16, v10
	v_dual_mov_b32 v34, 1 :: v_dual_bitop2_b32 v27, v23, v6 bitop3:0x54
	v_mov_b32_e32 v36, 0
	v_add_nc_u64_e32 v[6:7], v[8:9], v[6:7]
	s_delay_alu instid0(VALU_DEP_4) | instskip(SKIP_2) | instid1(VALU_DEP_2)
	v_cmp_gt_i32_e64 s0, 32, v0
	v_rcp_iflag_f32_e32 v9, s1
	v_mov_b32_e32 v32, 0x7c
	v_dual_cndmask_b32 v0, v10, v0, s0 :: v_dual_bitop2_b32 v8, 4, v10 bitop3:0x14
	v_cmp_gt_i32_e64 s0, 32, v3
	s_delay_alu instid0(VALU_DEP_2) | instskip(NEXT) | instid1(VALU_DEP_2)
	v_dual_lshlrev_b32 v29, 2, v0 :: v_dual_bitop2_b32 v0, 4, v22 bitop3:0x54
	v_cndmask_b32_e64 v3, v10, v3, s0
	s_delay_alu instid0(VALU_DEP_4) | instskip(NEXT) | instid1(VALU_DEP_1)
	v_cmp_gt_i32_e64 s0, 32, v8
	v_dual_lshlrev_b32 v30, 2, v3 :: v_dual_cndmask_b32 v10, v10, v8, s0
	v_mul_lo_u32 v8, v22, s6
	v_readfirstlane_b32 s0, v9
	v_mov_b32_e32 v9, v1
	v_cmp_gt_u32_e64 s1, s7, v0
	v_lshlrev_b32_e32 v31, 2, v10
	s_mul_f32 s12, s0, 0x4f7ffffe
	v_cmp_gt_u32_e64 s0, s7, v22
	s_and_b32 s1, vcc_lo, s1
	s_delay_alu instid0(SALU_CYCLE_1) | instskip(SKIP_2) | instid1(SALU_CYCLE_1)
	s_cvt_u32_f32 s12, s12
	v_lshl_add_u32 v10, s6, 2, v8
	s_sub_co_i32 s6, 0, s14
	s_mul_i32 s20, s6, s12
	s_and_b32 s6, s0, vcc_lo
	s_mul_hi_u32 s0, s12, s20
	s_mov_b32 s20, s13
	s_add_co_i32 s12, s12, s0
	s_branch .LBB92_10
.LBB92_8:                               ;   in Loop: Header=BB92_10 Depth=1
	s_wait_xcnt 0x0
	s_or_b32 exec_lo, exec_lo, s21
	v_mov_b32_e32 v0, 1
.LBB92_9:                               ;   in Loop: Header=BB92_10 Depth=1
	s_or_b32 exec_lo, exec_lo, s0
	ds_bpermute_b32 v3, v29, v35
	s_wait_storecnt_dscnt 0x0
	v_dual_add_nc_u32 v2, v0, v2 :: v_dual_min_i32 v3, v3, v35
	ds_bpermute_b32 v14, v30, v3
	s_wait_dscnt 0x0
	v_min_i32_e32 v3, v14, v3
	ds_bpermute_b32 v14, v31, v3
	s_wait_dscnt 0x0
	v_min_i32_e32 v3, v14, v3
	;; [unrolled: 3-line block ×4, first 2 shown]
	ds_bpermute_b32 v36, v32, v3
	s_wait_dscnt 0x0
	v_cmp_le_i32_e32 vcc_lo, s5, v36
	s_or_b32 s20, vcc_lo, s20
	s_delay_alu instid0(SALU_CYCLE_1)
	s_and_not1_b32 exec_lo, exec_lo, s20
	s_cbranch_execz .LBB92_31
.LBB92_10:                              ; =>This Loop Header: Depth=1
                                        ;     Child Loop BB92_11 Depth 2
                                        ;     Child Loop BB92_15 Depth 2
	v_dual_mov_b32 v0, v27 :: v_dual_mov_b32 v3, v33
	s_mov_b32 s0, 0
	ds_store_b8 v20, v1 offset:4096
.LBB92_11:                              ;   Parent Loop BB92_10 Depth=1
                                        ; =>  This Inner Loop Header: Depth=2
	v_add_co_u32 v3, s21, v3, 4
	s_xor_b32 s21, s21, -1
	ds_store_b64 v0, v[12:13]
	v_add_nc_u32_e32 v0, 32, v0
	s_and_b32 s21, exec_lo, s21
	s_delay_alu instid0(SALU_CYCLE_1) | instskip(NEXT) | instid1(SALU_CYCLE_1)
	s_or_b32 s0, s21, s0
	s_and_not1_b32 exec_lo, exec_lo, s0
	s_cbranch_execnz .LBB92_11
; %bb.12:                               ;   in Loop: Header=BB92_10 Depth=1
	s_or_b32 exec_lo, exec_lo, s0
	v_dual_mov_b32 v35, s5 :: v_dual_add_nc_u32 v14, v28, v22
	v_mov_b32_e32 v15, v21
	s_mov_b32 s21, exec_lo
	s_wait_dscnt 0x0
	s_delay_alu instid0(VALU_DEP_2)
	v_cmpx_lt_i32_e64 v14, v21
	s_cbranch_execz .LBB92_20
; %bb.13:                               ;   in Loop: Header=BB92_10 Depth=1
	v_mul_lo_u32 v3, v36, s7
	v_dual_ashrrev_i32 v15, 31, v14 :: v_dual_mov_b32 v35, s5
	s_mov_b32 s22, 0
	s_delay_alu instid0(VALU_DEP_1)
	v_lshl_add_u64 v[16:17], v[14:15], 2, s[10:11]
	v_lshl_add_u64 v[18:19], v[14:15], 3, s[8:9]
	v_mov_b32_e32 v15, v21
	s_branch .LBB92_15
.LBB92_14:                              ;   in Loop: Header=BB92_15 Depth=2
	s_wait_xcnt 0x0
	s_or_b32 exec_lo, exec_lo, s0
	v_add_nc_u32_e32 v14, 4, v14
	s_xor_b32 s23, vcc_lo, -1
	v_add_nc_u64_e32 v[16:17], 16, v[16:17]
	v_add_nc_u64_e32 v[18:19], 32, v[18:19]
	s_delay_alu instid0(VALU_DEP_3) | instskip(SKIP_1) | instid1(SALU_CYCLE_1)
	v_cmp_ge_i32_e64 s0, v14, v21
	s_or_b32 s0, s23, s0
	s_and_b32 s0, exec_lo, s0
	s_delay_alu instid0(SALU_CYCLE_1) | instskip(NEXT) | instid1(SALU_CYCLE_1)
	s_or_b32 s22, s0, s22
	s_and_not1_b32 exec_lo, exec_lo, s22
	s_cbranch_execz .LBB92_19
.LBB92_15:                              ;   Parent Loop BB92_10 Depth=1
                                        ; =>  This Inner Loop Header: Depth=2
	global_load_b32 v0, v[16:17], off
	s_wait_loadcnt 0x0
	v_subrev_nc_u32_e32 v28, s18, v0
	s_delay_alu instid0(VALU_DEP_1) | instskip(NEXT) | instid1(VALU_DEP_1)
	v_sub_nc_u32_e32 v0, 0, v28
	v_max_i32_e32 v0, v28, v0
	s_delay_alu instid0(VALU_DEP_1) | instskip(NEXT) | instid1(VALU_DEP_1)
	v_mul_u64_e32 v[38:39], s[12:13], v[0:1]
	v_mul_lo_u32 v37, v39, s14
	s_delay_alu instid0(VALU_DEP_1) | instskip(NEXT) | instid1(VALU_DEP_1)
	v_dual_sub_nc_u32 v0, v0, v37 :: v_dual_add_nc_u32 v37, 1, v39
	v_cmp_le_u32_e32 vcc_lo, s14, v0
	s_delay_alu instid0(VALU_DEP_2) | instskip(SKIP_1) | instid1(VALU_DEP_1)
	v_dual_cndmask_b32 v37, v39, v37, vcc_lo :: v_dual_ashrrev_i32 v39, 31, v28
	v_subrev_nc_u32_e32 v38, s14, v0
	v_dual_cndmask_b32 v0, v0, v38, vcc_lo :: v_dual_add_nc_u32 v38, 1, v37
	s_delay_alu instid0(VALU_DEP_1) | instskip(NEXT) | instid1(VALU_DEP_2)
	v_cmp_le_u32_e32 vcc_lo, s14, v0
	v_dual_cndmask_b32 v0, v37, v38, vcc_lo :: v_dual_bitop2_b32 v39, s15, v39 bitop3:0x14
	s_delay_alu instid0(VALU_DEP_1) | instskip(NEXT) | instid1(VALU_DEP_1)
	v_xor_b32_e32 v0, v0, v39
	v_dual_mov_b32 v0, v15 :: v_dual_sub_nc_u32 v37, v0, v39
	s_delay_alu instid0(VALU_DEP_1) | instskip(SKIP_3) | instid1(SALU_CYCLE_1)
	v_cmp_ne_u32_e64 s0, v37, v36
	v_cmp_eq_u32_e32 vcc_lo, v37, v36
	s_wait_xcnt 0x0
	s_and_saveexec_b32 s23, s0
	s_xor_b32 s0, exec_lo, s23
; %bb.16:                               ;   in Loop: Header=BB92_15 Depth=2
	v_min_i32_e32 v35, v37, v35
                                        ; implicit-def: $vgpr28
                                        ; implicit-def: $vgpr0
; %bb.17:                               ;   in Loop: Header=BB92_15 Depth=2
	s_or_saveexec_b32 s0, s0
	v_mov_b32_e32 v15, v14
	s_xor_b32 exec_lo, exec_lo, s0
	s_cbranch_execz .LBB92_14
; %bb.18:                               ;   in Loop: Header=BB92_15 Depth=2
	global_load_b64 v[38:39], v[18:19], off
	v_sub_nc_u32_e32 v15, v28, v3
	s_delay_alu instid0(VALU_DEP_1)
	v_lshl_add_u32 v28, v15, 3, v23
	v_mov_b32_e32 v15, v0
	ds_store_b8 v20, v34 offset:4096
	s_wait_loadcnt 0x0
	ds_store_b64 v28, v[38:39]
	s_branch .LBB92_14
.LBB92_19:                              ;   in Loop: Header=BB92_10 Depth=1
	s_or_b32 exec_lo, exec_lo, s22
.LBB92_20:                              ;   in Loop: Header=BB92_10 Depth=1
	s_delay_alu instid0(SALU_CYCLE_1)
	s_or_b32 exec_lo, exec_lo, s21
	ds_bpermute_b32 v0, v24, v15
	s_wait_dscnt 0x0
	ds_load_u8 v14, v20 offset:4096
	v_min_i32_e32 v0, v0, v15
	ds_bpermute_b32 v3, v25, v0
	s_wait_dscnt 0x0
	v_min_i32_e32 v0, v3, v0
	ds_bpermute_b32 v28, v26, v0
	v_and_b32_e32 v0, 1, v14
	s_delay_alu instid0(VALU_DEP_1)
	v_cmp_eq_u32_e32 vcc_lo, 1, v0
	v_mov_b32_e32 v0, 0
	s_and_saveexec_b32 s0, vcc_lo
	s_cbranch_execz .LBB92_9
; %bb.21:                               ;   in Loop: Header=BB92_10 Depth=1
	v_dual_ashrrev_i32 v3, 31, v2 :: v_dual_add_nc_u32 v0, s19, v36
	s_delay_alu instid0(VALU_DEP_1) | instskip(SKIP_2) | instid1(VALU_DEP_1)
	v_mul_u64_e32 v[14:15], s[16:17], v[2:3]
	global_store_b32 v2, v0, s[2:3] scale_offset
	v_lshlrev_b64_e32 v[14:15], 3, v[14:15]
	v_add_nc_u64_e32 v[16:17], v[4:5], v[14:15]
	v_add_nc_u64_e32 v[14:15], v[6:7], v[14:15]
	s_wait_xcnt 0x0
	s_and_saveexec_b32 s21, s6
	s_cbranch_execz .LBB92_25
; %bb.22:                               ;   in Loop: Header=BB92_10 Depth=1
	ds_load_b64 v[18:19], v27
	s_and_b32 vcc_lo, exec_lo, s4
	s_cbranch_vccz .LBB92_28
; %bb.23:                               ;   in Loop: Header=BB92_10 Depth=1
	v_lshl_add_u64 v[36:37], v[8:9], 3, v[16:17]
	s_wait_dscnt 0x0
	global_store_b64 v[36:37], v[18:19], off
	s_cbranch_execnz .LBB92_25
.LBB92_24:                              ;   in Loop: Header=BB92_10 Depth=1
	s_wait_dscnt 0x0
	global_store_b64 v[14:15], v[18:19], off
.LBB92_25:                              ;   in Loop: Header=BB92_10 Depth=1
	s_wait_xcnt 0x0
	s_or_b32 exec_lo, exec_lo, s21
	s_and_saveexec_b32 s21, s1
	s_cbranch_execz .LBB92_8
; %bb.26:                               ;   in Loop: Header=BB92_10 Depth=1
	s_and_not1_b32 vcc_lo, exec_lo, s4
	s_cbranch_vccnz .LBB92_29
; %bb.27:                               ;   in Loop: Header=BB92_10 Depth=1
	s_wait_dscnt 0x0
	ds_load_b64 v[18:19], v27 offset:32
	v_lshl_add_u64 v[16:17], v[10:11], 3, v[16:17]
	s_wait_dscnt 0x0
	global_store_b64 v[16:17], v[18:19], off
	s_cbranch_execnz .LBB92_8
	s_branch .LBB92_30
.LBB92_28:                              ;   in Loop: Header=BB92_10 Depth=1
	s_branch .LBB92_24
.LBB92_29:                              ;   in Loop: Header=BB92_10 Depth=1
.LBB92_30:                              ;   in Loop: Header=BB92_10 Depth=1
	s_wait_xcnt 0x0
	ds_load_b64 v[16:17], v27 offset:32
	s_wait_dscnt 0x0
	global_store_b64 v[14:15], v[16:17], off offset:32
	s_branch .LBB92_8
.LBB92_31:
	s_endpgm
	.section	.rodata,"a",@progbits
	.p2align	6, 0x0
	.amdhsa_kernel _ZN9rocsparseL44csr2gebsr_wavefront_per_row_multipass_kernelILi256ELi8ELi8ELi32EdEEv20rocsparse_direction_iiiiii21rocsparse_index_base_PKT3_PKiS7_S2_PS3_PiS9_
		.amdhsa_group_segment_fixed_size 4104
		.amdhsa_private_segment_fixed_size 0
		.amdhsa_kernarg_size 88
		.amdhsa_user_sgpr_count 2
		.amdhsa_user_sgpr_dispatch_ptr 0
		.amdhsa_user_sgpr_queue_ptr 0
		.amdhsa_user_sgpr_kernarg_segment_ptr 1
		.amdhsa_user_sgpr_dispatch_id 0
		.amdhsa_user_sgpr_kernarg_preload_length 0
		.amdhsa_user_sgpr_kernarg_preload_offset 0
		.amdhsa_user_sgpr_private_segment_size 0
		.amdhsa_wavefront_size32 1
		.amdhsa_uses_dynamic_stack 0
		.amdhsa_enable_private_segment 0
		.amdhsa_system_sgpr_workgroup_id_x 1
		.amdhsa_system_sgpr_workgroup_id_y 0
		.amdhsa_system_sgpr_workgroup_id_z 0
		.amdhsa_system_sgpr_workgroup_info 0
		.amdhsa_system_vgpr_workitem_id 0
		.amdhsa_next_free_vgpr 40
		.amdhsa_next_free_sgpr 24
		.amdhsa_named_barrier_count 0
		.amdhsa_reserve_vcc 1
		.amdhsa_float_round_mode_32 0
		.amdhsa_float_round_mode_16_64 0
		.amdhsa_float_denorm_mode_32 3
		.amdhsa_float_denorm_mode_16_64 3
		.amdhsa_fp16_overflow 0
		.amdhsa_memory_ordered 1
		.amdhsa_forward_progress 1
		.amdhsa_inst_pref_size 13
		.amdhsa_round_robin_scheduling 0
		.amdhsa_exception_fp_ieee_invalid_op 0
		.amdhsa_exception_fp_denorm_src 0
		.amdhsa_exception_fp_ieee_div_zero 0
		.amdhsa_exception_fp_ieee_overflow 0
		.amdhsa_exception_fp_ieee_underflow 0
		.amdhsa_exception_fp_ieee_inexact 0
		.amdhsa_exception_int_div_zero 0
	.end_amdhsa_kernel
	.section	.text._ZN9rocsparseL44csr2gebsr_wavefront_per_row_multipass_kernelILi256ELi8ELi8ELi32EdEEv20rocsparse_direction_iiiiii21rocsparse_index_base_PKT3_PKiS7_S2_PS3_PiS9_,"axG",@progbits,_ZN9rocsparseL44csr2gebsr_wavefront_per_row_multipass_kernelILi256ELi8ELi8ELi32EdEEv20rocsparse_direction_iiiiii21rocsparse_index_base_PKT3_PKiS7_S2_PS3_PiS9_,comdat
.Lfunc_end92:
	.size	_ZN9rocsparseL44csr2gebsr_wavefront_per_row_multipass_kernelILi256ELi8ELi8ELi32EdEEv20rocsparse_direction_iiiiii21rocsparse_index_base_PKT3_PKiS7_S2_PS3_PiS9_, .Lfunc_end92-_ZN9rocsparseL44csr2gebsr_wavefront_per_row_multipass_kernelILi256ELi8ELi8ELi32EdEEv20rocsparse_direction_iiiiii21rocsparse_index_base_PKT3_PKiS7_S2_PS3_PiS9_
                                        ; -- End function
	.set _ZN9rocsparseL44csr2gebsr_wavefront_per_row_multipass_kernelILi256ELi8ELi8ELi32EdEEv20rocsparse_direction_iiiiii21rocsparse_index_base_PKT3_PKiS7_S2_PS3_PiS9_.num_vgpr, 40
	.set _ZN9rocsparseL44csr2gebsr_wavefront_per_row_multipass_kernelILi256ELi8ELi8ELi32EdEEv20rocsparse_direction_iiiiii21rocsparse_index_base_PKT3_PKiS7_S2_PS3_PiS9_.num_agpr, 0
	.set _ZN9rocsparseL44csr2gebsr_wavefront_per_row_multipass_kernelILi256ELi8ELi8ELi32EdEEv20rocsparse_direction_iiiiii21rocsparse_index_base_PKT3_PKiS7_S2_PS3_PiS9_.numbered_sgpr, 24
	.set _ZN9rocsparseL44csr2gebsr_wavefront_per_row_multipass_kernelILi256ELi8ELi8ELi32EdEEv20rocsparse_direction_iiiiii21rocsparse_index_base_PKT3_PKiS7_S2_PS3_PiS9_.num_named_barrier, 0
	.set _ZN9rocsparseL44csr2gebsr_wavefront_per_row_multipass_kernelILi256ELi8ELi8ELi32EdEEv20rocsparse_direction_iiiiii21rocsparse_index_base_PKT3_PKiS7_S2_PS3_PiS9_.private_seg_size, 0
	.set _ZN9rocsparseL44csr2gebsr_wavefront_per_row_multipass_kernelILi256ELi8ELi8ELi32EdEEv20rocsparse_direction_iiiiii21rocsparse_index_base_PKT3_PKiS7_S2_PS3_PiS9_.uses_vcc, 1
	.set _ZN9rocsparseL44csr2gebsr_wavefront_per_row_multipass_kernelILi256ELi8ELi8ELi32EdEEv20rocsparse_direction_iiiiii21rocsparse_index_base_PKT3_PKiS7_S2_PS3_PiS9_.uses_flat_scratch, 0
	.set _ZN9rocsparseL44csr2gebsr_wavefront_per_row_multipass_kernelILi256ELi8ELi8ELi32EdEEv20rocsparse_direction_iiiiii21rocsparse_index_base_PKT3_PKiS7_S2_PS3_PiS9_.has_dyn_sized_stack, 0
	.set _ZN9rocsparseL44csr2gebsr_wavefront_per_row_multipass_kernelILi256ELi8ELi8ELi32EdEEv20rocsparse_direction_iiiiii21rocsparse_index_base_PKT3_PKiS7_S2_PS3_PiS9_.has_recursion, 0
	.set _ZN9rocsparseL44csr2gebsr_wavefront_per_row_multipass_kernelILi256ELi8ELi8ELi32EdEEv20rocsparse_direction_iiiiii21rocsparse_index_base_PKT3_PKiS7_S2_PS3_PiS9_.has_indirect_call, 0
	.section	.AMDGPU.csdata,"",@progbits
; Kernel info:
; codeLenInByte = 1624
; TotalNumSgprs: 26
; NumVgprs: 40
; ScratchSize: 0
; MemoryBound: 0
; FloatMode: 240
; IeeeMode: 1
; LDSByteSize: 4104 bytes/workgroup (compile time only)
; SGPRBlocks: 0
; VGPRBlocks: 2
; NumSGPRsForWavesPerEU: 26
; NumVGPRsForWavesPerEU: 40
; NamedBarCnt: 0
; Occupancy: 16
; WaveLimiterHint : 0
; COMPUTE_PGM_RSRC2:SCRATCH_EN: 0
; COMPUTE_PGM_RSRC2:USER_SGPR: 2
; COMPUTE_PGM_RSRC2:TRAP_HANDLER: 0
; COMPUTE_PGM_RSRC2:TGID_X_EN: 1
; COMPUTE_PGM_RSRC2:TGID_Y_EN: 0
; COMPUTE_PGM_RSRC2:TGID_Z_EN: 0
; COMPUTE_PGM_RSRC2:TIDIG_COMP_CNT: 0
	.section	.text._ZN9rocsparseL44csr2gebsr_wavefront_per_row_multipass_kernelILi256ELi8ELi16ELi64EdEEv20rocsparse_direction_iiiiii21rocsparse_index_base_PKT3_PKiS7_S2_PS3_PiS9_,"axG",@progbits,_ZN9rocsparseL44csr2gebsr_wavefront_per_row_multipass_kernelILi256ELi8ELi16ELi64EdEEv20rocsparse_direction_iiiiii21rocsparse_index_base_PKT3_PKiS7_S2_PS3_PiS9_,comdat
	.globl	_ZN9rocsparseL44csr2gebsr_wavefront_per_row_multipass_kernelILi256ELi8ELi16ELi64EdEEv20rocsparse_direction_iiiiii21rocsparse_index_base_PKT3_PKiS7_S2_PS3_PiS9_ ; -- Begin function _ZN9rocsparseL44csr2gebsr_wavefront_per_row_multipass_kernelILi256ELi8ELi16ELi64EdEEv20rocsparse_direction_iiiiii21rocsparse_index_base_PKT3_PKiS7_S2_PS3_PiS9_
	.p2align	8
	.type	_ZN9rocsparseL44csr2gebsr_wavefront_per_row_multipass_kernelILi256ELi8ELi16ELi64EdEEv20rocsparse_direction_iiiiii21rocsparse_index_base_PKT3_PKiS7_S2_PS3_PiS9_,@function
_ZN9rocsparseL44csr2gebsr_wavefront_per_row_multipass_kernelILi256ELi8ELi16ELi64EdEEv20rocsparse_direction_iiiiii21rocsparse_index_base_PKT3_PKiS7_S2_PS3_PiS9_: ; @_ZN9rocsparseL44csr2gebsr_wavefront_per_row_multipass_kernelILi256ELi8ELi16ELi64EdEEv20rocsparse_direction_iiiiii21rocsparse_index_base_PKT3_PKiS7_S2_PS3_PiS9_
; %bb.0:
	s_clause 0x1
	s_load_b128 s[4:7], s[0:1], 0xc
	s_load_b64 s[12:13], s[0:1], 0x0
	s_bfe_u32 s2, ttmp6, 0x4000c
	s_and_b32 s3, ttmp6, 15
	s_add_co_i32 s2, s2, 1
	s_getreg_b32 s8, hwreg(HW_REG_IB_STS2, 6, 4)
	s_mul_i32 s2, ttmp9, s2
	v_dual_lshrrev_b32 v20, 6, v0 :: v_dual_mov_b32 v2, 0
	s_add_co_i32 s3, s3, s2
	s_cmp_eq_u32 s8, 0
	v_bfe_u32 v3, v0, 3, 3
	s_cselect_b32 s2, ttmp9, s3
	s_clause 0x1
	s_load_b32 s18, s[0:1], 0x1c
	s_load_b64 s[8:9], s[0:1], 0x28
	v_lshl_or_b32 v1, s2, 2, v20
	v_mov_b32_e32 v29, 0
	s_wait_kmcnt 0x0
	s_delay_alu instid0(VALU_DEP_2) | instskip(SKIP_1) | instid1(VALU_DEP_2)
	v_mad_u32 v4, v1, s6, v3
	v_cmp_gt_i32_e32 vcc_lo, s6, v3
	v_cmp_gt_i32_e64 s2, s13, v4
	s_and_b32 s2, vcc_lo, s2
	s_delay_alu instid0(SALU_CYCLE_1)
	s_and_saveexec_b32 s3, s2
	s_cbranch_execz .LBB93_2
; %bb.1:
	global_load_b32 v5, v4, s[8:9] scale_offset
	s_wait_loadcnt 0x0
	v_subrev_nc_u32_e32 v29, s18, v5
.LBB93_2:
	s_or_b32 exec_lo, exec_lo, s3
	v_mov_b32_e32 v21, 0
	s_and_saveexec_b32 s3, s2
	s_cbranch_execz .LBB93_4
; %bb.3:
	global_load_b32 v4, v4, s[8:9] offset:4 scale_offset
	s_wait_loadcnt 0x0
	v_subrev_nc_u32_e32 v21, s18, v4
.LBB93_4:
	s_or_b32 exec_lo, exec_lo, s3
	s_load_b32 s19, s[0:1], 0x38
	s_mov_b32 s3, exec_lo
	v_cmpx_gt_i32_e64 s4, v1
	s_cbranch_execz .LBB93_6
; %bb.5:
	s_load_b64 s[8:9], s[0:1], 0x48
	s_wait_kmcnt 0x0
	global_load_b32 v1, v1, s[8:9] scale_offset
	s_wait_loadcnt 0x0
	v_subrev_nc_u32_e32 v2, s19, v1
.LBB93_6:
	s_or_b32 exec_lo, exec_lo, s3
	s_cmp_lt_i32 s5, 1
	s_cbranch_scc1 .LBB93_31
; %bb.7:
	v_mbcnt_lo_u32_b32 v10, -1, 0
	s_clause 0x3
	s_load_b64 s[2:3], s[0:1], 0x50
	s_load_b64 s[20:21], s[0:1], 0x40
	;; [unrolled: 1-line block ×4, first 2 shown]
	v_mul_lo_u32 v4, s7, v3
	s_cmp_lg_u32 s12, 0
	s_mov_b32 s13, 0
	v_dual_lshlrev_b32 v5, 7, v3 :: v_dual_bitop2_b32 v1, 4, v10 bitop3:0x14
	s_cselect_b32 s4, -1, 0
	s_mov_b32 s12, s6
	s_ashr_i32 s15, s7, 31
	s_wait_xcnt 0x0
	v_cmp_gt_i32_e64 s0, 32, v1
	v_and_b32_e32 v22, 7, v0
	v_lshl_or_b32 v23, v20, 10, v5
	s_mov_b32 s14, s7
	v_lshl_or_b32 v27, v10, 2, 28
	v_dual_cndmask_b32 v1, v10, v1, s0 :: v_dual_bitop2_b32 v0, 2, v10 bitop3:0x14
	s_mul_u64 s[16:17], s[14:15], s[12:13]
	s_abs_i32 s14, s7
	v_mov_b64_e32 v[12:13], 0
	s_delay_alu instid0(VALU_DEP_2)
	v_lshlrev_b32_e32 v24, 2, v1
	v_cmp_gt_i32_e64 s0, 32, v0
	v_xor_b32_e32 v6, 1, v10
	s_cvt_f32_u32 s1, s14
	v_bfrev_b32_e32 v33, 0.5
	v_dual_mov_b32 v35, 1 :: v_dual_mov_b32 v37, 0
	v_cndmask_b32_e64 v0, v10, v0, s0
	v_cmp_gt_i32_e64 s0, 32, v6
	v_dual_ashrrev_i32 v5, 31, v4 :: v_dual_mov_b32 v1, 0
	s_delay_alu instid0(VALU_DEP_3) | instskip(NEXT) | instid1(VALU_DEP_3)
	v_dual_lshlrev_b32 v25, 2, v0 :: v_dual_bitop2_b32 v34, -8, v22 bitop3:0x54
	v_dual_cndmask_b32 v6, v10, v6, s0 :: v_dual_lshlrev_b32 v0, 3, v3
	s_delay_alu instid0(VALU_DEP_3)
	v_mov_b32_e32 v7, v1
	s_wait_kmcnt 0x0
	v_lshl_add_u64 v[8:9], v[4:5], 3, s[20:21]
	v_xor_b32_e32 v3, 16, v10
	v_lshlrev_b32_e32 v26, 2, v6
	v_lshlrev_b32_e32 v6, 3, v22
	v_add_nc_u64_e32 v[4:5], s[20:21], v[0:1]
	v_dual_mov_b32 v11, v1 :: v_dual_bitop2_b32 v0, 32, v10 bitop3:0x54
	s_delay_alu instid0(VALU_DEP_1) | instskip(NEXT) | instid1(VALU_DEP_4)
	v_cmp_gt_i32_e64 s0, 32, v0
	v_or_b32_e32 v28, v23, v6
	v_add_nc_u64_e32 v[6:7], v[8:9], v[6:7]
	v_rcp_iflag_f32_e32 v9, s1
	s_delay_alu instid0(VALU_DEP_3) | instskip(SKIP_1) | instid1(VALU_DEP_2)
	v_dual_cndmask_b32 v0, v10, v0, s0 :: v_dual_bitop2_b32 v8, 8, v10 bitop3:0x14
	v_cmp_gt_i32_e64 s0, 32, v3
	v_dual_lshlrev_b32 v30, 2, v0 :: v_dual_bitop2_b32 v0, 8, v22 bitop3:0x54
	s_delay_alu instid0(VALU_DEP_2) | instskip(NEXT) | instid1(VALU_DEP_4)
	v_cndmask_b32_e64 v3, v10, v3, s0
	v_cmp_gt_i32_e64 s0, 32, v8
	s_delay_alu instid0(VALU_DEP_1) | instskip(SKIP_3) | instid1(VALU_DEP_4)
	v_cndmask_b32_e64 v10, v10, v8, s0
	v_mul_lo_u32 v8, v22, s6
	v_readfirstlane_b32 s0, v9
	v_dual_lshlrev_b32 v31, 2, v3 :: v_dual_mov_b32 v9, v1
	v_lshlrev_b32_e32 v32, 2, v10
	v_cmp_gt_u32_e64 s1, s7, v0
	s_mul_f32 s12, s0, 0x4f7ffffe
	v_cmp_gt_u32_e64 s0, s7, v22
	s_delay_alu instid0(SALU_CYCLE_2)
	s_cvt_u32_f32 s12, s12
	v_lshl_add_u32 v10, s6, 3, v8
	s_sub_co_i32 s6, 0, s14
	s_and_b32 s1, vcc_lo, s1
	s_mul_i32 s20, s6, s12
	s_and_b32 s6, s0, vcc_lo
	s_mul_hi_u32 s0, s12, s20
	s_mov_b32 s20, s13
	s_add_co_i32 s12, s12, s0
	s_branch .LBB93_10
.LBB93_8:                               ;   in Loop: Header=BB93_10 Depth=1
	s_wait_xcnt 0x0
	s_or_b32 exec_lo, exec_lo, s21
	v_mov_b32_e32 v0, 1
.LBB93_9:                               ;   in Loop: Header=BB93_10 Depth=1
	s_or_b32 exec_lo, exec_lo, s0
	ds_bpermute_b32 v3, v30, v36
	s_wait_storecnt_dscnt 0x0
	v_dual_add_nc_u32 v2, v0, v2 :: v_dual_min_i32 v3, v3, v36
	ds_bpermute_b32 v14, v31, v3
	s_wait_dscnt 0x0
	v_min_i32_e32 v3, v14, v3
	ds_bpermute_b32 v14, v32, v3
	s_wait_dscnt 0x0
	v_min_i32_e32 v3, v14, v3
	;; [unrolled: 3-line block ×5, first 2 shown]
	ds_bpermute_b32 v37, v33, v3
	s_wait_dscnt 0x0
	v_cmp_le_i32_e32 vcc_lo, s5, v37
	s_or_b32 s20, vcc_lo, s20
	s_delay_alu instid0(SALU_CYCLE_1)
	s_and_not1_b32 exec_lo, exec_lo, s20
	s_cbranch_execz .LBB93_31
.LBB93_10:                              ; =>This Loop Header: Depth=1
                                        ;     Child Loop BB93_11 Depth 2
                                        ;     Child Loop BB93_15 Depth 2
	v_dual_mov_b32 v0, v28 :: v_dual_mov_b32 v3, v34
	s_mov_b32 s0, 0
	ds_store_b8 v20, v1 offset:4096
.LBB93_11:                              ;   Parent Loop BB93_10 Depth=1
                                        ; =>  This Inner Loop Header: Depth=2
	v_add_co_u32 v3, s21, v3, 8
	s_xor_b32 s21, s21, -1
	ds_store_b64 v0, v[12:13]
	v_add_nc_u32_e32 v0, 64, v0
	s_and_b32 s21, exec_lo, s21
	s_delay_alu instid0(SALU_CYCLE_1) | instskip(NEXT) | instid1(SALU_CYCLE_1)
	s_or_b32 s0, s21, s0
	s_and_not1_b32 exec_lo, exec_lo, s0
	s_cbranch_execnz .LBB93_11
; %bb.12:                               ;   in Loop: Header=BB93_10 Depth=1
	s_or_b32 exec_lo, exec_lo, s0
	v_dual_add_nc_u32 v14, v29, v22 :: v_dual_mov_b32 v36, s5
	v_mov_b32_e32 v15, v21
	s_mov_b32 s21, exec_lo
	s_wait_dscnt 0x0
	s_delay_alu instid0(VALU_DEP_2)
	v_cmpx_lt_i32_e64 v14, v21
	s_cbranch_execz .LBB93_20
; %bb.13:                               ;   in Loop: Header=BB93_10 Depth=1
	v_mul_lo_u32 v3, v37, s7
	v_dual_mov_b32 v36, s5 :: v_dual_ashrrev_i32 v15, 31, v14
	s_mov_b32 s22, 0
	s_delay_alu instid0(VALU_DEP_1)
	v_lshl_add_u64 v[16:17], v[14:15], 2, s[10:11]
	v_lshl_add_u64 v[18:19], v[14:15], 3, s[8:9]
	v_mov_b32_e32 v15, v21
	s_branch .LBB93_15
.LBB93_14:                              ;   in Loop: Header=BB93_15 Depth=2
	s_wait_xcnt 0x0
	s_or_b32 exec_lo, exec_lo, s0
	v_add_nc_u32_e32 v14, 8, v14
	s_xor_b32 s23, vcc_lo, -1
	v_add_nc_u64_e32 v[16:17], 32, v[16:17]
	v_add_nc_u64_e32 v[18:19], 64, v[18:19]
	s_delay_alu instid0(VALU_DEP_3) | instskip(SKIP_1) | instid1(SALU_CYCLE_1)
	v_cmp_ge_i32_e64 s0, v14, v21
	s_or_b32 s0, s23, s0
	s_and_b32 s0, exec_lo, s0
	s_delay_alu instid0(SALU_CYCLE_1) | instskip(NEXT) | instid1(SALU_CYCLE_1)
	s_or_b32 s22, s0, s22
	s_and_not1_b32 exec_lo, exec_lo, s22
	s_cbranch_execz .LBB93_19
.LBB93_15:                              ;   Parent Loop BB93_10 Depth=1
                                        ; =>  This Inner Loop Header: Depth=2
	global_load_b32 v0, v[16:17], off
	s_wait_loadcnt 0x0
	v_subrev_nc_u32_e32 v29, s18, v0
	s_delay_alu instid0(VALU_DEP_1) | instskip(NEXT) | instid1(VALU_DEP_1)
	v_sub_nc_u32_e32 v0, 0, v29
	v_max_i32_e32 v0, v29, v0
	s_delay_alu instid0(VALU_DEP_1) | instskip(NEXT) | instid1(VALU_DEP_1)
	v_mul_u64_e32 v[38:39], s[12:13], v[0:1]
	v_mul_lo_u32 v38, v39, s14
	s_delay_alu instid0(VALU_DEP_1) | instskip(NEXT) | instid1(VALU_DEP_1)
	v_dual_sub_nc_u32 v0, v0, v38 :: v_dual_add_nc_u32 v38, 1, v39
	v_cmp_le_u32_e32 vcc_lo, s14, v0
	s_delay_alu instid0(VALU_DEP_2) | instskip(SKIP_1) | instid1(VALU_DEP_1)
	v_dual_cndmask_b32 v38, v39, v38 :: v_dual_ashrrev_i32 v39, 31, v29
	v_subrev_nc_u32_e32 v40, s14, v0
	v_dual_cndmask_b32 v0, v0, v40, vcc_lo :: v_dual_add_nc_u32 v40, 1, v38
	s_delay_alu instid0(VALU_DEP_1) | instskip(NEXT) | instid1(VALU_DEP_2)
	v_cmp_le_u32_e32 vcc_lo, s14, v0
	v_dual_cndmask_b32 v0, v38, v40, vcc_lo :: v_dual_bitop2_b32 v39, s15, v39 bitop3:0x14
	s_delay_alu instid0(VALU_DEP_1) | instskip(NEXT) | instid1(VALU_DEP_1)
	v_xor_b32_e32 v0, v0, v39
	v_dual_sub_nc_u32 v38, v0, v39 :: v_dual_mov_b32 v0, v15
	s_delay_alu instid0(VALU_DEP_1) | instskip(SKIP_3) | instid1(SALU_CYCLE_1)
	v_cmp_ne_u32_e64 s0, v38, v37
	v_cmp_eq_u32_e32 vcc_lo, v38, v37
	s_wait_xcnt 0x0
	s_and_saveexec_b32 s23, s0
	s_xor_b32 s0, exec_lo, s23
; %bb.16:                               ;   in Loop: Header=BB93_15 Depth=2
	v_min_i32_e32 v36, v38, v36
                                        ; implicit-def: $vgpr29
                                        ; implicit-def: $vgpr0
; %bb.17:                               ;   in Loop: Header=BB93_15 Depth=2
	s_or_saveexec_b32 s0, s0
	v_mov_b32_e32 v15, v14
	s_xor_b32 exec_lo, exec_lo, s0
	s_cbranch_execz .LBB93_14
; %bb.18:                               ;   in Loop: Header=BB93_15 Depth=2
	global_load_b64 v[38:39], v[18:19], off
	v_sub_nc_u32_e32 v15, v29, v3
	s_delay_alu instid0(VALU_DEP_1)
	v_lshl_add_u32 v29, v15, 3, v23
	v_mov_b32_e32 v15, v0
	ds_store_b8 v20, v35 offset:4096
	s_wait_loadcnt 0x0
	ds_store_b64 v29, v[38:39]
	s_branch .LBB93_14
.LBB93_19:                              ;   in Loop: Header=BB93_10 Depth=1
	s_or_b32 exec_lo, exec_lo, s22
.LBB93_20:                              ;   in Loop: Header=BB93_10 Depth=1
	s_delay_alu instid0(SALU_CYCLE_1)
	s_or_b32 exec_lo, exec_lo, s21
	ds_bpermute_b32 v0, v24, v15
	s_wait_dscnt 0x0
	ds_load_u8 v14, v20 offset:4096
	v_min_i32_e32 v0, v0, v15
	ds_bpermute_b32 v3, v25, v0
	s_wait_dscnt 0x0
	v_min_i32_e32 v0, v3, v0
	ds_bpermute_b32 v3, v26, v0
	s_wait_dscnt 0x0
	v_min_i32_e32 v0, v3, v0
	ds_bpermute_b32 v29, v27, v0
	v_and_b32_e32 v0, 1, v14
	s_delay_alu instid0(VALU_DEP_1)
	v_cmp_eq_u32_e32 vcc_lo, 1, v0
	v_mov_b32_e32 v0, 0
	s_and_saveexec_b32 s0, vcc_lo
	s_cbranch_execz .LBB93_9
; %bb.21:                               ;   in Loop: Header=BB93_10 Depth=1
	v_dual_ashrrev_i32 v3, 31, v2 :: v_dual_add_nc_u32 v0, s19, v37
	s_delay_alu instid0(VALU_DEP_1) | instskip(SKIP_2) | instid1(VALU_DEP_1)
	v_mul_u64_e32 v[14:15], s[16:17], v[2:3]
	global_store_b32 v2, v0, s[2:3] scale_offset
	v_lshlrev_b64_e32 v[14:15], 3, v[14:15]
	v_add_nc_u64_e32 v[16:17], v[4:5], v[14:15]
	v_add_nc_u64_e32 v[14:15], v[6:7], v[14:15]
	s_wait_xcnt 0x0
	s_and_saveexec_b32 s21, s6
	s_cbranch_execz .LBB93_25
; %bb.22:                               ;   in Loop: Header=BB93_10 Depth=1
	ds_load_b64 v[18:19], v28
	s_and_b32 vcc_lo, exec_lo, s4
	s_cbranch_vccz .LBB93_28
; %bb.23:                               ;   in Loop: Header=BB93_10 Depth=1
	v_lshl_add_u64 v[38:39], v[8:9], 3, v[16:17]
	s_wait_dscnt 0x0
	global_store_b64 v[38:39], v[18:19], off
	s_cbranch_execnz .LBB93_25
.LBB93_24:                              ;   in Loop: Header=BB93_10 Depth=1
	s_wait_dscnt 0x0
	global_store_b64 v[14:15], v[18:19], off
.LBB93_25:                              ;   in Loop: Header=BB93_10 Depth=1
	s_wait_xcnt 0x0
	s_or_b32 exec_lo, exec_lo, s21
	s_and_saveexec_b32 s21, s1
	s_cbranch_execz .LBB93_8
; %bb.26:                               ;   in Loop: Header=BB93_10 Depth=1
	s_and_not1_b32 vcc_lo, exec_lo, s4
	s_cbranch_vccnz .LBB93_29
; %bb.27:                               ;   in Loop: Header=BB93_10 Depth=1
	s_wait_dscnt 0x0
	ds_load_b64 v[18:19], v28 offset:64
	v_lshl_add_u64 v[16:17], v[10:11], 3, v[16:17]
	s_wait_dscnt 0x0
	global_store_b64 v[16:17], v[18:19], off
	s_cbranch_execnz .LBB93_8
	s_branch .LBB93_30
.LBB93_28:                              ;   in Loop: Header=BB93_10 Depth=1
	s_branch .LBB93_24
.LBB93_29:                              ;   in Loop: Header=BB93_10 Depth=1
.LBB93_30:                              ;   in Loop: Header=BB93_10 Depth=1
	s_wait_xcnt 0x0
	ds_load_b64 v[16:17], v28 offset:64
	s_wait_dscnt 0x0
	global_store_b64 v[14:15], v[16:17], off offset:64
	s_branch .LBB93_8
.LBB93_31:
	s_endpgm
	.section	.rodata,"a",@progbits
	.p2align	6, 0x0
	.amdhsa_kernel _ZN9rocsparseL44csr2gebsr_wavefront_per_row_multipass_kernelILi256ELi8ELi16ELi64EdEEv20rocsparse_direction_iiiiii21rocsparse_index_base_PKT3_PKiS7_S2_PS3_PiS9_
		.amdhsa_group_segment_fixed_size 4104
		.amdhsa_private_segment_fixed_size 0
		.amdhsa_kernarg_size 88
		.amdhsa_user_sgpr_count 2
		.amdhsa_user_sgpr_dispatch_ptr 0
		.amdhsa_user_sgpr_queue_ptr 0
		.amdhsa_user_sgpr_kernarg_segment_ptr 1
		.amdhsa_user_sgpr_dispatch_id 0
		.amdhsa_user_sgpr_kernarg_preload_length 0
		.amdhsa_user_sgpr_kernarg_preload_offset 0
		.amdhsa_user_sgpr_private_segment_size 0
		.amdhsa_wavefront_size32 1
		.amdhsa_uses_dynamic_stack 0
		.amdhsa_enable_private_segment 0
		.amdhsa_system_sgpr_workgroup_id_x 1
		.amdhsa_system_sgpr_workgroup_id_y 0
		.amdhsa_system_sgpr_workgroup_id_z 0
		.amdhsa_system_sgpr_workgroup_info 0
		.amdhsa_system_vgpr_workitem_id 0
		.amdhsa_next_free_vgpr 41
		.amdhsa_next_free_sgpr 24
		.amdhsa_named_barrier_count 0
		.amdhsa_reserve_vcc 1
		.amdhsa_float_round_mode_32 0
		.amdhsa_float_round_mode_16_64 0
		.amdhsa_float_denorm_mode_32 3
		.amdhsa_float_denorm_mode_16_64 3
		.amdhsa_fp16_overflow 0
		.amdhsa_memory_ordered 1
		.amdhsa_forward_progress 1
		.amdhsa_inst_pref_size 14
		.amdhsa_round_robin_scheduling 0
		.amdhsa_exception_fp_ieee_invalid_op 0
		.amdhsa_exception_fp_denorm_src 0
		.amdhsa_exception_fp_ieee_div_zero 0
		.amdhsa_exception_fp_ieee_overflow 0
		.amdhsa_exception_fp_ieee_underflow 0
		.amdhsa_exception_fp_ieee_inexact 0
		.amdhsa_exception_int_div_zero 0
	.end_amdhsa_kernel
	.section	.text._ZN9rocsparseL44csr2gebsr_wavefront_per_row_multipass_kernelILi256ELi8ELi16ELi64EdEEv20rocsparse_direction_iiiiii21rocsparse_index_base_PKT3_PKiS7_S2_PS3_PiS9_,"axG",@progbits,_ZN9rocsparseL44csr2gebsr_wavefront_per_row_multipass_kernelILi256ELi8ELi16ELi64EdEEv20rocsparse_direction_iiiiii21rocsparse_index_base_PKT3_PKiS7_S2_PS3_PiS9_,comdat
.Lfunc_end93:
	.size	_ZN9rocsparseL44csr2gebsr_wavefront_per_row_multipass_kernelILi256ELi8ELi16ELi64EdEEv20rocsparse_direction_iiiiii21rocsparse_index_base_PKT3_PKiS7_S2_PS3_PiS9_, .Lfunc_end93-_ZN9rocsparseL44csr2gebsr_wavefront_per_row_multipass_kernelILi256ELi8ELi16ELi64EdEEv20rocsparse_direction_iiiiii21rocsparse_index_base_PKT3_PKiS7_S2_PS3_PiS9_
                                        ; -- End function
	.set _ZN9rocsparseL44csr2gebsr_wavefront_per_row_multipass_kernelILi256ELi8ELi16ELi64EdEEv20rocsparse_direction_iiiiii21rocsparse_index_base_PKT3_PKiS7_S2_PS3_PiS9_.num_vgpr, 41
	.set _ZN9rocsparseL44csr2gebsr_wavefront_per_row_multipass_kernelILi256ELi8ELi16ELi64EdEEv20rocsparse_direction_iiiiii21rocsparse_index_base_PKT3_PKiS7_S2_PS3_PiS9_.num_agpr, 0
	.set _ZN9rocsparseL44csr2gebsr_wavefront_per_row_multipass_kernelILi256ELi8ELi16ELi64EdEEv20rocsparse_direction_iiiiii21rocsparse_index_base_PKT3_PKiS7_S2_PS3_PiS9_.numbered_sgpr, 24
	.set _ZN9rocsparseL44csr2gebsr_wavefront_per_row_multipass_kernelILi256ELi8ELi16ELi64EdEEv20rocsparse_direction_iiiiii21rocsparse_index_base_PKT3_PKiS7_S2_PS3_PiS9_.num_named_barrier, 0
	.set _ZN9rocsparseL44csr2gebsr_wavefront_per_row_multipass_kernelILi256ELi8ELi16ELi64EdEEv20rocsparse_direction_iiiiii21rocsparse_index_base_PKT3_PKiS7_S2_PS3_PiS9_.private_seg_size, 0
	.set _ZN9rocsparseL44csr2gebsr_wavefront_per_row_multipass_kernelILi256ELi8ELi16ELi64EdEEv20rocsparse_direction_iiiiii21rocsparse_index_base_PKT3_PKiS7_S2_PS3_PiS9_.uses_vcc, 1
	.set _ZN9rocsparseL44csr2gebsr_wavefront_per_row_multipass_kernelILi256ELi8ELi16ELi64EdEEv20rocsparse_direction_iiiiii21rocsparse_index_base_PKT3_PKiS7_S2_PS3_PiS9_.uses_flat_scratch, 0
	.set _ZN9rocsparseL44csr2gebsr_wavefront_per_row_multipass_kernelILi256ELi8ELi16ELi64EdEEv20rocsparse_direction_iiiiii21rocsparse_index_base_PKT3_PKiS7_S2_PS3_PiS9_.has_dyn_sized_stack, 0
	.set _ZN9rocsparseL44csr2gebsr_wavefront_per_row_multipass_kernelILi256ELi8ELi16ELi64EdEEv20rocsparse_direction_iiiiii21rocsparse_index_base_PKT3_PKiS7_S2_PS3_PiS9_.has_recursion, 0
	.set _ZN9rocsparseL44csr2gebsr_wavefront_per_row_multipass_kernelILi256ELi8ELi16ELi64EdEEv20rocsparse_direction_iiiiii21rocsparse_index_base_PKT3_PKiS7_S2_PS3_PiS9_.has_indirect_call, 0
	.section	.AMDGPU.csdata,"",@progbits
; Kernel info:
; codeLenInByte = 1692
; TotalNumSgprs: 26
; NumVgprs: 41
; ScratchSize: 0
; MemoryBound: 0
; FloatMode: 240
; IeeeMode: 1
; LDSByteSize: 4104 bytes/workgroup (compile time only)
; SGPRBlocks: 0
; VGPRBlocks: 2
; NumSGPRsForWavesPerEU: 26
; NumVGPRsForWavesPerEU: 41
; NamedBarCnt: 0
; Occupancy: 16
; WaveLimiterHint : 0
; COMPUTE_PGM_RSRC2:SCRATCH_EN: 0
; COMPUTE_PGM_RSRC2:USER_SGPR: 2
; COMPUTE_PGM_RSRC2:TRAP_HANDLER: 0
; COMPUTE_PGM_RSRC2:TGID_X_EN: 1
; COMPUTE_PGM_RSRC2:TGID_Y_EN: 0
; COMPUTE_PGM_RSRC2:TGID_Z_EN: 0
; COMPUTE_PGM_RSRC2:TIDIG_COMP_CNT: 0
	.section	.text._ZN9rocsparseL44csr2gebsr_wavefront_per_row_multipass_kernelILi256ELi8ELi16ELi32EdEEv20rocsparse_direction_iiiiii21rocsparse_index_base_PKT3_PKiS7_S2_PS3_PiS9_,"axG",@progbits,_ZN9rocsparseL44csr2gebsr_wavefront_per_row_multipass_kernelILi256ELi8ELi16ELi32EdEEv20rocsparse_direction_iiiiii21rocsparse_index_base_PKT3_PKiS7_S2_PS3_PiS9_,comdat
	.globl	_ZN9rocsparseL44csr2gebsr_wavefront_per_row_multipass_kernelILi256ELi8ELi16ELi32EdEEv20rocsparse_direction_iiiiii21rocsparse_index_base_PKT3_PKiS7_S2_PS3_PiS9_ ; -- Begin function _ZN9rocsparseL44csr2gebsr_wavefront_per_row_multipass_kernelILi256ELi8ELi16ELi32EdEEv20rocsparse_direction_iiiiii21rocsparse_index_base_PKT3_PKiS7_S2_PS3_PiS9_
	.p2align	8
	.type	_ZN9rocsparseL44csr2gebsr_wavefront_per_row_multipass_kernelILi256ELi8ELi16ELi32EdEEv20rocsparse_direction_iiiiii21rocsparse_index_base_PKT3_PKiS7_S2_PS3_PiS9_,@function
_ZN9rocsparseL44csr2gebsr_wavefront_per_row_multipass_kernelILi256ELi8ELi16ELi32EdEEv20rocsparse_direction_iiiiii21rocsparse_index_base_PKT3_PKiS7_S2_PS3_PiS9_: ; @_ZN9rocsparseL44csr2gebsr_wavefront_per_row_multipass_kernelILi256ELi8ELi16ELi32EdEEv20rocsparse_direction_iiiiii21rocsparse_index_base_PKT3_PKiS7_S2_PS3_PiS9_
; %bb.0:
	s_clause 0x1
	s_load_b128 s[4:7], s[0:1], 0xc
	s_load_b64 s[14:15], s[0:1], 0x0
	s_bfe_u32 s2, ttmp6, 0x4000c
	s_and_b32 s3, ttmp6, 15
	s_add_co_i32 s2, s2, 1
	s_getreg_b32 s8, hwreg(HW_REG_IB_STS2, 6, 4)
	s_mul_i32 s2, ttmp9, s2
	v_dual_lshrrev_b32 v24, 5, v0 :: v_dual_mov_b32 v2, 0
	s_add_co_i32 s3, s3, s2
	s_cmp_eq_u32 s8, 0
	v_bfe_u32 v1, v0, 2, 3
	s_cselect_b32 s2, ttmp9, s3
	s_clause 0x1
	s_load_b32 s20, s[0:1], 0x1c
	s_load_b64 s[8:9], s[0:1], 0x28
	v_lshl_or_b32 v3, s2, 3, v24
	v_mov_b32_e32 v34, 0
	s_wait_kmcnt 0x0
	s_delay_alu instid0(VALU_DEP_2) | instskip(SKIP_1) | instid1(VALU_DEP_2)
	v_mad_u32 v4, v3, s6, v1
	v_cmp_gt_i32_e32 vcc_lo, s6, v1
	v_cmp_gt_i32_e64 s2, s15, v4
	s_and_b32 s2, vcc_lo, s2
	s_delay_alu instid0(SALU_CYCLE_1)
	s_and_saveexec_b32 s3, s2
	s_cbranch_execz .LBB94_2
; %bb.1:
	global_load_b32 v5, v4, s[8:9] scale_offset
	s_wait_loadcnt 0x0
	v_subrev_nc_u32_e32 v34, s20, v5
.LBB94_2:
	s_or_b32 exec_lo, exec_lo, s3
	v_mov_b32_e32 v25, 0
	s_and_saveexec_b32 s3, s2
	s_cbranch_execz .LBB94_4
; %bb.3:
	global_load_b32 v4, v4, s[8:9] offset:4 scale_offset
	s_wait_loadcnt 0x0
	v_subrev_nc_u32_e32 v25, s20, v4
.LBB94_4:
	s_or_b32 exec_lo, exec_lo, s3
	s_load_b32 s21, s[0:1], 0x38
	s_mov_b32 s3, exec_lo
	v_cmpx_gt_i32_e64 s4, v3
	s_cbranch_execz .LBB94_6
; %bb.5:
	s_load_b64 s[8:9], s[0:1], 0x48
	s_wait_kmcnt 0x0
	global_load_b32 v2, v3, s[8:9] scale_offset
	s_wait_loadcnt 0x0
	v_subrev_nc_u32_e32 v2, s21, v2
.LBB94_6:
	s_or_b32 exec_lo, exec_lo, s3
	s_cmp_lt_i32 s5, 1
	s_cbranch_scc1 .LBB94_41
; %bb.7:
	v_mbcnt_lo_u32_b32 v3, -1, 0
	s_clause 0x3
	s_load_b64 s[8:9], s[0:1], 0x50
	s_load_b64 s[2:3], s[0:1], 0x40
	;; [unrolled: 1-line block ×4, first 2 shown]
	v_and_b32_e32 v26, 3, v0
	v_mul_lo_u32 v6, s7, v1
	s_cmp_lg_u32 s14, 0
	v_dual_lshlrev_b32 v0, 7, v1 :: v_dual_bitop2_b32 v4, 2, v3 bitop3:0x14
	v_xor_b32_e32 v10, 8, v3
	s_mov_b32 s15, 0
	s_cselect_b32 s4, -1, 0
	s_wait_xcnt 0x0
	v_cmp_gt_i32_e64 s0, 32, v4
	v_xor_b32_e32 v5, 1, v3
	v_lshl_or_b32 v27, v24, 10, v0
	s_mov_b32 s14, s6
	s_ashr_i32 s17, s7, 31
	v_cndmask_b32_e64 v4, v3, v4, s0
	v_cmp_gt_i32_e64 s0, 32, v5
	s_mov_b32 s16, s7
	v_lshl_or_b32 v30, v3, 2, 12
	s_mul_u64 s[18:19], s[16:17], s[14:15]
	v_lshlrev_b32_e32 v0, 3, v1
	v_dual_cndmask_b32 v5, v3, v5, s0 :: v_dual_lshlrev_b32 v8, 3, v26
	v_dual_mov_b32 v1, 0 :: v_dual_ashrrev_i32 v7, 31, v6
	s_delay_alu instid0(VALU_DEP_2) | instskip(NEXT) | instid1(VALU_DEP_2)
	v_dual_lshlrev_b32 v28, 2, v4 :: v_dual_lshlrev_b32 v29, 2, v5
	v_dual_mov_b32 v9, v1 :: v_dual_bitop2_b32 v31, v27, v8 bitop3:0x54
	s_wait_kmcnt 0x0
	v_add_nc_u64_e32 v[4:5], s[2:3], v[0:1]
	v_xor_b32_e32 v0, 16, v3
	v_lshl_add_u64 v[6:7], v[6:7], 3, s[2:3]
	s_abs_i32 s16, s7
	v_mov_b64_e32 v[16:17], 0
	s_cvt_f32_u32 s1, s16
	v_cmp_gt_i32_e64 s0, 32, v0
	v_add_nc_u64_e32 v[6:7], v[6:7], v[8:9]
	v_mul_lo_u32 v8, v26, s6
	s_lshl_b32 s6, s6, 2
	v_dual_mov_b32 v38, 1 :: v_dual_mov_b32 v40, 0
	v_dual_cndmask_b32 v0, v3, v0, s0 :: v_dual_bitop2_b32 v11, 4, v3 bitop3:0x14
	v_cmp_gt_i32_e64 s0, 32, v10
	s_mov_b32 s22, s15
	v_dual_mov_b32 v15, v1 :: v_dual_lshlrev_b32 v32, 2, v0
	v_or_b32_e32 v0, 4, v26
	v_cndmask_b32_e64 v10, v3, v10, s0
	v_cmp_gt_i32_e64 s0, 32, v11
	v_mov_b32_e32 v36, 0x7c
	v_dual_mov_b32 v13, v1 :: v_dual_bitop2_b32 v37, -4, v26 bitop3:0x54
	s_delay_alu instid0(VALU_DEP_3) | instskip(SKIP_2) | instid1(VALU_DEP_3)
	v_dual_lshlrev_b32 v33, 2, v10 :: v_dual_cndmask_b32 v3, v3, v11, s0
	v_add_nc_u32_e32 v10, s6, v8
	v_cmp_gt_u32_e64 s0, s7, v26
	v_dual_mov_b32 v11, v1 :: v_dual_lshlrev_b32 v35, 2, v3
	v_rcp_iflag_f32_e32 v3, s1
	s_delay_alu instid0(VALU_DEP_3) | instskip(SKIP_1) | instid1(VALU_DEP_2)
	v_add_nc_u32_e32 v12, s6, v10
	v_cmp_gt_u32_e64 s1, s7, v0
	v_dual_add_nc_u32 v14, s6, v12 :: v_dual_bitop2_b32 v0, 8, v26 bitop3:0x54
	s_delay_alu instid0(TRANS32_DEP_1)
	v_readfirstlane_b32 s3, v3
	v_or_b32_e32 v3, 12, v26
	s_and_b32 s6, s0, vcc_lo
	s_sub_co_i32 s0, 0, s16
	v_cmp_gt_u32_e64 s2, s7, v0
	s_mul_f32 s14, s3, 0x4f7ffffe
	v_cmp_gt_u32_e64 s3, s7, v3
	s_and_b32 s1, vcc_lo, s1
	s_delay_alu instid0(SALU_CYCLE_1) | instskip(SKIP_2) | instid1(SALU_CYCLE_1)
	s_cvt_u32_f32 s14, s14
	s_and_b32 s2, vcc_lo, s2
	s_and_b32 s3, vcc_lo, s3
	s_mul_i32 s0, s0, s14
	s_delay_alu instid0(SALU_CYCLE_1) | instskip(NEXT) | instid1(SALU_CYCLE_1)
	s_mul_hi_u32 s0, s14, s0
	s_add_co_i32 s14, s14, s0
	s_branch .LBB94_10
.LBB94_8:                               ;   in Loop: Header=BB94_10 Depth=1
	s_wait_xcnt 0x0
	s_or_b32 exec_lo, exec_lo, s23
	v_mov_b32_e32 v0, 1
.LBB94_9:                               ;   in Loop: Header=BB94_10 Depth=1
	s_or_b32 exec_lo, exec_lo, s0
	ds_bpermute_b32 v3, v32, v39
	s_wait_storecnt_dscnt 0x0
	v_dual_add_nc_u32 v2, v0, v2 :: v_dual_min_i32 v3, v3, v39
	ds_bpermute_b32 v18, v33, v3
	s_wait_dscnt 0x0
	v_min_i32_e32 v3, v18, v3
	ds_bpermute_b32 v18, v35, v3
	s_wait_dscnt 0x0
	v_min_i32_e32 v3, v18, v3
	;; [unrolled: 3-line block ×4, first 2 shown]
	ds_bpermute_b32 v40, v36, v3
	s_wait_dscnt 0x0
	v_cmp_le_i32_e32 vcc_lo, s5, v40
	s_or_b32 s22, vcc_lo, s22
	s_delay_alu instid0(SALU_CYCLE_1)
	s_and_not1_b32 exec_lo, exec_lo, s22
	s_cbranch_execz .LBB94_41
.LBB94_10:                              ; =>This Loop Header: Depth=1
                                        ;     Child Loop BB94_11 Depth 2
                                        ;     Child Loop BB94_15 Depth 2
	v_dual_mov_b32 v0, v31 :: v_dual_mov_b32 v3, v37
	s_mov_b32 s0, 0
	ds_store_b8 v24, v1 offset:8192
.LBB94_11:                              ;   Parent Loop BB94_10 Depth=1
                                        ; =>  This Inner Loop Header: Depth=2
	v_add_nc_u32_e32 v3, 4, v3
	ds_store_b64 v0, v[16:17]
	v_add_nc_u32_e32 v0, 32, v0
	v_cmp_lt_u32_e32 vcc_lo, 11, v3
	s_or_b32 s0, vcc_lo, s0
	s_delay_alu instid0(SALU_CYCLE_1)
	s_and_not1_b32 exec_lo, exec_lo, s0
	s_cbranch_execnz .LBB94_11
; %bb.12:                               ;   in Loop: Header=BB94_10 Depth=1
	s_or_b32 exec_lo, exec_lo, s0
	v_dual_mov_b32 v39, s5 :: v_dual_add_nc_u32 v18, v34, v26
	v_mov_b32_e32 v19, v25
	s_mov_b32 s23, exec_lo
	s_wait_dscnt 0x0
	s_delay_alu instid0(VALU_DEP_2)
	v_cmpx_lt_i32_e64 v18, v25
	s_cbranch_execz .LBB94_20
; %bb.13:                               ;   in Loop: Header=BB94_10 Depth=1
	v_mul_lo_u32 v3, v40, s7
	v_dual_ashrrev_i32 v19, 31, v18 :: v_dual_mov_b32 v39, s5
	s_mov_b32 s24, 0
	s_delay_alu instid0(VALU_DEP_1)
	v_lshl_add_u64 v[20:21], v[18:19], 2, s[12:13]
	v_lshl_add_u64 v[22:23], v[18:19], 3, s[10:11]
	v_mov_b32_e32 v19, v25
	s_branch .LBB94_15
.LBB94_14:                              ;   in Loop: Header=BB94_15 Depth=2
	s_wait_xcnt 0x0
	s_or_b32 exec_lo, exec_lo, s0
	v_add_nc_u32_e32 v18, 4, v18
	s_xor_b32 s25, vcc_lo, -1
	v_add_nc_u64_e32 v[20:21], 16, v[20:21]
	v_add_nc_u64_e32 v[22:23], 32, v[22:23]
	s_delay_alu instid0(VALU_DEP_3) | instskip(SKIP_1) | instid1(SALU_CYCLE_1)
	v_cmp_ge_i32_e64 s0, v18, v25
	s_or_b32 s0, s25, s0
	s_and_b32 s0, exec_lo, s0
	s_delay_alu instid0(SALU_CYCLE_1) | instskip(NEXT) | instid1(SALU_CYCLE_1)
	s_or_b32 s24, s0, s24
	s_and_not1_b32 exec_lo, exec_lo, s24
	s_cbranch_execz .LBB94_19
.LBB94_15:                              ;   Parent Loop BB94_10 Depth=1
                                        ; =>  This Inner Loop Header: Depth=2
	global_load_b32 v0, v[20:21], off
	s_wait_loadcnt 0x0
	v_subrev_nc_u32_e32 v34, s20, v0
	s_delay_alu instid0(VALU_DEP_1) | instskip(NEXT) | instid1(VALU_DEP_1)
	v_sub_nc_u32_e32 v0, 0, v34
	v_max_i32_e32 v0, v34, v0
	s_delay_alu instid0(VALU_DEP_1) | instskip(NEXT) | instid1(VALU_DEP_1)
	v_mul_u64_e32 v[42:43], s[14:15], v[0:1]
	v_mul_lo_u32 v41, v43, s16
	s_delay_alu instid0(VALU_DEP_1) | instskip(NEXT) | instid1(VALU_DEP_1)
	v_dual_sub_nc_u32 v0, v0, v41 :: v_dual_add_nc_u32 v41, 1, v43
	v_cmp_le_u32_e32 vcc_lo, s16, v0
	s_delay_alu instid0(VALU_DEP_2) | instskip(SKIP_1) | instid1(VALU_DEP_1)
	v_dual_cndmask_b32 v41, v43, v41, vcc_lo :: v_dual_ashrrev_i32 v43, 31, v34
	v_subrev_nc_u32_e32 v42, s16, v0
	v_dual_cndmask_b32 v0, v0, v42, vcc_lo :: v_dual_add_nc_u32 v42, 1, v41
	s_delay_alu instid0(VALU_DEP_1) | instskip(NEXT) | instid1(VALU_DEP_2)
	v_cmp_le_u32_e32 vcc_lo, s16, v0
	v_dual_cndmask_b32 v0, v41, v42, vcc_lo :: v_dual_bitop2_b32 v43, s17, v43 bitop3:0x14
	s_delay_alu instid0(VALU_DEP_1) | instskip(NEXT) | instid1(VALU_DEP_1)
	v_xor_b32_e32 v0, v0, v43
	v_dual_mov_b32 v0, v19 :: v_dual_sub_nc_u32 v41, v0, v43
	s_delay_alu instid0(VALU_DEP_1) | instskip(SKIP_3) | instid1(SALU_CYCLE_1)
	v_cmp_ne_u32_e64 s0, v41, v40
	v_cmp_eq_u32_e32 vcc_lo, v41, v40
	s_wait_xcnt 0x0
	s_and_saveexec_b32 s25, s0
	s_xor_b32 s0, exec_lo, s25
; %bb.16:                               ;   in Loop: Header=BB94_15 Depth=2
	v_min_i32_e32 v39, v41, v39
                                        ; implicit-def: $vgpr34
                                        ; implicit-def: $vgpr0
; %bb.17:                               ;   in Loop: Header=BB94_15 Depth=2
	s_or_saveexec_b32 s0, s0
	v_mov_b32_e32 v19, v18
	s_xor_b32 exec_lo, exec_lo, s0
	s_cbranch_execz .LBB94_14
; %bb.18:                               ;   in Loop: Header=BB94_15 Depth=2
	global_load_b64 v[42:43], v[22:23], off
	v_sub_nc_u32_e32 v19, v34, v3
	s_delay_alu instid0(VALU_DEP_1)
	v_lshl_add_u32 v34, v19, 3, v27
	v_mov_b32_e32 v19, v0
	ds_store_b8 v24, v38 offset:8192
	s_wait_loadcnt 0x0
	ds_store_b64 v34, v[42:43]
	s_branch .LBB94_14
.LBB94_19:                              ;   in Loop: Header=BB94_10 Depth=1
	s_or_b32 exec_lo, exec_lo, s24
.LBB94_20:                              ;   in Loop: Header=BB94_10 Depth=1
	s_delay_alu instid0(SALU_CYCLE_1)
	s_or_b32 exec_lo, exec_lo, s23
	ds_bpermute_b32 v0, v28, v19
	s_wait_dscnt 0x0
	ds_load_u8 v18, v24 offset:8192
	v_min_i32_e32 v0, v0, v19
	ds_bpermute_b32 v3, v29, v0
	s_wait_dscnt 0x0
	v_min_i32_e32 v0, v3, v0
	ds_bpermute_b32 v34, v30, v0
	v_and_b32_e32 v0, 1, v18
	s_delay_alu instid0(VALU_DEP_1)
	v_cmp_eq_u32_e32 vcc_lo, 1, v0
	v_mov_b32_e32 v0, 0
	s_and_saveexec_b32 s0, vcc_lo
	s_cbranch_execz .LBB94_9
; %bb.21:                               ;   in Loop: Header=BB94_10 Depth=1
	v_dual_ashrrev_i32 v3, 31, v2 :: v_dual_add_nc_u32 v0, s21, v40
	s_delay_alu instid0(VALU_DEP_1) | instskip(SKIP_2) | instid1(VALU_DEP_1)
	v_mul_u64_e32 v[18:19], s[18:19], v[2:3]
	global_store_b32 v2, v0, s[8:9] scale_offset
	v_lshlrev_b64_e32 v[18:19], 3, v[18:19]
	v_add_nc_u64_e32 v[20:21], v[4:5], v[18:19]
	v_add_nc_u64_e32 v[18:19], v[6:7], v[18:19]
	s_wait_xcnt 0x0
	s_and_saveexec_b32 s23, s6
	s_cbranch_execz .LBB94_25
; %bb.22:                               ;   in Loop: Header=BB94_10 Depth=1
	ds_load_b64 v[22:23], v31
	s_and_b32 vcc_lo, exec_lo, s4
	s_cbranch_vccz .LBB94_36
; %bb.23:                               ;   in Loop: Header=BB94_10 Depth=1
	v_lshl_add_u64 v[40:41], v[8:9], 3, v[20:21]
	s_wait_dscnt 0x0
	global_store_b64 v[40:41], v[22:23], off
	s_cbranch_execnz .LBB94_25
.LBB94_24:                              ;   in Loop: Header=BB94_10 Depth=1
	s_wait_dscnt 0x0
	global_store_b64 v[18:19], v[22:23], off
.LBB94_25:                              ;   in Loop: Header=BB94_10 Depth=1
	s_wait_xcnt 0x0
	s_or_b32 exec_lo, exec_lo, s23
	s_and_saveexec_b32 s23, s1
	s_cbranch_execz .LBB94_29
; %bb.26:                               ;   in Loop: Header=BB94_10 Depth=1
	s_and_not1_b32 vcc_lo, exec_lo, s4
	s_cbranch_vccnz .LBB94_37
; %bb.27:                               ;   in Loop: Header=BB94_10 Depth=1
	s_wait_dscnt 0x0
	ds_load_b64 v[22:23], v31 offset:32
	v_lshl_add_u64 v[40:41], v[10:11], 3, v[20:21]
	s_wait_dscnt 0x0
	global_store_b64 v[40:41], v[22:23], off
	s_cbranch_execnz .LBB94_29
.LBB94_28:                              ;   in Loop: Header=BB94_10 Depth=1
	s_wait_dscnt 0x0
	s_wait_xcnt 0x0
	ds_load_b64 v[22:23], v31 offset:32
	s_wait_dscnt 0x0
	global_store_b64 v[18:19], v[22:23], off offset:32
.LBB94_29:                              ;   in Loop: Header=BB94_10 Depth=1
	s_wait_xcnt 0x0
	s_or_b32 exec_lo, exec_lo, s23
	s_and_saveexec_b32 s23, s2
	s_cbranch_execz .LBB94_33
; %bb.30:                               ;   in Loop: Header=BB94_10 Depth=1
	s_and_not1_b32 vcc_lo, exec_lo, s4
	s_cbranch_vccnz .LBB94_38
; %bb.31:                               ;   in Loop: Header=BB94_10 Depth=1
	s_wait_dscnt 0x0
	ds_load_b64 v[22:23], v31 offset:64
	v_lshl_add_u64 v[40:41], v[12:13], 3, v[20:21]
	s_wait_dscnt 0x0
	global_store_b64 v[40:41], v[22:23], off
	s_cbranch_execnz .LBB94_33
.LBB94_32:                              ;   in Loop: Header=BB94_10 Depth=1
	s_wait_dscnt 0x0
	s_wait_xcnt 0x0
	ds_load_b64 v[22:23], v31 offset:64
	s_wait_dscnt 0x0
	global_store_b64 v[18:19], v[22:23], off offset:64
.LBB94_33:                              ;   in Loop: Header=BB94_10 Depth=1
	s_wait_xcnt 0x0
	s_or_b32 exec_lo, exec_lo, s23
	s_and_saveexec_b32 s23, s3
	s_cbranch_execz .LBB94_8
; %bb.34:                               ;   in Loop: Header=BB94_10 Depth=1
	s_and_not1_b32 vcc_lo, exec_lo, s4
	s_cbranch_vccnz .LBB94_39
; %bb.35:                               ;   in Loop: Header=BB94_10 Depth=1
	s_wait_dscnt 0x0
	ds_load_b64 v[22:23], v31 offset:96
	v_lshl_add_u64 v[20:21], v[14:15], 3, v[20:21]
	s_wait_dscnt 0x0
	global_store_b64 v[20:21], v[22:23], off
	s_cbranch_execnz .LBB94_8
	s_branch .LBB94_40
.LBB94_36:                              ;   in Loop: Header=BB94_10 Depth=1
	s_branch .LBB94_24
.LBB94_37:                              ;   in Loop: Header=BB94_10 Depth=1
	s_branch .LBB94_28
.LBB94_38:                              ;   in Loop: Header=BB94_10 Depth=1
	s_branch .LBB94_32
.LBB94_39:                              ;   in Loop: Header=BB94_10 Depth=1
.LBB94_40:                              ;   in Loop: Header=BB94_10 Depth=1
	s_wait_xcnt 0x0
	ds_load_b64 v[20:21], v31 offset:96
	s_wait_dscnt 0x0
	global_store_b64 v[18:19], v[20:21], off offset:96
	s_branch .LBB94_8
.LBB94_41:
	s_endpgm
	.section	.rodata,"a",@progbits
	.p2align	6, 0x0
	.amdhsa_kernel _ZN9rocsparseL44csr2gebsr_wavefront_per_row_multipass_kernelILi256ELi8ELi16ELi32EdEEv20rocsparse_direction_iiiiii21rocsparse_index_base_PKT3_PKiS7_S2_PS3_PiS9_
		.amdhsa_group_segment_fixed_size 8200
		.amdhsa_private_segment_fixed_size 0
		.amdhsa_kernarg_size 88
		.amdhsa_user_sgpr_count 2
		.amdhsa_user_sgpr_dispatch_ptr 0
		.amdhsa_user_sgpr_queue_ptr 0
		.amdhsa_user_sgpr_kernarg_segment_ptr 1
		.amdhsa_user_sgpr_dispatch_id 0
		.amdhsa_user_sgpr_kernarg_preload_length 0
		.amdhsa_user_sgpr_kernarg_preload_offset 0
		.amdhsa_user_sgpr_private_segment_size 0
		.amdhsa_wavefront_size32 1
		.amdhsa_uses_dynamic_stack 0
		.amdhsa_enable_private_segment 0
		.amdhsa_system_sgpr_workgroup_id_x 1
		.amdhsa_system_sgpr_workgroup_id_y 0
		.amdhsa_system_sgpr_workgroup_id_z 0
		.amdhsa_system_sgpr_workgroup_info 0
		.amdhsa_system_vgpr_workitem_id 0
		.amdhsa_next_free_vgpr 44
		.amdhsa_next_free_sgpr 26
		.amdhsa_named_barrier_count 0
		.amdhsa_reserve_vcc 1
		.amdhsa_float_round_mode_32 0
		.amdhsa_float_round_mode_16_64 0
		.amdhsa_float_denorm_mode_32 3
		.amdhsa_float_denorm_mode_16_64 3
		.amdhsa_fp16_overflow 0
		.amdhsa_memory_ordered 1
		.amdhsa_forward_progress 1
		.amdhsa_inst_pref_size 15
		.amdhsa_round_robin_scheduling 0
		.amdhsa_exception_fp_ieee_invalid_op 0
		.amdhsa_exception_fp_denorm_src 0
		.amdhsa_exception_fp_ieee_div_zero 0
		.amdhsa_exception_fp_ieee_overflow 0
		.amdhsa_exception_fp_ieee_underflow 0
		.amdhsa_exception_fp_ieee_inexact 0
		.amdhsa_exception_int_div_zero 0
	.end_amdhsa_kernel
	.section	.text._ZN9rocsparseL44csr2gebsr_wavefront_per_row_multipass_kernelILi256ELi8ELi16ELi32EdEEv20rocsparse_direction_iiiiii21rocsparse_index_base_PKT3_PKiS7_S2_PS3_PiS9_,"axG",@progbits,_ZN9rocsparseL44csr2gebsr_wavefront_per_row_multipass_kernelILi256ELi8ELi16ELi32EdEEv20rocsparse_direction_iiiiii21rocsparse_index_base_PKT3_PKiS7_S2_PS3_PiS9_,comdat
.Lfunc_end94:
	.size	_ZN9rocsparseL44csr2gebsr_wavefront_per_row_multipass_kernelILi256ELi8ELi16ELi32EdEEv20rocsparse_direction_iiiiii21rocsparse_index_base_PKT3_PKiS7_S2_PS3_PiS9_, .Lfunc_end94-_ZN9rocsparseL44csr2gebsr_wavefront_per_row_multipass_kernelILi256ELi8ELi16ELi32EdEEv20rocsparse_direction_iiiiii21rocsparse_index_base_PKT3_PKiS7_S2_PS3_PiS9_
                                        ; -- End function
	.set _ZN9rocsparseL44csr2gebsr_wavefront_per_row_multipass_kernelILi256ELi8ELi16ELi32EdEEv20rocsparse_direction_iiiiii21rocsparse_index_base_PKT3_PKiS7_S2_PS3_PiS9_.num_vgpr, 44
	.set _ZN9rocsparseL44csr2gebsr_wavefront_per_row_multipass_kernelILi256ELi8ELi16ELi32EdEEv20rocsparse_direction_iiiiii21rocsparse_index_base_PKT3_PKiS7_S2_PS3_PiS9_.num_agpr, 0
	.set _ZN9rocsparseL44csr2gebsr_wavefront_per_row_multipass_kernelILi256ELi8ELi16ELi32EdEEv20rocsparse_direction_iiiiii21rocsparse_index_base_PKT3_PKiS7_S2_PS3_PiS9_.numbered_sgpr, 26
	.set _ZN9rocsparseL44csr2gebsr_wavefront_per_row_multipass_kernelILi256ELi8ELi16ELi32EdEEv20rocsparse_direction_iiiiii21rocsparse_index_base_PKT3_PKiS7_S2_PS3_PiS9_.num_named_barrier, 0
	.set _ZN9rocsparseL44csr2gebsr_wavefront_per_row_multipass_kernelILi256ELi8ELi16ELi32EdEEv20rocsparse_direction_iiiiii21rocsparse_index_base_PKT3_PKiS7_S2_PS3_PiS9_.private_seg_size, 0
	.set _ZN9rocsparseL44csr2gebsr_wavefront_per_row_multipass_kernelILi256ELi8ELi16ELi32EdEEv20rocsparse_direction_iiiiii21rocsparse_index_base_PKT3_PKiS7_S2_PS3_PiS9_.uses_vcc, 1
	.set _ZN9rocsparseL44csr2gebsr_wavefront_per_row_multipass_kernelILi256ELi8ELi16ELi32EdEEv20rocsparse_direction_iiiiii21rocsparse_index_base_PKT3_PKiS7_S2_PS3_PiS9_.uses_flat_scratch, 0
	.set _ZN9rocsparseL44csr2gebsr_wavefront_per_row_multipass_kernelILi256ELi8ELi16ELi32EdEEv20rocsparse_direction_iiiiii21rocsparse_index_base_PKT3_PKiS7_S2_PS3_PiS9_.has_dyn_sized_stack, 0
	.set _ZN9rocsparseL44csr2gebsr_wavefront_per_row_multipass_kernelILi256ELi8ELi16ELi32EdEEv20rocsparse_direction_iiiiii21rocsparse_index_base_PKT3_PKiS7_S2_PS3_PiS9_.has_recursion, 0
	.set _ZN9rocsparseL44csr2gebsr_wavefront_per_row_multipass_kernelILi256ELi8ELi16ELi32EdEEv20rocsparse_direction_iiiiii21rocsparse_index_base_PKT3_PKiS7_S2_PS3_PiS9_.has_indirect_call, 0
	.section	.AMDGPU.csdata,"",@progbits
; Kernel info:
; codeLenInByte = 1872
; TotalNumSgprs: 28
; NumVgprs: 44
; ScratchSize: 0
; MemoryBound: 0
; FloatMode: 240
; IeeeMode: 1
; LDSByteSize: 8200 bytes/workgroup (compile time only)
; SGPRBlocks: 0
; VGPRBlocks: 2
; NumSGPRsForWavesPerEU: 28
; NumVGPRsForWavesPerEU: 44
; NamedBarCnt: 0
; Occupancy: 16
; WaveLimiterHint : 0
; COMPUTE_PGM_RSRC2:SCRATCH_EN: 0
; COMPUTE_PGM_RSRC2:USER_SGPR: 2
; COMPUTE_PGM_RSRC2:TRAP_HANDLER: 0
; COMPUTE_PGM_RSRC2:TGID_X_EN: 1
; COMPUTE_PGM_RSRC2:TGID_Y_EN: 0
; COMPUTE_PGM_RSRC2:TGID_Z_EN: 0
; COMPUTE_PGM_RSRC2:TIDIG_COMP_CNT: 0
	.section	.text._ZN9rocsparseL44csr2gebsr_wavefront_per_row_multipass_kernelILi256ELi8ELi32ELi64EdEEv20rocsparse_direction_iiiiii21rocsparse_index_base_PKT3_PKiS7_S2_PS3_PiS9_,"axG",@progbits,_ZN9rocsparseL44csr2gebsr_wavefront_per_row_multipass_kernelILi256ELi8ELi32ELi64EdEEv20rocsparse_direction_iiiiii21rocsparse_index_base_PKT3_PKiS7_S2_PS3_PiS9_,comdat
	.globl	_ZN9rocsparseL44csr2gebsr_wavefront_per_row_multipass_kernelILi256ELi8ELi32ELi64EdEEv20rocsparse_direction_iiiiii21rocsparse_index_base_PKT3_PKiS7_S2_PS3_PiS9_ ; -- Begin function _ZN9rocsparseL44csr2gebsr_wavefront_per_row_multipass_kernelILi256ELi8ELi32ELi64EdEEv20rocsparse_direction_iiiiii21rocsparse_index_base_PKT3_PKiS7_S2_PS3_PiS9_
	.p2align	8
	.type	_ZN9rocsparseL44csr2gebsr_wavefront_per_row_multipass_kernelILi256ELi8ELi32ELi64EdEEv20rocsparse_direction_iiiiii21rocsparse_index_base_PKT3_PKiS7_S2_PS3_PiS9_,@function
_ZN9rocsparseL44csr2gebsr_wavefront_per_row_multipass_kernelILi256ELi8ELi32ELi64EdEEv20rocsparse_direction_iiiiii21rocsparse_index_base_PKT3_PKiS7_S2_PS3_PiS9_: ; @_ZN9rocsparseL44csr2gebsr_wavefront_per_row_multipass_kernelILi256ELi8ELi32ELi64EdEEv20rocsparse_direction_iiiiii21rocsparse_index_base_PKT3_PKiS7_S2_PS3_PiS9_
; %bb.0:
	s_clause 0x1
	s_load_b128 s[4:7], s[0:1], 0xc
	s_load_b64 s[14:15], s[0:1], 0x0
	s_bfe_u32 s2, ttmp6, 0x4000c
	s_and_b32 s3, ttmp6, 15
	s_add_co_i32 s2, s2, 1
	s_getreg_b32 s8, hwreg(HW_REG_IB_STS2, 6, 4)
	s_mul_i32 s2, ttmp9, s2
	v_dual_lshrrev_b32 v24, 6, v0 :: v_dual_mov_b32 v2, 0
	s_add_co_i32 s3, s3, s2
	s_cmp_eq_u32 s8, 0
	v_bfe_u32 v1, v0, 3, 3
	s_cselect_b32 s2, ttmp9, s3
	s_clause 0x1
	s_load_b32 s20, s[0:1], 0x1c
	s_load_b64 s[8:9], s[0:1], 0x28
	v_lshl_or_b32 v3, s2, 2, v24
	v_mov_b32_e32 v35, 0
	s_wait_kmcnt 0x0
	s_delay_alu instid0(VALU_DEP_2) | instskip(SKIP_1) | instid1(VALU_DEP_2)
	v_mad_u32 v4, v3, s6, v1
	v_cmp_gt_i32_e32 vcc_lo, s6, v1
	v_cmp_gt_i32_e64 s2, s15, v4
	s_and_b32 s2, vcc_lo, s2
	s_delay_alu instid0(SALU_CYCLE_1)
	s_and_saveexec_b32 s3, s2
	s_cbranch_execz .LBB95_2
; %bb.1:
	global_load_b32 v5, v4, s[8:9] scale_offset
	s_wait_loadcnt 0x0
	v_subrev_nc_u32_e32 v35, s20, v5
.LBB95_2:
	s_or_b32 exec_lo, exec_lo, s3
	v_mov_b32_e32 v25, 0
	s_and_saveexec_b32 s3, s2
	s_cbranch_execz .LBB95_4
; %bb.3:
	global_load_b32 v4, v4, s[8:9] offset:4 scale_offset
	s_wait_loadcnt 0x0
	v_subrev_nc_u32_e32 v25, s20, v4
.LBB95_4:
	s_or_b32 exec_lo, exec_lo, s3
	s_load_b32 s21, s[0:1], 0x38
	s_mov_b32 s3, exec_lo
	v_cmpx_gt_i32_e64 s4, v3
	s_cbranch_execz .LBB95_6
; %bb.5:
	s_load_b64 s[8:9], s[0:1], 0x48
	s_wait_kmcnt 0x0
	global_load_b32 v2, v3, s[8:9] scale_offset
	s_wait_loadcnt 0x0
	v_subrev_nc_u32_e32 v2, s21, v2
.LBB95_6:
	s_or_b32 exec_lo, exec_lo, s3
	s_cmp_lt_i32 s5, 1
	s_cbranch_scc1 .LBB95_41
; %bb.7:
	v_mbcnt_lo_u32_b32 v10, -1, 0
	v_lshlrev_b32_e32 v3, 8, v1
	s_clause 0x3
	s_load_b64 s[8:9], s[0:1], 0x50
	s_load_b64 s[2:3], s[0:1], 0x40
	;; [unrolled: 1-line block ×4, first 2 shown]
	v_and_b32_e32 v26, 7, v0
	v_mul_lo_u32 v6, s7, v1
	v_xor_b32_e32 v4, 4, v10
	v_lshl_or_b32 v27, v24, 11, v3
	s_cmp_lg_u32 s14, 0
	s_mov_b32 s15, 0
	s_cselect_b32 s4, -1, 0
	s_wait_xcnt 0x0
	v_cmp_gt_i32_e64 s0, 32, v4
	v_xor_b32_e32 v0, 2, v10
	s_mov_b32 s14, s6
	s_ashr_i32 s17, s7, 31
	s_mov_b32 s16, s7
	v_dual_cndmask_b32 v4, v10, v4, s0 :: v_dual_bitop2_b32 v3, 1, v10 bitop3:0x14
	v_cmp_gt_i32_e64 s0, 32, v0
	s_mul_u64 s[18:19], s[16:17], s[14:15]
	s_abs_i32 s16, s7
	v_lshlrev_b32_e32 v28, 2, v4
	s_cvt_f32_u32 s1, s16
	v_cndmask_b32_e64 v0, v10, v0, s0
	v_cmp_gt_i32_e64 s0, 32, v3
	v_lshl_or_b32 v31, v10, 2, 28
	v_mov_b64_e32 v[16:17], 0
	v_bfrev_b32_e32 v37, 0.5
	s_delay_alu instid0(VALU_DEP_4) | instskip(SKIP_2) | instid1(VALU_DEP_3)
	v_dual_lshlrev_b32 v29, 2, v0 :: v_dual_cndmask_b32 v3, v10, v3, s0
	v_dual_mov_b32 v1, 0 :: v_dual_lshlrev_b32 v0, 3, v1
	v_lshlrev_b32_e32 v8, 3, v26
	v_dual_ashrrev_i32 v7, 31, v6 :: v_dual_lshlrev_b32 v30, 2, v3
	v_dual_mov_b32 v39, 1 :: v_dual_bitop2_b32 v38, -8, v26 bitop3:0x54
	s_wait_kmcnt 0x0
	v_add_nc_u64_e32 v[4:5], s[2:3], v[0:1]
	v_dual_mov_b32 v9, v1 :: v_dual_bitop2_b32 v0, 32, v10 bitop3:0x54
	v_or_b32_e32 v32, v27, v8
	v_lshl_add_u64 v[6:7], v[6:7], 3, s[2:3]
	v_mov_b32_e32 v41, 0
	s_delay_alu instid0(VALU_DEP_4)
	v_cmp_gt_i32_e64 s0, 32, v0
	v_xor_b32_e32 v3, 16, v10
	s_mov_b32 s22, s15
	v_add_nc_u64_e32 v[6:7], v[6:7], v[8:9]
	v_mul_lo_u32 v8, v26, s6
	v_cndmask_b32_e64 v0, v10, v0, s0
	v_cmp_gt_i32_e64 s0, 32, v3
	v_xor_b32_e32 v11, 8, v10
	s_lshl_b32 s6, s6, 3
	v_dual_mov_b32 v13, v1 :: v_dual_lshlrev_b32 v33, 2, v0
	v_cndmask_b32_e64 v3, v10, v3, s0
	s_delay_alu instid0(VALU_DEP_3) | instskip(SKIP_1) | instid1(VALU_DEP_2)
	v_cmp_gt_i32_e64 s0, 32, v11
	v_dual_mov_b32 v15, v1 :: v_dual_bitop2_b32 v0, 8, v26 bitop3:0x54
	v_cndmask_b32_e64 v9, v10, v11, s0
	s_delay_alu instid0(VALU_DEP_4)
	v_lshlrev_b32_e32 v34, 2, v3
	v_rcp_iflag_f32_e32 v3, s1
	v_add_nc_u32_e32 v10, s6, v8
	v_cmp_gt_u32_e64 s0, s7, v26
	v_dual_mov_b32 v9, v1 :: v_dual_lshlrev_b32 v36, 2, v9
	v_cmp_gt_u32_e64 s1, s7, v0
	v_or_b32_e32 v0, 16, v26
	s_delay_alu instid0(TRANS32_DEP_1) | instskip(SKIP_2) | instid1(VALU_DEP_4)
	v_readfirstlane_b32 s3, v3
	v_dual_mov_b32 v11, v1 :: v_dual_add_nc_u32 v12, s6, v10
	v_or_b32_e32 v3, 24, v26
	v_cmp_gt_u32_e64 s2, s7, v0
	s_mul_f32 s14, s3, 0x4f7ffffe
	v_add_nc_u32_e32 v14, s6, v12
	s_and_b32 s6, s0, vcc_lo
	s_sub_co_i32 s0, 0, s16
	s_cvt_u32_f32 s14, s14
	v_cmp_gt_u32_e64 s3, s7, v3
	s_and_b32 s1, vcc_lo, s1
	s_and_b32 s2, vcc_lo, s2
	s_mul_i32 s0, s0, s14
	s_delay_alu instid0(SALU_CYCLE_1)
	s_mul_hi_u32 s0, s14, s0
	s_and_b32 s3, vcc_lo, s3
	s_add_co_i32 s14, s14, s0
	s_branch .LBB95_10
.LBB95_8:                               ;   in Loop: Header=BB95_10 Depth=1
	s_wait_xcnt 0x0
	s_or_b32 exec_lo, exec_lo, s23
	v_mov_b32_e32 v0, 1
.LBB95_9:                               ;   in Loop: Header=BB95_10 Depth=1
	s_or_b32 exec_lo, exec_lo, s0
	ds_bpermute_b32 v3, v33, v40
	s_wait_storecnt_dscnt 0x0
	v_dual_add_nc_u32 v2, v0, v2 :: v_dual_min_i32 v3, v3, v40
	ds_bpermute_b32 v18, v34, v3
	s_wait_dscnt 0x0
	v_min_i32_e32 v3, v18, v3
	ds_bpermute_b32 v18, v36, v3
	s_wait_dscnt 0x0
	v_min_i32_e32 v3, v18, v3
	;; [unrolled: 3-line block ×5, first 2 shown]
	ds_bpermute_b32 v41, v37, v3
	s_wait_dscnt 0x0
	v_cmp_le_i32_e32 vcc_lo, s5, v41
	s_or_b32 s22, vcc_lo, s22
	s_delay_alu instid0(SALU_CYCLE_1)
	s_and_not1_b32 exec_lo, exec_lo, s22
	s_cbranch_execz .LBB95_41
.LBB95_10:                              ; =>This Loop Header: Depth=1
                                        ;     Child Loop BB95_11 Depth 2
                                        ;     Child Loop BB95_15 Depth 2
	v_dual_mov_b32 v0, v32 :: v_dual_mov_b32 v3, v38
	s_mov_b32 s0, 0
	ds_store_b8 v24, v1 offset:8192
.LBB95_11:                              ;   Parent Loop BB95_10 Depth=1
                                        ; =>  This Inner Loop Header: Depth=2
	v_add_nc_u32_e32 v3, 8, v3
	ds_store_b64 v0, v[16:17]
	v_add_nc_u32_e32 v0, 64, v0
	v_cmp_lt_u32_e32 vcc_lo, 23, v3
	s_or_b32 s0, vcc_lo, s0
	s_delay_alu instid0(SALU_CYCLE_1)
	s_and_not1_b32 exec_lo, exec_lo, s0
	s_cbranch_execnz .LBB95_11
; %bb.12:                               ;   in Loop: Header=BB95_10 Depth=1
	s_or_b32 exec_lo, exec_lo, s0
	v_dual_add_nc_u32 v18, v35, v26 :: v_dual_mov_b32 v40, s5
	v_mov_b32_e32 v19, v25
	s_mov_b32 s23, exec_lo
	s_wait_dscnt 0x0
	s_delay_alu instid0(VALU_DEP_2)
	v_cmpx_lt_i32_e64 v18, v25
	s_cbranch_execz .LBB95_20
; %bb.13:                               ;   in Loop: Header=BB95_10 Depth=1
	v_mul_lo_u32 v3, v41, s7
	v_dual_mov_b32 v40, s5 :: v_dual_ashrrev_i32 v19, 31, v18
	s_mov_b32 s24, 0
	s_delay_alu instid0(VALU_DEP_1)
	v_lshl_add_u64 v[20:21], v[18:19], 2, s[12:13]
	v_lshl_add_u64 v[22:23], v[18:19], 3, s[10:11]
	v_mov_b32_e32 v19, v25
	s_branch .LBB95_15
.LBB95_14:                              ;   in Loop: Header=BB95_15 Depth=2
	s_wait_xcnt 0x0
	s_or_b32 exec_lo, exec_lo, s0
	v_add_nc_u32_e32 v18, 8, v18
	s_xor_b32 s25, vcc_lo, -1
	v_add_nc_u64_e32 v[20:21], 32, v[20:21]
	v_add_nc_u64_e32 v[22:23], 64, v[22:23]
	s_delay_alu instid0(VALU_DEP_3) | instskip(SKIP_1) | instid1(SALU_CYCLE_1)
	v_cmp_ge_i32_e64 s0, v18, v25
	s_or_b32 s0, s25, s0
	s_and_b32 s0, exec_lo, s0
	s_delay_alu instid0(SALU_CYCLE_1) | instskip(NEXT) | instid1(SALU_CYCLE_1)
	s_or_b32 s24, s0, s24
	s_and_not1_b32 exec_lo, exec_lo, s24
	s_cbranch_execz .LBB95_19
.LBB95_15:                              ;   Parent Loop BB95_10 Depth=1
                                        ; =>  This Inner Loop Header: Depth=2
	global_load_b32 v0, v[20:21], off
	s_wait_loadcnt 0x0
	v_subrev_nc_u32_e32 v35, s20, v0
	s_delay_alu instid0(VALU_DEP_1) | instskip(NEXT) | instid1(VALU_DEP_1)
	v_sub_nc_u32_e32 v0, 0, v35
	v_max_i32_e32 v0, v35, v0
	s_delay_alu instid0(VALU_DEP_1) | instskip(NEXT) | instid1(VALU_DEP_1)
	v_mul_u64_e32 v[42:43], s[14:15], v[0:1]
	v_mul_lo_u32 v42, v43, s16
	s_delay_alu instid0(VALU_DEP_1) | instskip(NEXT) | instid1(VALU_DEP_1)
	v_dual_sub_nc_u32 v0, v0, v42 :: v_dual_add_nc_u32 v42, 1, v43
	v_cmp_le_u32_e32 vcc_lo, s16, v0
	s_delay_alu instid0(VALU_DEP_2) | instskip(SKIP_1) | instid1(VALU_DEP_1)
	v_dual_cndmask_b32 v42, v43, v42 :: v_dual_ashrrev_i32 v43, 31, v35
	v_subrev_nc_u32_e32 v44, s16, v0
	v_dual_cndmask_b32 v0, v0, v44, vcc_lo :: v_dual_add_nc_u32 v44, 1, v42
	s_delay_alu instid0(VALU_DEP_1) | instskip(NEXT) | instid1(VALU_DEP_2)
	v_cmp_le_u32_e32 vcc_lo, s16, v0
	v_dual_cndmask_b32 v0, v42, v44, vcc_lo :: v_dual_bitop2_b32 v43, s17, v43 bitop3:0x14
	s_delay_alu instid0(VALU_DEP_1) | instskip(NEXT) | instid1(VALU_DEP_1)
	v_xor_b32_e32 v0, v0, v43
	v_dual_sub_nc_u32 v42, v0, v43 :: v_dual_mov_b32 v0, v19
	s_delay_alu instid0(VALU_DEP_1) | instskip(SKIP_3) | instid1(SALU_CYCLE_1)
	v_cmp_ne_u32_e64 s0, v42, v41
	v_cmp_eq_u32_e32 vcc_lo, v42, v41
	s_wait_xcnt 0x0
	s_and_saveexec_b32 s25, s0
	s_xor_b32 s0, exec_lo, s25
; %bb.16:                               ;   in Loop: Header=BB95_15 Depth=2
	v_min_i32_e32 v40, v42, v40
                                        ; implicit-def: $vgpr35
                                        ; implicit-def: $vgpr0
; %bb.17:                               ;   in Loop: Header=BB95_15 Depth=2
	s_or_saveexec_b32 s0, s0
	v_mov_b32_e32 v19, v18
	s_xor_b32 exec_lo, exec_lo, s0
	s_cbranch_execz .LBB95_14
; %bb.18:                               ;   in Loop: Header=BB95_15 Depth=2
	global_load_b64 v[42:43], v[22:23], off
	v_sub_nc_u32_e32 v19, v35, v3
	s_delay_alu instid0(VALU_DEP_1)
	v_lshl_add_u32 v35, v19, 3, v27
	v_mov_b32_e32 v19, v0
	ds_store_b8 v24, v39 offset:8192
	s_wait_loadcnt 0x0
	ds_store_b64 v35, v[42:43]
	s_branch .LBB95_14
.LBB95_19:                              ;   in Loop: Header=BB95_10 Depth=1
	s_or_b32 exec_lo, exec_lo, s24
.LBB95_20:                              ;   in Loop: Header=BB95_10 Depth=1
	s_delay_alu instid0(SALU_CYCLE_1)
	s_or_b32 exec_lo, exec_lo, s23
	ds_bpermute_b32 v0, v28, v19
	s_wait_dscnt 0x0
	ds_load_u8 v18, v24 offset:8192
	v_min_i32_e32 v0, v0, v19
	ds_bpermute_b32 v3, v29, v0
	s_wait_dscnt 0x0
	v_min_i32_e32 v0, v3, v0
	ds_bpermute_b32 v3, v30, v0
	s_wait_dscnt 0x0
	v_min_i32_e32 v0, v3, v0
	ds_bpermute_b32 v35, v31, v0
	v_and_b32_e32 v0, 1, v18
	s_delay_alu instid0(VALU_DEP_1)
	v_cmp_eq_u32_e32 vcc_lo, 1, v0
	v_mov_b32_e32 v0, 0
	s_and_saveexec_b32 s0, vcc_lo
	s_cbranch_execz .LBB95_9
; %bb.21:                               ;   in Loop: Header=BB95_10 Depth=1
	v_dual_ashrrev_i32 v3, 31, v2 :: v_dual_add_nc_u32 v0, s21, v41
	s_delay_alu instid0(VALU_DEP_1) | instskip(SKIP_2) | instid1(VALU_DEP_1)
	v_mul_u64_e32 v[18:19], s[18:19], v[2:3]
	global_store_b32 v2, v0, s[8:9] scale_offset
	v_lshlrev_b64_e32 v[18:19], 3, v[18:19]
	v_add_nc_u64_e32 v[20:21], v[4:5], v[18:19]
	v_add_nc_u64_e32 v[18:19], v[6:7], v[18:19]
	s_wait_xcnt 0x0
	s_and_saveexec_b32 s23, s6
	s_cbranch_execz .LBB95_25
; %bb.22:                               ;   in Loop: Header=BB95_10 Depth=1
	ds_load_b64 v[22:23], v32
	s_and_b32 vcc_lo, exec_lo, s4
	s_cbranch_vccz .LBB95_36
; %bb.23:                               ;   in Loop: Header=BB95_10 Depth=1
	v_lshl_add_u64 v[42:43], v[8:9], 3, v[20:21]
	s_wait_dscnt 0x0
	global_store_b64 v[42:43], v[22:23], off
	s_cbranch_execnz .LBB95_25
.LBB95_24:                              ;   in Loop: Header=BB95_10 Depth=1
	s_wait_dscnt 0x0
	global_store_b64 v[18:19], v[22:23], off
.LBB95_25:                              ;   in Loop: Header=BB95_10 Depth=1
	s_wait_xcnt 0x0
	s_or_b32 exec_lo, exec_lo, s23
	s_and_saveexec_b32 s23, s1
	s_cbranch_execz .LBB95_29
; %bb.26:                               ;   in Loop: Header=BB95_10 Depth=1
	s_and_not1_b32 vcc_lo, exec_lo, s4
	s_cbranch_vccnz .LBB95_37
; %bb.27:                               ;   in Loop: Header=BB95_10 Depth=1
	s_wait_dscnt 0x0
	ds_load_b64 v[22:23], v32 offset:64
	v_lshl_add_u64 v[42:43], v[10:11], 3, v[20:21]
	s_wait_dscnt 0x0
	global_store_b64 v[42:43], v[22:23], off
	s_cbranch_execnz .LBB95_29
.LBB95_28:                              ;   in Loop: Header=BB95_10 Depth=1
	s_wait_dscnt 0x0
	s_wait_xcnt 0x0
	ds_load_b64 v[22:23], v32 offset:64
	s_wait_dscnt 0x0
	global_store_b64 v[18:19], v[22:23], off offset:64
.LBB95_29:                              ;   in Loop: Header=BB95_10 Depth=1
	s_wait_xcnt 0x0
	s_or_b32 exec_lo, exec_lo, s23
	s_and_saveexec_b32 s23, s2
	s_cbranch_execz .LBB95_33
; %bb.30:                               ;   in Loop: Header=BB95_10 Depth=1
	s_and_not1_b32 vcc_lo, exec_lo, s4
	s_cbranch_vccnz .LBB95_38
; %bb.31:                               ;   in Loop: Header=BB95_10 Depth=1
	s_wait_dscnt 0x0
	ds_load_b64 v[22:23], v32 offset:128
	v_lshl_add_u64 v[42:43], v[12:13], 3, v[20:21]
	s_wait_dscnt 0x0
	global_store_b64 v[42:43], v[22:23], off
	s_cbranch_execnz .LBB95_33
.LBB95_32:                              ;   in Loop: Header=BB95_10 Depth=1
	s_wait_dscnt 0x0
	s_wait_xcnt 0x0
	ds_load_b64 v[22:23], v32 offset:128
	s_wait_dscnt 0x0
	global_store_b64 v[18:19], v[22:23], off offset:128
.LBB95_33:                              ;   in Loop: Header=BB95_10 Depth=1
	s_wait_xcnt 0x0
	s_or_b32 exec_lo, exec_lo, s23
	s_and_saveexec_b32 s23, s3
	s_cbranch_execz .LBB95_8
; %bb.34:                               ;   in Loop: Header=BB95_10 Depth=1
	s_and_not1_b32 vcc_lo, exec_lo, s4
	s_cbranch_vccnz .LBB95_39
; %bb.35:                               ;   in Loop: Header=BB95_10 Depth=1
	s_wait_dscnt 0x0
	ds_load_b64 v[22:23], v32 offset:192
	v_lshl_add_u64 v[20:21], v[14:15], 3, v[20:21]
	s_wait_dscnt 0x0
	global_store_b64 v[20:21], v[22:23], off
	s_cbranch_execnz .LBB95_8
	s_branch .LBB95_40
.LBB95_36:                              ;   in Loop: Header=BB95_10 Depth=1
	s_branch .LBB95_24
.LBB95_37:                              ;   in Loop: Header=BB95_10 Depth=1
	s_branch .LBB95_28
.LBB95_38:                              ;   in Loop: Header=BB95_10 Depth=1
	s_branch .LBB95_32
.LBB95_39:                              ;   in Loop: Header=BB95_10 Depth=1
.LBB95_40:                              ;   in Loop: Header=BB95_10 Depth=1
	s_wait_xcnt 0x0
	ds_load_b64 v[20:21], v32 offset:192
	s_wait_dscnt 0x0
	global_store_b64 v[18:19], v[20:21], off offset:192
	s_branch .LBB95_8
.LBB95_41:
	s_endpgm
	.section	.rodata,"a",@progbits
	.p2align	6, 0x0
	.amdhsa_kernel _ZN9rocsparseL44csr2gebsr_wavefront_per_row_multipass_kernelILi256ELi8ELi32ELi64EdEEv20rocsparse_direction_iiiiii21rocsparse_index_base_PKT3_PKiS7_S2_PS3_PiS9_
		.amdhsa_group_segment_fixed_size 8200
		.amdhsa_private_segment_fixed_size 0
		.amdhsa_kernarg_size 88
		.amdhsa_user_sgpr_count 2
		.amdhsa_user_sgpr_dispatch_ptr 0
		.amdhsa_user_sgpr_queue_ptr 0
		.amdhsa_user_sgpr_kernarg_segment_ptr 1
		.amdhsa_user_sgpr_dispatch_id 0
		.amdhsa_user_sgpr_kernarg_preload_length 0
		.amdhsa_user_sgpr_kernarg_preload_offset 0
		.amdhsa_user_sgpr_private_segment_size 0
		.amdhsa_wavefront_size32 1
		.amdhsa_uses_dynamic_stack 0
		.amdhsa_enable_private_segment 0
		.amdhsa_system_sgpr_workgroup_id_x 1
		.amdhsa_system_sgpr_workgroup_id_y 0
		.amdhsa_system_sgpr_workgroup_id_z 0
		.amdhsa_system_sgpr_workgroup_info 0
		.amdhsa_system_vgpr_workitem_id 0
		.amdhsa_next_free_vgpr 45
		.amdhsa_next_free_sgpr 26
		.amdhsa_named_barrier_count 0
		.amdhsa_reserve_vcc 1
		.amdhsa_float_round_mode_32 0
		.amdhsa_float_round_mode_16_64 0
		.amdhsa_float_denorm_mode_32 3
		.amdhsa_float_denorm_mode_16_64 3
		.amdhsa_fp16_overflow 0
		.amdhsa_memory_ordered 1
		.amdhsa_forward_progress 1
		.amdhsa_inst_pref_size 15
		.amdhsa_round_robin_scheduling 0
		.amdhsa_exception_fp_ieee_invalid_op 0
		.amdhsa_exception_fp_denorm_src 0
		.amdhsa_exception_fp_ieee_div_zero 0
		.amdhsa_exception_fp_ieee_overflow 0
		.amdhsa_exception_fp_ieee_underflow 0
		.amdhsa_exception_fp_ieee_inexact 0
		.amdhsa_exception_int_div_zero 0
	.end_amdhsa_kernel
	.section	.text._ZN9rocsparseL44csr2gebsr_wavefront_per_row_multipass_kernelILi256ELi8ELi32ELi64EdEEv20rocsparse_direction_iiiiii21rocsparse_index_base_PKT3_PKiS7_S2_PS3_PiS9_,"axG",@progbits,_ZN9rocsparseL44csr2gebsr_wavefront_per_row_multipass_kernelILi256ELi8ELi32ELi64EdEEv20rocsparse_direction_iiiiii21rocsparse_index_base_PKT3_PKiS7_S2_PS3_PiS9_,comdat
.Lfunc_end95:
	.size	_ZN9rocsparseL44csr2gebsr_wavefront_per_row_multipass_kernelILi256ELi8ELi32ELi64EdEEv20rocsparse_direction_iiiiii21rocsparse_index_base_PKT3_PKiS7_S2_PS3_PiS9_, .Lfunc_end95-_ZN9rocsparseL44csr2gebsr_wavefront_per_row_multipass_kernelILi256ELi8ELi32ELi64EdEEv20rocsparse_direction_iiiiii21rocsparse_index_base_PKT3_PKiS7_S2_PS3_PiS9_
                                        ; -- End function
	.set _ZN9rocsparseL44csr2gebsr_wavefront_per_row_multipass_kernelILi256ELi8ELi32ELi64EdEEv20rocsparse_direction_iiiiii21rocsparse_index_base_PKT3_PKiS7_S2_PS3_PiS9_.num_vgpr, 45
	.set _ZN9rocsparseL44csr2gebsr_wavefront_per_row_multipass_kernelILi256ELi8ELi32ELi64EdEEv20rocsparse_direction_iiiiii21rocsparse_index_base_PKT3_PKiS7_S2_PS3_PiS9_.num_agpr, 0
	.set _ZN9rocsparseL44csr2gebsr_wavefront_per_row_multipass_kernelILi256ELi8ELi32ELi64EdEEv20rocsparse_direction_iiiiii21rocsparse_index_base_PKT3_PKiS7_S2_PS3_PiS9_.numbered_sgpr, 26
	.set _ZN9rocsparseL44csr2gebsr_wavefront_per_row_multipass_kernelILi256ELi8ELi32ELi64EdEEv20rocsparse_direction_iiiiii21rocsparse_index_base_PKT3_PKiS7_S2_PS3_PiS9_.num_named_barrier, 0
	.set _ZN9rocsparseL44csr2gebsr_wavefront_per_row_multipass_kernelILi256ELi8ELi32ELi64EdEEv20rocsparse_direction_iiiiii21rocsparse_index_base_PKT3_PKiS7_S2_PS3_PiS9_.private_seg_size, 0
	.set _ZN9rocsparseL44csr2gebsr_wavefront_per_row_multipass_kernelILi256ELi8ELi32ELi64EdEEv20rocsparse_direction_iiiiii21rocsparse_index_base_PKT3_PKiS7_S2_PS3_PiS9_.uses_vcc, 1
	.set _ZN9rocsparseL44csr2gebsr_wavefront_per_row_multipass_kernelILi256ELi8ELi32ELi64EdEEv20rocsparse_direction_iiiiii21rocsparse_index_base_PKT3_PKiS7_S2_PS3_PiS9_.uses_flat_scratch, 0
	.set _ZN9rocsparseL44csr2gebsr_wavefront_per_row_multipass_kernelILi256ELi8ELi32ELi64EdEEv20rocsparse_direction_iiiiii21rocsparse_index_base_PKT3_PKiS7_S2_PS3_PiS9_.has_dyn_sized_stack, 0
	.set _ZN9rocsparseL44csr2gebsr_wavefront_per_row_multipass_kernelILi256ELi8ELi32ELi64EdEEv20rocsparse_direction_iiiiii21rocsparse_index_base_PKT3_PKiS7_S2_PS3_PiS9_.has_recursion, 0
	.set _ZN9rocsparseL44csr2gebsr_wavefront_per_row_multipass_kernelILi256ELi8ELi32ELi64EdEEv20rocsparse_direction_iiiiii21rocsparse_index_base_PKT3_PKiS7_S2_PS3_PiS9_.has_indirect_call, 0
	.section	.AMDGPU.csdata,"",@progbits
; Kernel info:
; codeLenInByte = 1916
; TotalNumSgprs: 28
; NumVgprs: 45
; ScratchSize: 0
; MemoryBound: 0
; FloatMode: 240
; IeeeMode: 1
; LDSByteSize: 8200 bytes/workgroup (compile time only)
; SGPRBlocks: 0
; VGPRBlocks: 2
; NumSGPRsForWavesPerEU: 28
; NumVGPRsForWavesPerEU: 45
; NamedBarCnt: 0
; Occupancy: 16
; WaveLimiterHint : 0
; COMPUTE_PGM_RSRC2:SCRATCH_EN: 0
; COMPUTE_PGM_RSRC2:USER_SGPR: 2
; COMPUTE_PGM_RSRC2:TRAP_HANDLER: 0
; COMPUTE_PGM_RSRC2:TGID_X_EN: 1
; COMPUTE_PGM_RSRC2:TGID_Y_EN: 0
; COMPUTE_PGM_RSRC2:TGID_Z_EN: 0
; COMPUTE_PGM_RSRC2:TIDIG_COMP_CNT: 0
	.section	.text._ZN9rocsparseL44csr2gebsr_wavefront_per_row_multipass_kernelILi256ELi8ELi32ELi32EdEEv20rocsparse_direction_iiiiii21rocsparse_index_base_PKT3_PKiS7_S2_PS3_PiS9_,"axG",@progbits,_ZN9rocsparseL44csr2gebsr_wavefront_per_row_multipass_kernelILi256ELi8ELi32ELi32EdEEv20rocsparse_direction_iiiiii21rocsparse_index_base_PKT3_PKiS7_S2_PS3_PiS9_,comdat
	.globl	_ZN9rocsparseL44csr2gebsr_wavefront_per_row_multipass_kernelILi256ELi8ELi32ELi32EdEEv20rocsparse_direction_iiiiii21rocsparse_index_base_PKT3_PKiS7_S2_PS3_PiS9_ ; -- Begin function _ZN9rocsparseL44csr2gebsr_wavefront_per_row_multipass_kernelILi256ELi8ELi32ELi32EdEEv20rocsparse_direction_iiiiii21rocsparse_index_base_PKT3_PKiS7_S2_PS3_PiS9_
	.p2align	8
	.type	_ZN9rocsparseL44csr2gebsr_wavefront_per_row_multipass_kernelILi256ELi8ELi32ELi32EdEEv20rocsparse_direction_iiiiii21rocsparse_index_base_PKT3_PKiS7_S2_PS3_PiS9_,@function
_ZN9rocsparseL44csr2gebsr_wavefront_per_row_multipass_kernelILi256ELi8ELi32ELi32EdEEv20rocsparse_direction_iiiiii21rocsparse_index_base_PKT3_PKiS7_S2_PS3_PiS9_: ; @_ZN9rocsparseL44csr2gebsr_wavefront_per_row_multipass_kernelILi256ELi8ELi32ELi32EdEEv20rocsparse_direction_iiiiii21rocsparse_index_base_PKT3_PKiS7_S2_PS3_PiS9_
; %bb.0:
	s_clause 0x1
	s_load_b128 s[8:11], s[0:1], 0xc
	s_load_b64 s[4:5], s[0:1], 0x0
	s_bfe_u32 s2, ttmp6, 0x4000c
	s_and_b32 s3, ttmp6, 15
	s_add_co_i32 s2, s2, 1
	s_getreg_b32 s6, hwreg(HW_REG_IB_STS2, 6, 4)
	s_mul_i32 s2, ttmp9, s2
	v_dual_lshrrev_b32 v32, 5, v0 :: v_dual_mov_b32 v2, 0
	s_add_co_i32 s3, s3, s2
	s_cmp_eq_u32 s6, 0
	v_bfe_u32 v3, v0, 2, 3
	s_cselect_b32 s2, ttmp9, s3
	s_clause 0x1
	s_load_b32 s24, s[0:1], 0x1c
	s_load_b64 s[6:7], s[0:1], 0x28
	v_lshl_or_b32 v1, s2, 3, v32
	v_mov_b32_e32 v44, 0
	s_wait_kmcnt 0x0
	s_delay_alu instid0(VALU_DEP_2) | instskip(SKIP_1) | instid1(VALU_DEP_2)
	v_mad_u32 v4, v1, s10, v3
	v_cmp_gt_i32_e32 vcc_lo, s10, v3
	v_cmp_gt_i32_e64 s2, s5, v4
	s_and_b32 s2, vcc_lo, s2
	s_delay_alu instid0(SALU_CYCLE_1)
	s_and_saveexec_b32 s3, s2
	s_cbranch_execz .LBB96_2
; %bb.1:
	global_load_b32 v5, v4, s[6:7] scale_offset
	s_wait_loadcnt 0x0
	v_subrev_nc_u32_e32 v44, s24, v5
.LBB96_2:
	s_or_b32 exec_lo, exec_lo, s3
	v_mov_b32_e32 v33, 0
	s_and_saveexec_b32 s3, s2
	s_cbranch_execz .LBB96_4
; %bb.3:
	global_load_b32 v4, v4, s[6:7] offset:4 scale_offset
	s_wait_loadcnt 0x0
	v_subrev_nc_u32_e32 v33, s24, v4
.LBB96_4:
	s_or_b32 exec_lo, exec_lo, s3
	s_load_b32 s25, s[0:1], 0x38
	s_mov_b32 s3, exec_lo
	v_cmpx_gt_i32_e64 s8, v1
	s_cbranch_execz .LBB96_6
; %bb.5:
	s_load_b64 s[6:7], s[0:1], 0x48
	s_wait_kmcnt 0x0
	global_load_b32 v1, v1, s[6:7] scale_offset
	s_wait_loadcnt 0x0
	v_subrev_nc_u32_e32 v2, s25, v1
.LBB96_6:
	s_or_b32 exec_lo, exec_lo, s3
	s_cmp_lt_i32 s9, 1
	s_cbranch_scc1 .LBB96_61
; %bb.7:
	v_mbcnt_lo_u32_b32 v6, -1, 0
	v_lshlrev_b32_e32 v1, 8, v3
	s_clause 0x3
	s_load_b64 s[12:13], s[0:1], 0x50
	s_load_b64 s[2:3], s[0:1], 0x40
	;; [unrolled: 1-line block ×4, first 2 shown]
	s_cmp_lg_u32 s4, 0
	s_mov_b32 s19, 0
	v_xor_b32_e32 v4, 2, v6
	v_lshl_or_b32 v35, v32, 11, v1
	s_cselect_b32 s8, -1, 0
	s_mov_b32 s18, s10
	s_ashr_i32 s21, s11, 31
	s_wait_xcnt 0x0
	v_cmp_gt_i32_e64 s0, 32, v4
	v_xor_b32_e32 v5, 1, v6
	v_and_b32_e32 v34, 3, v0
	s_mov_b32 s20, s11
	v_lshl_or_b32 v38, v6, 2, 12
	v_cndmask_b32_e64 v0, v6, v4, s0
	v_mul_lo_u32 v4, s11, v3
	v_cmp_gt_i32_e64 s0, 32, v5
	s_mul_u64 s[22:23], s[20:21], s[18:19]
	s_lshl_b32 s18, s10, 2
	v_mov_b64_e32 v[24:25], 0
	v_dual_mov_b32 v46, 1 :: v_dual_cndmask_b32 v1, v6, v5, s0
	v_dual_lshlrev_b32 v36, 2, v0 :: v_dual_lshlrev_b32 v8, 3, v34
	v_dual_lshlrev_b32 v0, 3, v3 :: v_dual_bitop2_b32 v3, 16, v6 bitop3:0x14
	s_delay_alu instid0(VALU_DEP_3) | instskip(NEXT) | instid1(VALU_DEP_3)
	v_dual_ashrrev_i32 v5, 31, v4 :: v_dual_lshlrev_b32 v37, 2, v1
	v_dual_mov_b32 v1, 0 :: v_dual_bitop2_b32 v39, v35, v8 bitop3:0x54
	s_delay_alu instid0(VALU_DEP_3) | instskip(SKIP_1) | instid1(VALU_DEP_3)
	v_cmp_gt_i32_e64 s0, 32, v3
	s_wait_kmcnt 0x0
	v_lshl_add_u64 v[10:11], v[4:5], 3, s[2:3]
	v_xor_b32_e32 v4, 8, v6
	v_dual_mov_b32 v9, v1 :: v_dual_bitop2_b32 v5, 4, v6 bitop3:0x14
	v_dual_cndmask_b32 v3, v6, v3, s0 :: v_dual_mov_b32 v19, v1
	s_delay_alu instid0(VALU_DEP_3) | instskip(SKIP_1) | instid1(VALU_DEP_4)
	v_cmp_gt_i32_e64 s0, 32, v4
	v_or_b32_e32 v45, -4, v34
	v_add_nc_u64_e32 v[8:9], v[10:11], v[8:9]
	v_dual_mov_b32 v48, 0 :: v_dual_mov_b32 v43, 0x7c
	s_delay_alu instid0(VALU_DEP_4)
	v_cndmask_b32_e64 v12, v6, v4, s0
	v_mul_lo_u32 v4, v34, s10
	v_cmp_gt_i32_e64 s0, 32, v5
	s_abs_i32 s10, s11
	v_mov_b32_e32 v13, v1
	s_cvt_f32_u32 s5, s10
	v_dual_mov_b32 v11, v1 :: v_dual_cndmask_b32 v5, v6, v5, s0
	v_add_nc_u64_e32 v[6:7], s[2:3], v[0:1]
	v_dual_lshlrev_b32 v40, 2, v3 :: v_dual_bitop2_b32 v0, 4, v34 bitop3:0x54
	v_lshlrev_b32_e32 v41, 2, v12
	v_add_nc_u32_e32 v10, s18, v4
	v_rcp_iflag_f32_e32 v22, s5
	s_delay_alu instid0(VALU_DEP_3)
	v_cmp_gt_u32_e64 s1, s11, v0
	v_dual_mov_b32 v5, v1 :: v_dual_lshlrev_b32 v42, 2, v5
	v_or_b32_e32 v3, 8, v34
	v_add_nc_u32_e32 v12, s18, v10
	v_or_b32_e32 v0, 12, v34
	v_cmp_gt_u32_e64 s0, s11, v34
	v_readfirstlane_b32 s26, v22
	v_cmp_gt_u32_e64 s2, s11, v3
	v_dual_mov_b32 v15, v1 :: v_dual_add_nc_u32 v14, s18, v12
	v_or_b32_e32 v3, 16, v34
	v_cmp_gt_u32_e64 s3, s11, v0
	v_dual_mov_b32 v17, v1 :: v_dual_bitop2_b32 v0, 20, v34 bitop3:0x54
	s_delay_alu instid0(VALU_DEP_4) | instskip(SKIP_3) | instid1(VALU_DEP_2)
	v_add_nc_u32_e32 v16, s18, v14
	s_and_b32 s20, s0, vcc_lo
	s_mul_f32 s0, s26, 0x4f7ffffe
	v_cmp_gt_u32_e64 s4, s11, v3
	v_dual_add_nc_u32 v18, s18, v16 :: v_dual_bitop2_b32 v3, 24, v34 bitop3:0x54
	v_cmp_gt_u32_e64 s5, s11, v0
	v_or_b32_e32 v0, 28, v34
	s_cvt_u32_f32 s0, s0
	v_dual_mov_b32 v21, v1 :: v_dual_add_nc_u32 v20, s18, v18
	v_cmp_gt_u32_e64 s6, s11, v3
	s_delay_alu instid0(VALU_DEP_3)
	v_cmp_gt_u32_e64 s7, s11, v0
	v_mov_b32_e32 v23, v1
	s_and_b32 s1, vcc_lo, s1
	v_add_nc_u32_e32 v22, s18, v20
	s_sub_co_i32 s18, 0, s10
	s_and_b32 s2, vcc_lo, s2
	s_mul_i32 s18, s18, s0
	s_and_b32 s3, vcc_lo, s3
	s_mul_hi_u32 s18, s0, s18
	s_and_b32 s4, vcc_lo, s4
	s_and_b32 s5, vcc_lo, s5
	;; [unrolled: 1-line block ×4, first 2 shown]
	s_add_co_i32 s18, s0, s18
	s_mov_b32 s26, s19
	s_branch .LBB96_10
.LBB96_8:                               ;   in Loop: Header=BB96_10 Depth=1
	s_wait_xcnt 0x0
	s_or_b32 exec_lo, exec_lo, s27
	v_mov_b32_e32 v0, 1
.LBB96_9:                               ;   in Loop: Header=BB96_10 Depth=1
	s_or_b32 exec_lo, exec_lo, s0
	ds_bpermute_b32 v3, v40, v47
	s_wait_storecnt_dscnt 0x0
	v_dual_add_nc_u32 v2, v0, v2 :: v_dual_min_i32 v3, v3, v47
	ds_bpermute_b32 v26, v41, v3
	s_wait_dscnt 0x0
	v_min_i32_e32 v3, v26, v3
	ds_bpermute_b32 v26, v42, v3
	s_wait_dscnt 0x0
	v_min_i32_e32 v3, v26, v3
	;; [unrolled: 3-line block ×4, first 2 shown]
	ds_bpermute_b32 v48, v43, v3
	s_wait_dscnt 0x0
	v_cmp_le_i32_e32 vcc_lo, s9, v48
	s_or_b32 s26, vcc_lo, s26
	s_delay_alu instid0(SALU_CYCLE_1)
	s_and_not1_b32 exec_lo, exec_lo, s26
	s_cbranch_execz .LBB96_61
.LBB96_10:                              ; =>This Loop Header: Depth=1
                                        ;     Child Loop BB96_11 Depth 2
                                        ;     Child Loop BB96_15 Depth 2
	v_dual_mov_b32 v0, v39 :: v_dual_mov_b32 v3, v45
	s_mov_b32 s0, 0
	ds_store_b8 v32, v1 offset:16384
.LBB96_11:                              ;   Parent Loop BB96_10 Depth=1
                                        ; =>  This Inner Loop Header: Depth=2
	v_add_nc_u32_e32 v3, 4, v3
	ds_store_b64 v0, v[24:25]
	v_add_nc_u32_e32 v0, 32, v0
	v_cmp_lt_u32_e32 vcc_lo, 27, v3
	s_or_b32 s0, vcc_lo, s0
	s_delay_alu instid0(SALU_CYCLE_1)
	s_and_not1_b32 exec_lo, exec_lo, s0
	s_cbranch_execnz .LBB96_11
; %bb.12:                               ;   in Loop: Header=BB96_10 Depth=1
	s_or_b32 exec_lo, exec_lo, s0
	v_dual_mov_b32 v47, s9 :: v_dual_add_nc_u32 v26, v44, v34
	v_mov_b32_e32 v27, v33
	s_mov_b32 s27, exec_lo
	s_wait_dscnt 0x0
	s_delay_alu instid0(VALU_DEP_2)
	v_cmpx_lt_i32_e64 v26, v33
	s_cbranch_execz .LBB96_20
; %bb.13:                               ;   in Loop: Header=BB96_10 Depth=1
	v_mul_lo_u32 v3, v48, s11
	v_dual_ashrrev_i32 v27, 31, v26 :: v_dual_mov_b32 v47, s9
	s_mov_b32 s28, 0
	s_delay_alu instid0(VALU_DEP_1)
	v_lshl_add_u64 v[28:29], v[26:27], 2, s[16:17]
	v_lshl_add_u64 v[30:31], v[26:27], 3, s[14:15]
	v_mov_b32_e32 v27, v33
	s_branch .LBB96_15
.LBB96_14:                              ;   in Loop: Header=BB96_15 Depth=2
	s_wait_xcnt 0x0
	s_or_b32 exec_lo, exec_lo, s0
	v_add_nc_u32_e32 v26, 4, v26
	s_xor_b32 s29, vcc_lo, -1
	v_add_nc_u64_e32 v[28:29], 16, v[28:29]
	v_add_nc_u64_e32 v[30:31], 32, v[30:31]
	s_delay_alu instid0(VALU_DEP_3) | instskip(SKIP_1) | instid1(SALU_CYCLE_1)
	v_cmp_ge_i32_e64 s0, v26, v33
	s_or_b32 s0, s29, s0
	s_and_b32 s0, exec_lo, s0
	s_delay_alu instid0(SALU_CYCLE_1) | instskip(NEXT) | instid1(SALU_CYCLE_1)
	s_or_b32 s28, s0, s28
	s_and_not1_b32 exec_lo, exec_lo, s28
	s_cbranch_execz .LBB96_19
.LBB96_15:                              ;   Parent Loop BB96_10 Depth=1
                                        ; =>  This Inner Loop Header: Depth=2
	global_load_b32 v0, v[28:29], off
	s_wait_loadcnt 0x0
	v_subrev_nc_u32_e32 v44, s24, v0
	s_delay_alu instid0(VALU_DEP_1) | instskip(NEXT) | instid1(VALU_DEP_1)
	v_sub_nc_u32_e32 v0, 0, v44
	v_max_i32_e32 v0, v44, v0
	s_delay_alu instid0(VALU_DEP_1) | instskip(NEXT) | instid1(VALU_DEP_1)
	v_mul_u64_e32 v[50:51], s[18:19], v[0:1]
	v_mul_lo_u32 v49, v51, s10
	s_delay_alu instid0(VALU_DEP_1) | instskip(NEXT) | instid1(VALU_DEP_1)
	v_dual_sub_nc_u32 v0, v0, v49 :: v_dual_add_nc_u32 v49, 1, v51
	v_cmp_le_u32_e32 vcc_lo, s10, v0
	s_delay_alu instid0(VALU_DEP_2) | instskip(SKIP_1) | instid1(VALU_DEP_1)
	v_dual_cndmask_b32 v49, v51, v49, vcc_lo :: v_dual_ashrrev_i32 v51, 31, v44
	v_subrev_nc_u32_e32 v50, s10, v0
	v_dual_cndmask_b32 v0, v0, v50, vcc_lo :: v_dual_add_nc_u32 v50, 1, v49
	s_delay_alu instid0(VALU_DEP_1) | instskip(NEXT) | instid1(VALU_DEP_2)
	v_cmp_le_u32_e32 vcc_lo, s10, v0
	v_dual_cndmask_b32 v0, v49, v50, vcc_lo :: v_dual_bitop2_b32 v51, s21, v51 bitop3:0x14
	s_delay_alu instid0(VALU_DEP_1) | instskip(NEXT) | instid1(VALU_DEP_1)
	v_xor_b32_e32 v0, v0, v51
	v_dual_mov_b32 v0, v27 :: v_dual_sub_nc_u32 v49, v0, v51
	s_delay_alu instid0(VALU_DEP_1) | instskip(SKIP_3) | instid1(SALU_CYCLE_1)
	v_cmp_ne_u32_e64 s0, v49, v48
	v_cmp_eq_u32_e32 vcc_lo, v49, v48
	s_wait_xcnt 0x0
	s_and_saveexec_b32 s29, s0
	s_xor_b32 s0, exec_lo, s29
; %bb.16:                               ;   in Loop: Header=BB96_15 Depth=2
	v_min_i32_e32 v47, v49, v47
                                        ; implicit-def: $vgpr44
                                        ; implicit-def: $vgpr0
; %bb.17:                               ;   in Loop: Header=BB96_15 Depth=2
	s_or_saveexec_b32 s0, s0
	v_mov_b32_e32 v27, v26
	s_xor_b32 exec_lo, exec_lo, s0
	s_cbranch_execz .LBB96_14
; %bb.18:                               ;   in Loop: Header=BB96_15 Depth=2
	global_load_b64 v[50:51], v[30:31], off
	v_sub_nc_u32_e32 v27, v44, v3
	s_delay_alu instid0(VALU_DEP_1)
	v_lshl_add_u32 v44, v27, 3, v35
	v_mov_b32_e32 v27, v0
	ds_store_b8 v32, v46 offset:16384
	s_wait_loadcnt 0x0
	ds_store_b64 v44, v[50:51]
	s_branch .LBB96_14
.LBB96_19:                              ;   in Loop: Header=BB96_10 Depth=1
	s_or_b32 exec_lo, exec_lo, s28
.LBB96_20:                              ;   in Loop: Header=BB96_10 Depth=1
	s_delay_alu instid0(SALU_CYCLE_1)
	s_or_b32 exec_lo, exec_lo, s27
	ds_bpermute_b32 v0, v36, v27
	s_wait_dscnt 0x0
	ds_load_u8 v26, v32 offset:16384
	v_min_i32_e32 v0, v0, v27
	ds_bpermute_b32 v3, v37, v0
	s_wait_dscnt 0x0
	v_min_i32_e32 v0, v3, v0
	ds_bpermute_b32 v44, v38, v0
	v_and_b32_e32 v0, 1, v26
	s_delay_alu instid0(VALU_DEP_1)
	v_cmp_eq_u32_e32 vcc_lo, 1, v0
	v_mov_b32_e32 v0, 0
	s_and_saveexec_b32 s0, vcc_lo
	s_cbranch_execz .LBB96_9
; %bb.21:                               ;   in Loop: Header=BB96_10 Depth=1
	v_dual_ashrrev_i32 v3, 31, v2 :: v_dual_add_nc_u32 v0, s25, v48
	s_delay_alu instid0(VALU_DEP_1) | instskip(SKIP_2) | instid1(VALU_DEP_1)
	v_mul_u64_e32 v[26:27], s[22:23], v[2:3]
	global_store_b32 v2, v0, s[12:13] scale_offset
	v_lshlrev_b64_e32 v[26:27], 3, v[26:27]
	v_add_nc_u64_e32 v[28:29], v[6:7], v[26:27]
	v_add_nc_u64_e32 v[26:27], v[8:9], v[26:27]
	s_wait_xcnt 0x0
	s_and_saveexec_b32 s27, s20
	s_cbranch_execz .LBB96_25
; %bb.22:                               ;   in Loop: Header=BB96_10 Depth=1
	ds_load_b64 v[30:31], v39
	s_and_b32 vcc_lo, exec_lo, s8
	s_cbranch_vccz .LBB96_52
; %bb.23:                               ;   in Loop: Header=BB96_10 Depth=1
	v_lshl_add_u64 v[48:49], v[4:5], 3, v[28:29]
	s_wait_dscnt 0x0
	global_store_b64 v[48:49], v[30:31], off
	s_cbranch_execnz .LBB96_25
.LBB96_24:                              ;   in Loop: Header=BB96_10 Depth=1
	s_wait_dscnt 0x0
	global_store_b64 v[26:27], v[30:31], off
.LBB96_25:                              ;   in Loop: Header=BB96_10 Depth=1
	s_wait_xcnt 0x0
	s_or_b32 exec_lo, exec_lo, s27
	s_and_saveexec_b32 s27, s1
	s_cbranch_execz .LBB96_29
; %bb.26:                               ;   in Loop: Header=BB96_10 Depth=1
	s_and_not1_b32 vcc_lo, exec_lo, s8
	s_cbranch_vccnz .LBB96_53
; %bb.27:                               ;   in Loop: Header=BB96_10 Depth=1
	s_wait_dscnt 0x0
	ds_load_b64 v[30:31], v39 offset:32
	v_lshl_add_u64 v[48:49], v[10:11], 3, v[28:29]
	s_wait_dscnt 0x0
	global_store_b64 v[48:49], v[30:31], off
	s_cbranch_execnz .LBB96_29
.LBB96_28:                              ;   in Loop: Header=BB96_10 Depth=1
	s_wait_dscnt 0x0
	s_wait_xcnt 0x0
	ds_load_b64 v[30:31], v39 offset:32
	s_wait_dscnt 0x0
	global_store_b64 v[26:27], v[30:31], off offset:32
.LBB96_29:                              ;   in Loop: Header=BB96_10 Depth=1
	s_wait_xcnt 0x0
	s_or_b32 exec_lo, exec_lo, s27
	s_and_saveexec_b32 s27, s2
	s_cbranch_execz .LBB96_33
; %bb.30:                               ;   in Loop: Header=BB96_10 Depth=1
	s_and_not1_b32 vcc_lo, exec_lo, s8
	s_cbranch_vccnz .LBB96_54
; %bb.31:                               ;   in Loop: Header=BB96_10 Depth=1
	s_wait_dscnt 0x0
	ds_load_b64 v[30:31], v39 offset:64
	v_lshl_add_u64 v[48:49], v[12:13], 3, v[28:29]
	s_wait_dscnt 0x0
	global_store_b64 v[48:49], v[30:31], off
	s_cbranch_execnz .LBB96_33
.LBB96_32:                              ;   in Loop: Header=BB96_10 Depth=1
	s_wait_dscnt 0x0
	s_wait_xcnt 0x0
	ds_load_b64 v[30:31], v39 offset:64
	s_wait_dscnt 0x0
	global_store_b64 v[26:27], v[30:31], off offset:64
.LBB96_33:                              ;   in Loop: Header=BB96_10 Depth=1
	s_wait_xcnt 0x0
	s_or_b32 exec_lo, exec_lo, s27
	s_and_saveexec_b32 s27, s3
	s_cbranch_execz .LBB96_37
; %bb.34:                               ;   in Loop: Header=BB96_10 Depth=1
	s_and_not1_b32 vcc_lo, exec_lo, s8
	s_cbranch_vccnz .LBB96_55
; %bb.35:                               ;   in Loop: Header=BB96_10 Depth=1
	s_wait_dscnt 0x0
	ds_load_b64 v[30:31], v39 offset:96
	v_lshl_add_u64 v[48:49], v[14:15], 3, v[28:29]
	s_wait_dscnt 0x0
	global_store_b64 v[48:49], v[30:31], off
	s_cbranch_execnz .LBB96_37
.LBB96_36:                              ;   in Loop: Header=BB96_10 Depth=1
	s_wait_dscnt 0x0
	s_wait_xcnt 0x0
	ds_load_b64 v[30:31], v39 offset:96
	s_wait_dscnt 0x0
	global_store_b64 v[26:27], v[30:31], off offset:96
.LBB96_37:                              ;   in Loop: Header=BB96_10 Depth=1
	s_wait_xcnt 0x0
	s_or_b32 exec_lo, exec_lo, s27
	s_and_saveexec_b32 s27, s4
	s_cbranch_execz .LBB96_41
; %bb.38:                               ;   in Loop: Header=BB96_10 Depth=1
	s_and_not1_b32 vcc_lo, exec_lo, s8
	s_cbranch_vccnz .LBB96_56
; %bb.39:                               ;   in Loop: Header=BB96_10 Depth=1
	s_wait_dscnt 0x0
	ds_load_b64 v[30:31], v39 offset:128
	v_lshl_add_u64 v[48:49], v[16:17], 3, v[28:29]
	s_wait_dscnt 0x0
	global_store_b64 v[48:49], v[30:31], off
	s_cbranch_execnz .LBB96_41
.LBB96_40:                              ;   in Loop: Header=BB96_10 Depth=1
	s_wait_dscnt 0x0
	s_wait_xcnt 0x0
	ds_load_b64 v[30:31], v39 offset:128
	s_wait_dscnt 0x0
	global_store_b64 v[26:27], v[30:31], off offset:128
.LBB96_41:                              ;   in Loop: Header=BB96_10 Depth=1
	s_wait_xcnt 0x0
	s_or_b32 exec_lo, exec_lo, s27
	s_and_saveexec_b32 s27, s5
	s_cbranch_execz .LBB96_45
; %bb.42:                               ;   in Loop: Header=BB96_10 Depth=1
	s_and_not1_b32 vcc_lo, exec_lo, s8
	s_cbranch_vccnz .LBB96_57
; %bb.43:                               ;   in Loop: Header=BB96_10 Depth=1
	s_wait_dscnt 0x0
	ds_load_b64 v[30:31], v39 offset:160
	v_lshl_add_u64 v[48:49], v[18:19], 3, v[28:29]
	s_wait_dscnt 0x0
	global_store_b64 v[48:49], v[30:31], off
	s_cbranch_execnz .LBB96_45
.LBB96_44:                              ;   in Loop: Header=BB96_10 Depth=1
	s_wait_dscnt 0x0
	s_wait_xcnt 0x0
	ds_load_b64 v[30:31], v39 offset:160
	s_wait_dscnt 0x0
	global_store_b64 v[26:27], v[30:31], off offset:160
.LBB96_45:                              ;   in Loop: Header=BB96_10 Depth=1
	s_wait_xcnt 0x0
	s_or_b32 exec_lo, exec_lo, s27
	s_and_saveexec_b32 s27, s6
	s_cbranch_execz .LBB96_49
; %bb.46:                               ;   in Loop: Header=BB96_10 Depth=1
	s_and_not1_b32 vcc_lo, exec_lo, s8
	s_cbranch_vccnz .LBB96_58
; %bb.47:                               ;   in Loop: Header=BB96_10 Depth=1
	s_wait_dscnt 0x0
	ds_load_b64 v[30:31], v39 offset:192
	v_lshl_add_u64 v[48:49], v[20:21], 3, v[28:29]
	s_wait_dscnt 0x0
	global_store_b64 v[48:49], v[30:31], off
	s_cbranch_execnz .LBB96_49
.LBB96_48:                              ;   in Loop: Header=BB96_10 Depth=1
	s_wait_dscnt 0x0
	s_wait_xcnt 0x0
	ds_load_b64 v[30:31], v39 offset:192
	s_wait_dscnt 0x0
	global_store_b64 v[26:27], v[30:31], off offset:192
.LBB96_49:                              ;   in Loop: Header=BB96_10 Depth=1
	s_wait_xcnt 0x0
	s_or_b32 exec_lo, exec_lo, s27
	s_and_saveexec_b32 s27, s7
	s_cbranch_execz .LBB96_8
; %bb.50:                               ;   in Loop: Header=BB96_10 Depth=1
	s_and_not1_b32 vcc_lo, exec_lo, s8
	s_cbranch_vccnz .LBB96_59
; %bb.51:                               ;   in Loop: Header=BB96_10 Depth=1
	s_wait_dscnt 0x0
	ds_load_b64 v[30:31], v39 offset:224
	v_lshl_add_u64 v[28:29], v[22:23], 3, v[28:29]
	s_wait_dscnt 0x0
	global_store_b64 v[28:29], v[30:31], off
	s_cbranch_execnz .LBB96_8
	s_branch .LBB96_60
.LBB96_52:                              ;   in Loop: Header=BB96_10 Depth=1
	s_branch .LBB96_24
.LBB96_53:                              ;   in Loop: Header=BB96_10 Depth=1
	s_branch .LBB96_28
.LBB96_54:                              ;   in Loop: Header=BB96_10 Depth=1
	s_branch .LBB96_32
.LBB96_55:                              ;   in Loop: Header=BB96_10 Depth=1
	s_branch .LBB96_36
.LBB96_56:                              ;   in Loop: Header=BB96_10 Depth=1
	s_branch .LBB96_40
.LBB96_57:                              ;   in Loop: Header=BB96_10 Depth=1
	s_branch .LBB96_44
.LBB96_58:                              ;   in Loop: Header=BB96_10 Depth=1
	s_branch .LBB96_48
.LBB96_59:                              ;   in Loop: Header=BB96_10 Depth=1
.LBB96_60:                              ;   in Loop: Header=BB96_10 Depth=1
	s_wait_xcnt 0x0
	ds_load_b64 v[28:29], v39 offset:224
	s_wait_dscnt 0x0
	global_store_b64 v[26:27], v[28:29], off offset:224
	s_branch .LBB96_8
.LBB96_61:
	s_endpgm
	.section	.rodata,"a",@progbits
	.p2align	6, 0x0
	.amdhsa_kernel _ZN9rocsparseL44csr2gebsr_wavefront_per_row_multipass_kernelILi256ELi8ELi32ELi32EdEEv20rocsparse_direction_iiiiii21rocsparse_index_base_PKT3_PKiS7_S2_PS3_PiS9_
		.amdhsa_group_segment_fixed_size 16392
		.amdhsa_private_segment_fixed_size 0
		.amdhsa_kernarg_size 88
		.amdhsa_user_sgpr_count 2
		.amdhsa_user_sgpr_dispatch_ptr 0
		.amdhsa_user_sgpr_queue_ptr 0
		.amdhsa_user_sgpr_kernarg_segment_ptr 1
		.amdhsa_user_sgpr_dispatch_id 0
		.amdhsa_user_sgpr_kernarg_preload_length 0
		.amdhsa_user_sgpr_kernarg_preload_offset 0
		.amdhsa_user_sgpr_private_segment_size 0
		.amdhsa_wavefront_size32 1
		.amdhsa_uses_dynamic_stack 0
		.amdhsa_enable_private_segment 0
		.amdhsa_system_sgpr_workgroup_id_x 1
		.amdhsa_system_sgpr_workgroup_id_y 0
		.amdhsa_system_sgpr_workgroup_id_z 0
		.amdhsa_system_sgpr_workgroup_info 0
		.amdhsa_system_vgpr_workitem_id 0
		.amdhsa_next_free_vgpr 52
		.amdhsa_next_free_sgpr 30
		.amdhsa_named_barrier_count 0
		.amdhsa_reserve_vcc 1
		.amdhsa_float_round_mode_32 0
		.amdhsa_float_round_mode_16_64 0
		.amdhsa_float_denorm_mode_32 3
		.amdhsa_float_denorm_mode_16_64 3
		.amdhsa_fp16_overflow 0
		.amdhsa_memory_ordered 1
		.amdhsa_forward_progress 1
		.amdhsa_inst_pref_size 19
		.amdhsa_round_robin_scheduling 0
		.amdhsa_exception_fp_ieee_invalid_op 0
		.amdhsa_exception_fp_denorm_src 0
		.amdhsa_exception_fp_ieee_div_zero 0
		.amdhsa_exception_fp_ieee_overflow 0
		.amdhsa_exception_fp_ieee_underflow 0
		.amdhsa_exception_fp_ieee_inexact 0
		.amdhsa_exception_int_div_zero 0
	.end_amdhsa_kernel
	.section	.text._ZN9rocsparseL44csr2gebsr_wavefront_per_row_multipass_kernelILi256ELi8ELi32ELi32EdEEv20rocsparse_direction_iiiiii21rocsparse_index_base_PKT3_PKiS7_S2_PS3_PiS9_,"axG",@progbits,_ZN9rocsparseL44csr2gebsr_wavefront_per_row_multipass_kernelILi256ELi8ELi32ELi32EdEEv20rocsparse_direction_iiiiii21rocsparse_index_base_PKT3_PKiS7_S2_PS3_PiS9_,comdat
.Lfunc_end96:
	.size	_ZN9rocsparseL44csr2gebsr_wavefront_per_row_multipass_kernelILi256ELi8ELi32ELi32EdEEv20rocsparse_direction_iiiiii21rocsparse_index_base_PKT3_PKiS7_S2_PS3_PiS9_, .Lfunc_end96-_ZN9rocsparseL44csr2gebsr_wavefront_per_row_multipass_kernelILi256ELi8ELi32ELi32EdEEv20rocsparse_direction_iiiiii21rocsparse_index_base_PKT3_PKiS7_S2_PS3_PiS9_
                                        ; -- End function
	.set _ZN9rocsparseL44csr2gebsr_wavefront_per_row_multipass_kernelILi256ELi8ELi32ELi32EdEEv20rocsparse_direction_iiiiii21rocsparse_index_base_PKT3_PKiS7_S2_PS3_PiS9_.num_vgpr, 52
	.set _ZN9rocsparseL44csr2gebsr_wavefront_per_row_multipass_kernelILi256ELi8ELi32ELi32EdEEv20rocsparse_direction_iiiiii21rocsparse_index_base_PKT3_PKiS7_S2_PS3_PiS9_.num_agpr, 0
	.set _ZN9rocsparseL44csr2gebsr_wavefront_per_row_multipass_kernelILi256ELi8ELi32ELi32EdEEv20rocsparse_direction_iiiiii21rocsparse_index_base_PKT3_PKiS7_S2_PS3_PiS9_.numbered_sgpr, 30
	.set _ZN9rocsparseL44csr2gebsr_wavefront_per_row_multipass_kernelILi256ELi8ELi32ELi32EdEEv20rocsparse_direction_iiiiii21rocsparse_index_base_PKT3_PKiS7_S2_PS3_PiS9_.num_named_barrier, 0
	.set _ZN9rocsparseL44csr2gebsr_wavefront_per_row_multipass_kernelILi256ELi8ELi32ELi32EdEEv20rocsparse_direction_iiiiii21rocsparse_index_base_PKT3_PKiS7_S2_PS3_PiS9_.private_seg_size, 0
	.set _ZN9rocsparseL44csr2gebsr_wavefront_per_row_multipass_kernelILi256ELi8ELi32ELi32EdEEv20rocsparse_direction_iiiiii21rocsparse_index_base_PKT3_PKiS7_S2_PS3_PiS9_.uses_vcc, 1
	.set _ZN9rocsparseL44csr2gebsr_wavefront_per_row_multipass_kernelILi256ELi8ELi32ELi32EdEEv20rocsparse_direction_iiiiii21rocsparse_index_base_PKT3_PKiS7_S2_PS3_PiS9_.uses_flat_scratch, 0
	.set _ZN9rocsparseL44csr2gebsr_wavefront_per_row_multipass_kernelILi256ELi8ELi32ELi32EdEEv20rocsparse_direction_iiiiii21rocsparse_index_base_PKT3_PKiS7_S2_PS3_PiS9_.has_dyn_sized_stack, 0
	.set _ZN9rocsparseL44csr2gebsr_wavefront_per_row_multipass_kernelILi256ELi8ELi32ELi32EdEEv20rocsparse_direction_iiiiii21rocsparse_index_base_PKT3_PKiS7_S2_PS3_PiS9_.has_recursion, 0
	.set _ZN9rocsparseL44csr2gebsr_wavefront_per_row_multipass_kernelILi256ELi8ELi32ELi32EdEEv20rocsparse_direction_iiiiii21rocsparse_index_base_PKT3_PKiS7_S2_PS3_PiS9_.has_indirect_call, 0
	.section	.AMDGPU.csdata,"",@progbits
; Kernel info:
; codeLenInByte = 2376
; TotalNumSgprs: 32
; NumVgprs: 52
; ScratchSize: 0
; MemoryBound: 0
; FloatMode: 240
; IeeeMode: 1
; LDSByteSize: 16392 bytes/workgroup (compile time only)
; SGPRBlocks: 0
; VGPRBlocks: 3
; NumSGPRsForWavesPerEU: 32
; NumVGPRsForWavesPerEU: 52
; NamedBarCnt: 0
; Occupancy: 16
; WaveLimiterHint : 0
; COMPUTE_PGM_RSRC2:SCRATCH_EN: 0
; COMPUTE_PGM_RSRC2:USER_SGPR: 2
; COMPUTE_PGM_RSRC2:TRAP_HANDLER: 0
; COMPUTE_PGM_RSRC2:TGID_X_EN: 1
; COMPUTE_PGM_RSRC2:TGID_Y_EN: 0
; COMPUTE_PGM_RSRC2:TGID_Z_EN: 0
; COMPUTE_PGM_RSRC2:TIDIG_COMP_CNT: 0
	.section	.text._ZN9rocsparseL44csr2gebsr_wavefront_per_row_multipass_kernelILi256ELi8ELi64ELi64EdEEv20rocsparse_direction_iiiiii21rocsparse_index_base_PKT3_PKiS7_S2_PS3_PiS9_,"axG",@progbits,_ZN9rocsparseL44csr2gebsr_wavefront_per_row_multipass_kernelILi256ELi8ELi64ELi64EdEEv20rocsparse_direction_iiiiii21rocsparse_index_base_PKT3_PKiS7_S2_PS3_PiS9_,comdat
	.globl	_ZN9rocsparseL44csr2gebsr_wavefront_per_row_multipass_kernelILi256ELi8ELi64ELi64EdEEv20rocsparse_direction_iiiiii21rocsparse_index_base_PKT3_PKiS7_S2_PS3_PiS9_ ; -- Begin function _ZN9rocsparseL44csr2gebsr_wavefront_per_row_multipass_kernelILi256ELi8ELi64ELi64EdEEv20rocsparse_direction_iiiiii21rocsparse_index_base_PKT3_PKiS7_S2_PS3_PiS9_
	.p2align	8
	.type	_ZN9rocsparseL44csr2gebsr_wavefront_per_row_multipass_kernelILi256ELi8ELi64ELi64EdEEv20rocsparse_direction_iiiiii21rocsparse_index_base_PKT3_PKiS7_S2_PS3_PiS9_,@function
_ZN9rocsparseL44csr2gebsr_wavefront_per_row_multipass_kernelILi256ELi8ELi64ELi64EdEEv20rocsparse_direction_iiiiii21rocsparse_index_base_PKT3_PKiS7_S2_PS3_PiS9_: ; @_ZN9rocsparseL44csr2gebsr_wavefront_per_row_multipass_kernelILi256ELi8ELi64ELi64EdEEv20rocsparse_direction_iiiiii21rocsparse_index_base_PKT3_PKiS7_S2_PS3_PiS9_
; %bb.0:
	s_clause 0x1
	s_load_b128 s[8:11], s[0:1], 0xc
	s_load_b64 s[4:5], s[0:1], 0x0
	s_bfe_u32 s2, ttmp6, 0x4000c
	s_and_b32 s3, ttmp6, 15
	s_add_co_i32 s2, s2, 1
	s_getreg_b32 s6, hwreg(HW_REG_IB_STS2, 6, 4)
	s_mul_i32 s2, ttmp9, s2
	v_dual_lshrrev_b32 v32, 6, v0 :: v_dual_mov_b32 v2, 0
	s_add_co_i32 s3, s3, s2
	s_cmp_eq_u32 s6, 0
	v_bfe_u32 v3, v0, 3, 3
	s_cselect_b32 s2, ttmp9, s3
	s_clause 0x1
	s_load_b32 s24, s[0:1], 0x1c
	s_load_b64 s[6:7], s[0:1], 0x28
	v_lshl_or_b32 v1, s2, 2, v32
	v_mov_b32_e32 v45, 0
	s_wait_kmcnt 0x0
	s_delay_alu instid0(VALU_DEP_2) | instskip(SKIP_1) | instid1(VALU_DEP_2)
	v_mad_u32 v4, v1, s10, v3
	v_cmp_gt_i32_e32 vcc_lo, s10, v3
	v_cmp_gt_i32_e64 s2, s5, v4
	s_and_b32 s2, vcc_lo, s2
	s_delay_alu instid0(SALU_CYCLE_1)
	s_and_saveexec_b32 s3, s2
	s_cbranch_execz .LBB97_2
; %bb.1:
	global_load_b32 v5, v4, s[6:7] scale_offset
	s_wait_loadcnt 0x0
	v_subrev_nc_u32_e32 v45, s24, v5
.LBB97_2:
	s_or_b32 exec_lo, exec_lo, s3
	v_mov_b32_e32 v33, 0
	s_and_saveexec_b32 s3, s2
	s_cbranch_execz .LBB97_4
; %bb.3:
	global_load_b32 v4, v4, s[6:7] offset:4 scale_offset
	s_wait_loadcnt 0x0
	v_subrev_nc_u32_e32 v33, s24, v4
.LBB97_4:
	s_or_b32 exec_lo, exec_lo, s3
	s_load_b32 s25, s[0:1], 0x38
	s_mov_b32 s3, exec_lo
	v_cmpx_gt_i32_e64 s8, v1
	s_cbranch_execz .LBB97_6
; %bb.5:
	s_load_b64 s[6:7], s[0:1], 0x48
	s_wait_kmcnt 0x0
	global_load_b32 v1, v1, s[6:7] scale_offset
	s_wait_loadcnt 0x0
	v_subrev_nc_u32_e32 v2, s25, v1
.LBB97_6:
	s_or_b32 exec_lo, exec_lo, s3
	s_cmp_lt_i32 s9, 1
	s_cbranch_scc1 .LBB97_61
; %bb.7:
	v_dual_lshlrev_b32 v1, 9, v3 :: v_dual_bitop2_b32 v34, 7, v0 bitop3:0x40
	v_mbcnt_lo_u32_b32 v6, -1, 0
	s_clause 0x3
	s_load_b64 s[12:13], s[0:1], 0x50
	s_load_b64 s[2:3], s[0:1], 0x40
	;; [unrolled: 1-line block ×4, first 2 shown]
	s_cmp_lg_u32 s4, 0
	v_lshl_or_b32 v35, v32, 12, v1
	s_mov_b32 s19, 0
	v_xor_b32_e32 v1, 2, v6
	v_xor_b32_e32 v0, 4, v6
	s_cselect_b32 s8, -1, 0
	s_mov_b32 s18, s10
	s_ashr_i32 s21, s11, 31
	s_mov_b32 s20, s11
	s_wait_xcnt 0x0
	v_cmp_gt_i32_e64 s0, 32, v0
	s_mul_u64 s[22:23], s[20:21], s[18:19]
	s_lshl_b32 s18, s10, 3
	v_lshl_or_b32 v39, v6, 2, 28
	v_mov_b64_e32 v[24:25], 0
	v_dual_cndmask_b32 v0, v6, v0, s0 :: v_dual_bitop2_b32 v4, 1, v6 bitop3:0x14
	v_cmp_gt_i32_e64 s0, 32, v1
	v_bfrev_b32_e32 v44, 0.5
	v_dual_mov_b32 v47, 1 :: v_dual_bitop2_b32 v46, -8, v34 bitop3:0x54
	s_delay_alu instid0(VALU_DEP_3) | instskip(SKIP_2) | instid1(VALU_DEP_2)
	v_dual_lshlrev_b32 v36, 2, v0 :: v_dual_cndmask_b32 v1, v6, v1, s0
	v_cmp_gt_i32_e64 s0, 32, v4
	v_dual_mov_b32 v49, 0 :: v_dual_lshlrev_b32 v0, 3, v3
	v_dual_lshlrev_b32 v37, 2, v1 :: v_dual_cndmask_b32 v5, v6, v4, s0
	v_mul_lo_u32 v4, s11, v3
	v_dual_mov_b32 v1, 0 :: v_dual_lshlrev_b32 v8, 3, v34
	s_delay_alu instid0(VALU_DEP_3) | instskip(NEXT) | instid1(VALU_DEP_2)
	v_dual_lshlrev_b32 v38, 2, v5 :: v_dual_bitop2_b32 v3, 32, v6 bitop3:0x54
	v_dual_mov_b32 v9, v1 :: v_dual_bitop2_b32 v40, v35, v8 bitop3:0x54
	v_mov_b32_e32 v19, v1
	s_delay_alu instid0(VALU_DEP_3) | instskip(SKIP_2) | instid1(VALU_DEP_3)
	v_cmp_gt_i32_e64 s0, 32, v3
	v_dual_mov_b32 v13, v1 :: v_dual_ashrrev_i32 v5, 31, v4
	v_dual_mov_b32 v17, v1 :: v_dual_mov_b32 v21, v1
	v_dual_cndmask_b32 v3, v6, v3, s0 :: v_dual_mov_b32 v23, v1
	s_wait_kmcnt 0x0
	s_delay_alu instid0(VALU_DEP_3) | instskip(NEXT) | instid1(VALU_DEP_2)
	v_lshl_add_u64 v[10:11], v[4:5], 3, s[2:3]
	v_dual_lshlrev_b32 v41, 2, v3 :: v_dual_bitop2_b32 v4, 16, v6 bitop3:0x14
	v_or_b32_e32 v3, 16, v34
	s_delay_alu instid0(VALU_DEP_3) | instskip(NEXT) | instid1(VALU_DEP_3)
	v_add_nc_u64_e32 v[8:9], v[10:11], v[8:9]
	v_cmp_gt_i32_e64 s0, 32, v4
	v_dual_mov_b32 v11, v1 :: v_dual_bitop2_b32 v5, 8, v6 bitop3:0x14
	s_delay_alu instid0(VALU_DEP_2) | instskip(SKIP_1) | instid1(VALU_DEP_3)
	v_cndmask_b32_e64 v12, v6, v4, s0
	v_mul_lo_u32 v4, v34, s10
	v_cmp_gt_i32_e64 s0, 32, v5
	s_abs_i32 s10, s11
	s_delay_alu instid0(SALU_CYCLE_1) | instskip(SKIP_4) | instid1(VALU_DEP_3)
	s_cvt_f32_u32 s5, s10
	v_cndmask_b32_e64 v5, v6, v5, s0
	v_add_nc_u64_e32 v[6:7], s[2:3], v[0:1]
	v_dual_lshlrev_b32 v42, 2, v12 :: v_dual_bitop2_b32 v0, 8, v34 bitop3:0x54
	v_rcp_iflag_f32_e32 v22, s5
	v_dual_add_nc_u32 v10, s18, v4 :: v_dual_lshlrev_b32 v43, 2, v5
	s_delay_alu instid0(VALU_DEP_2) | instskip(SKIP_2) | instid1(VALU_DEP_4)
	v_cmp_gt_u32_e64 s1, s11, v0
	v_mov_b32_e32 v5, v1
	v_cmp_gt_u32_e64 s0, s11, v34
	v_add_nc_u32_e32 v12, s18, v10
	v_or_b32_e32 v0, 24, v34
	v_readfirstlane_b32 s26, v22
	v_cmp_gt_u32_e64 s2, s11, v3
	s_delay_alu instid0(VALU_DEP_4)
	v_dual_add_nc_u32 v14, s18, v12 :: v_dual_bitop2_b32 v3, 32, v34 bitop3:0x54
	v_mov_b32_e32 v15, v1
	v_cmp_gt_u32_e64 s3, s11, v0
	v_or_b32_e32 v0, 40, v34
	s_and_b32 s20, s0, vcc_lo
	v_add_nc_u32_e32 v16, s18, v14
	s_mul_f32 s0, s26, 0x4f7ffffe
	v_cmp_gt_u32_e64 s4, s11, v3
	v_or_b32_e32 v3, 48, v34
	v_cmp_gt_u32_e64 s5, s11, v0
	v_dual_add_nc_u32 v18, s18, v16 :: v_dual_bitop2_b32 v0, 56, v34 bitop3:0x54
	s_cvt_u32_f32 s0, s0
	v_cmp_gt_u32_e64 s6, s11, v3
	s_and_b32 s1, vcc_lo, s1
	v_add_nc_u32_e32 v20, s18, v18
	v_cmp_gt_u32_e64 s7, s11, v0
	s_and_b32 s2, vcc_lo, s2
	s_and_b32 s3, vcc_lo, s3
	;; [unrolled: 1-line block ×3, first 2 shown]
	v_add_nc_u32_e32 v22, s18, v20
	s_sub_co_i32 s18, 0, s10
	s_and_b32 s5, vcc_lo, s5
	s_mul_i32 s18, s18, s0
	s_and_b32 s6, vcc_lo, s6
	s_mul_hi_u32 s18, s0, s18
	s_and_b32 s7, vcc_lo, s7
	s_add_co_i32 s18, s0, s18
	s_mov_b32 s26, s19
	s_branch .LBB97_10
.LBB97_8:                               ;   in Loop: Header=BB97_10 Depth=1
	s_wait_xcnt 0x0
	s_or_b32 exec_lo, exec_lo, s27
	v_mov_b32_e32 v0, 1
.LBB97_9:                               ;   in Loop: Header=BB97_10 Depth=1
	s_or_b32 exec_lo, exec_lo, s0
	ds_bpermute_b32 v3, v41, v48
	s_wait_storecnt_dscnt 0x0
	v_dual_add_nc_u32 v2, v0, v2 :: v_dual_min_i32 v3, v3, v48
	ds_bpermute_b32 v26, v42, v3
	s_wait_dscnt 0x0
	v_min_i32_e32 v3, v26, v3
	ds_bpermute_b32 v26, v43, v3
	s_wait_dscnt 0x0
	v_min_i32_e32 v3, v26, v3
	;; [unrolled: 3-line block ×5, first 2 shown]
	ds_bpermute_b32 v49, v44, v3
	s_wait_dscnt 0x0
	v_cmp_le_i32_e32 vcc_lo, s9, v49
	s_or_b32 s26, vcc_lo, s26
	s_delay_alu instid0(SALU_CYCLE_1)
	s_and_not1_b32 exec_lo, exec_lo, s26
	s_cbranch_execz .LBB97_61
.LBB97_10:                              ; =>This Loop Header: Depth=1
                                        ;     Child Loop BB97_11 Depth 2
                                        ;     Child Loop BB97_15 Depth 2
	v_dual_mov_b32 v0, v40 :: v_dual_mov_b32 v3, v46
	s_mov_b32 s0, 0
	ds_store_b8 v32, v1 offset:16384
.LBB97_11:                              ;   Parent Loop BB97_10 Depth=1
                                        ; =>  This Inner Loop Header: Depth=2
	v_add_nc_u32_e32 v3, 8, v3
	ds_store_b64 v0, v[24:25]
	v_add_nc_u32_e32 v0, 64, v0
	v_cmp_lt_u32_e32 vcc_lo, 55, v3
	s_or_b32 s0, vcc_lo, s0
	s_delay_alu instid0(SALU_CYCLE_1)
	s_and_not1_b32 exec_lo, exec_lo, s0
	s_cbranch_execnz .LBB97_11
; %bb.12:                               ;   in Loop: Header=BB97_10 Depth=1
	s_or_b32 exec_lo, exec_lo, s0
	v_dual_add_nc_u32 v26, v45, v34 :: v_dual_mov_b32 v48, s9
	v_mov_b32_e32 v27, v33
	s_mov_b32 s27, exec_lo
	s_wait_dscnt 0x0
	s_delay_alu instid0(VALU_DEP_2)
	v_cmpx_lt_i32_e64 v26, v33
	s_cbranch_execz .LBB97_20
; %bb.13:                               ;   in Loop: Header=BB97_10 Depth=1
	v_mul_lo_u32 v3, v49, s11
	v_dual_mov_b32 v48, s9 :: v_dual_ashrrev_i32 v27, 31, v26
	s_mov_b32 s28, 0
	s_delay_alu instid0(VALU_DEP_1)
	v_lshl_add_u64 v[28:29], v[26:27], 2, s[16:17]
	v_lshl_add_u64 v[30:31], v[26:27], 3, s[14:15]
	v_mov_b32_e32 v27, v33
	s_branch .LBB97_15
.LBB97_14:                              ;   in Loop: Header=BB97_15 Depth=2
	s_wait_xcnt 0x0
	s_or_b32 exec_lo, exec_lo, s0
	v_add_nc_u32_e32 v26, 8, v26
	s_xor_b32 s29, vcc_lo, -1
	v_add_nc_u64_e32 v[28:29], 32, v[28:29]
	v_add_nc_u64_e32 v[30:31], 64, v[30:31]
	s_delay_alu instid0(VALU_DEP_3) | instskip(SKIP_1) | instid1(SALU_CYCLE_1)
	v_cmp_ge_i32_e64 s0, v26, v33
	s_or_b32 s0, s29, s0
	s_and_b32 s0, exec_lo, s0
	s_delay_alu instid0(SALU_CYCLE_1) | instskip(NEXT) | instid1(SALU_CYCLE_1)
	s_or_b32 s28, s0, s28
	s_and_not1_b32 exec_lo, exec_lo, s28
	s_cbranch_execz .LBB97_19
.LBB97_15:                              ;   Parent Loop BB97_10 Depth=1
                                        ; =>  This Inner Loop Header: Depth=2
	global_load_b32 v0, v[28:29], off
	s_wait_loadcnt 0x0
	v_subrev_nc_u32_e32 v45, s24, v0
	s_delay_alu instid0(VALU_DEP_1) | instskip(NEXT) | instid1(VALU_DEP_1)
	v_sub_nc_u32_e32 v0, 0, v45
	v_max_i32_e32 v0, v45, v0
	s_delay_alu instid0(VALU_DEP_1) | instskip(NEXT) | instid1(VALU_DEP_1)
	v_mul_u64_e32 v[50:51], s[18:19], v[0:1]
	v_mul_lo_u32 v50, v51, s10
	s_delay_alu instid0(VALU_DEP_1) | instskip(NEXT) | instid1(VALU_DEP_1)
	v_dual_sub_nc_u32 v0, v0, v50 :: v_dual_add_nc_u32 v50, 1, v51
	v_cmp_le_u32_e32 vcc_lo, s10, v0
	s_delay_alu instid0(VALU_DEP_2) | instskip(SKIP_1) | instid1(VALU_DEP_1)
	v_dual_cndmask_b32 v50, v51, v50 :: v_dual_ashrrev_i32 v51, 31, v45
	v_subrev_nc_u32_e32 v52, s10, v0
	v_dual_cndmask_b32 v0, v0, v52, vcc_lo :: v_dual_add_nc_u32 v52, 1, v50
	s_delay_alu instid0(VALU_DEP_1) | instskip(NEXT) | instid1(VALU_DEP_2)
	v_cmp_le_u32_e32 vcc_lo, s10, v0
	v_dual_cndmask_b32 v0, v50, v52, vcc_lo :: v_dual_bitop2_b32 v51, s21, v51 bitop3:0x14
	s_delay_alu instid0(VALU_DEP_1) | instskip(NEXT) | instid1(VALU_DEP_1)
	v_xor_b32_e32 v0, v0, v51
	v_dual_sub_nc_u32 v50, v0, v51 :: v_dual_mov_b32 v0, v27
	s_delay_alu instid0(VALU_DEP_1) | instskip(SKIP_3) | instid1(SALU_CYCLE_1)
	v_cmp_ne_u32_e64 s0, v50, v49
	v_cmp_eq_u32_e32 vcc_lo, v50, v49
	s_wait_xcnt 0x0
	s_and_saveexec_b32 s29, s0
	s_xor_b32 s0, exec_lo, s29
; %bb.16:                               ;   in Loop: Header=BB97_15 Depth=2
	v_min_i32_e32 v48, v50, v48
                                        ; implicit-def: $vgpr45
                                        ; implicit-def: $vgpr0
; %bb.17:                               ;   in Loop: Header=BB97_15 Depth=2
	s_or_saveexec_b32 s0, s0
	v_mov_b32_e32 v27, v26
	s_xor_b32 exec_lo, exec_lo, s0
	s_cbranch_execz .LBB97_14
; %bb.18:                               ;   in Loop: Header=BB97_15 Depth=2
	global_load_b64 v[50:51], v[30:31], off
	v_sub_nc_u32_e32 v27, v45, v3
	s_delay_alu instid0(VALU_DEP_1)
	v_lshl_add_u32 v45, v27, 3, v35
	v_mov_b32_e32 v27, v0
	ds_store_b8 v32, v47 offset:16384
	s_wait_loadcnt 0x0
	ds_store_b64 v45, v[50:51]
	s_branch .LBB97_14
.LBB97_19:                              ;   in Loop: Header=BB97_10 Depth=1
	s_or_b32 exec_lo, exec_lo, s28
.LBB97_20:                              ;   in Loop: Header=BB97_10 Depth=1
	s_delay_alu instid0(SALU_CYCLE_1)
	s_or_b32 exec_lo, exec_lo, s27
	ds_bpermute_b32 v0, v36, v27
	s_wait_dscnt 0x0
	ds_load_u8 v26, v32 offset:16384
	v_min_i32_e32 v0, v0, v27
	ds_bpermute_b32 v3, v37, v0
	s_wait_dscnt 0x0
	v_min_i32_e32 v0, v3, v0
	ds_bpermute_b32 v3, v38, v0
	s_wait_dscnt 0x0
	v_min_i32_e32 v0, v3, v0
	ds_bpermute_b32 v45, v39, v0
	v_and_b32_e32 v0, 1, v26
	s_delay_alu instid0(VALU_DEP_1)
	v_cmp_eq_u32_e32 vcc_lo, 1, v0
	v_mov_b32_e32 v0, 0
	s_and_saveexec_b32 s0, vcc_lo
	s_cbranch_execz .LBB97_9
; %bb.21:                               ;   in Loop: Header=BB97_10 Depth=1
	v_dual_ashrrev_i32 v3, 31, v2 :: v_dual_add_nc_u32 v0, s25, v49
	s_delay_alu instid0(VALU_DEP_1) | instskip(SKIP_2) | instid1(VALU_DEP_1)
	v_mul_u64_e32 v[26:27], s[22:23], v[2:3]
	global_store_b32 v2, v0, s[12:13] scale_offset
	v_lshlrev_b64_e32 v[26:27], 3, v[26:27]
	v_add_nc_u64_e32 v[28:29], v[6:7], v[26:27]
	v_add_nc_u64_e32 v[26:27], v[8:9], v[26:27]
	s_wait_xcnt 0x0
	s_and_saveexec_b32 s27, s20
	s_cbranch_execz .LBB97_25
; %bb.22:                               ;   in Loop: Header=BB97_10 Depth=1
	ds_load_b64 v[30:31], v40
	s_and_b32 vcc_lo, exec_lo, s8
	s_cbranch_vccz .LBB97_52
; %bb.23:                               ;   in Loop: Header=BB97_10 Depth=1
	v_lshl_add_u64 v[50:51], v[4:5], 3, v[28:29]
	s_wait_dscnt 0x0
	global_store_b64 v[50:51], v[30:31], off
	s_cbranch_execnz .LBB97_25
.LBB97_24:                              ;   in Loop: Header=BB97_10 Depth=1
	s_wait_dscnt 0x0
	global_store_b64 v[26:27], v[30:31], off
.LBB97_25:                              ;   in Loop: Header=BB97_10 Depth=1
	s_wait_xcnt 0x0
	s_or_b32 exec_lo, exec_lo, s27
	s_and_saveexec_b32 s27, s1
	s_cbranch_execz .LBB97_29
; %bb.26:                               ;   in Loop: Header=BB97_10 Depth=1
	s_and_not1_b32 vcc_lo, exec_lo, s8
	s_cbranch_vccnz .LBB97_53
; %bb.27:                               ;   in Loop: Header=BB97_10 Depth=1
	s_wait_dscnt 0x0
	ds_load_b64 v[30:31], v40 offset:64
	v_lshl_add_u64 v[50:51], v[10:11], 3, v[28:29]
	s_wait_dscnt 0x0
	global_store_b64 v[50:51], v[30:31], off
	s_cbranch_execnz .LBB97_29
.LBB97_28:                              ;   in Loop: Header=BB97_10 Depth=1
	s_wait_dscnt 0x0
	s_wait_xcnt 0x0
	ds_load_b64 v[30:31], v40 offset:64
	s_wait_dscnt 0x0
	global_store_b64 v[26:27], v[30:31], off offset:64
.LBB97_29:                              ;   in Loop: Header=BB97_10 Depth=1
	s_wait_xcnt 0x0
	s_or_b32 exec_lo, exec_lo, s27
	s_and_saveexec_b32 s27, s2
	s_cbranch_execz .LBB97_33
; %bb.30:                               ;   in Loop: Header=BB97_10 Depth=1
	s_and_not1_b32 vcc_lo, exec_lo, s8
	s_cbranch_vccnz .LBB97_54
; %bb.31:                               ;   in Loop: Header=BB97_10 Depth=1
	s_wait_dscnt 0x0
	ds_load_b64 v[30:31], v40 offset:128
	v_lshl_add_u64 v[50:51], v[12:13], 3, v[28:29]
	s_wait_dscnt 0x0
	global_store_b64 v[50:51], v[30:31], off
	s_cbranch_execnz .LBB97_33
.LBB97_32:                              ;   in Loop: Header=BB97_10 Depth=1
	s_wait_dscnt 0x0
	s_wait_xcnt 0x0
	ds_load_b64 v[30:31], v40 offset:128
	s_wait_dscnt 0x0
	global_store_b64 v[26:27], v[30:31], off offset:128
.LBB97_33:                              ;   in Loop: Header=BB97_10 Depth=1
	s_wait_xcnt 0x0
	s_or_b32 exec_lo, exec_lo, s27
	s_and_saveexec_b32 s27, s3
	s_cbranch_execz .LBB97_37
; %bb.34:                               ;   in Loop: Header=BB97_10 Depth=1
	s_and_not1_b32 vcc_lo, exec_lo, s8
	s_cbranch_vccnz .LBB97_55
; %bb.35:                               ;   in Loop: Header=BB97_10 Depth=1
	s_wait_dscnt 0x0
	ds_load_b64 v[30:31], v40 offset:192
	v_lshl_add_u64 v[50:51], v[14:15], 3, v[28:29]
	s_wait_dscnt 0x0
	global_store_b64 v[50:51], v[30:31], off
	s_cbranch_execnz .LBB97_37
.LBB97_36:                              ;   in Loop: Header=BB97_10 Depth=1
	s_wait_dscnt 0x0
	s_wait_xcnt 0x0
	ds_load_b64 v[30:31], v40 offset:192
	s_wait_dscnt 0x0
	global_store_b64 v[26:27], v[30:31], off offset:192
.LBB97_37:                              ;   in Loop: Header=BB97_10 Depth=1
	s_wait_xcnt 0x0
	s_or_b32 exec_lo, exec_lo, s27
	s_and_saveexec_b32 s27, s4
	s_cbranch_execz .LBB97_41
; %bb.38:                               ;   in Loop: Header=BB97_10 Depth=1
	s_and_not1_b32 vcc_lo, exec_lo, s8
	s_cbranch_vccnz .LBB97_56
; %bb.39:                               ;   in Loop: Header=BB97_10 Depth=1
	s_wait_dscnt 0x0
	ds_load_b64 v[30:31], v40 offset:256
	v_lshl_add_u64 v[50:51], v[16:17], 3, v[28:29]
	s_wait_dscnt 0x0
	global_store_b64 v[50:51], v[30:31], off
	s_cbranch_execnz .LBB97_41
.LBB97_40:                              ;   in Loop: Header=BB97_10 Depth=1
	s_wait_dscnt 0x0
	s_wait_xcnt 0x0
	ds_load_b64 v[30:31], v40 offset:256
	s_wait_dscnt 0x0
	global_store_b64 v[26:27], v[30:31], off offset:256
.LBB97_41:                              ;   in Loop: Header=BB97_10 Depth=1
	s_wait_xcnt 0x0
	s_or_b32 exec_lo, exec_lo, s27
	s_and_saveexec_b32 s27, s5
	s_cbranch_execz .LBB97_45
; %bb.42:                               ;   in Loop: Header=BB97_10 Depth=1
	s_and_not1_b32 vcc_lo, exec_lo, s8
	s_cbranch_vccnz .LBB97_57
; %bb.43:                               ;   in Loop: Header=BB97_10 Depth=1
	s_wait_dscnt 0x0
	ds_load_b64 v[30:31], v40 offset:320
	v_lshl_add_u64 v[50:51], v[18:19], 3, v[28:29]
	s_wait_dscnt 0x0
	global_store_b64 v[50:51], v[30:31], off
	s_cbranch_execnz .LBB97_45
.LBB97_44:                              ;   in Loop: Header=BB97_10 Depth=1
	s_wait_dscnt 0x0
	s_wait_xcnt 0x0
	ds_load_b64 v[30:31], v40 offset:320
	s_wait_dscnt 0x0
	global_store_b64 v[26:27], v[30:31], off offset:320
.LBB97_45:                              ;   in Loop: Header=BB97_10 Depth=1
	s_wait_xcnt 0x0
	s_or_b32 exec_lo, exec_lo, s27
	s_and_saveexec_b32 s27, s6
	s_cbranch_execz .LBB97_49
; %bb.46:                               ;   in Loop: Header=BB97_10 Depth=1
	s_and_not1_b32 vcc_lo, exec_lo, s8
	s_cbranch_vccnz .LBB97_58
; %bb.47:                               ;   in Loop: Header=BB97_10 Depth=1
	s_wait_dscnt 0x0
	ds_load_b64 v[30:31], v40 offset:384
	v_lshl_add_u64 v[50:51], v[20:21], 3, v[28:29]
	s_wait_dscnt 0x0
	global_store_b64 v[50:51], v[30:31], off
	s_cbranch_execnz .LBB97_49
.LBB97_48:                              ;   in Loop: Header=BB97_10 Depth=1
	s_wait_dscnt 0x0
	s_wait_xcnt 0x0
	ds_load_b64 v[30:31], v40 offset:384
	s_wait_dscnt 0x0
	global_store_b64 v[26:27], v[30:31], off offset:384
.LBB97_49:                              ;   in Loop: Header=BB97_10 Depth=1
	s_wait_xcnt 0x0
	s_or_b32 exec_lo, exec_lo, s27
	s_and_saveexec_b32 s27, s7
	s_cbranch_execz .LBB97_8
; %bb.50:                               ;   in Loop: Header=BB97_10 Depth=1
	s_and_not1_b32 vcc_lo, exec_lo, s8
	s_cbranch_vccnz .LBB97_59
; %bb.51:                               ;   in Loop: Header=BB97_10 Depth=1
	s_wait_dscnt 0x0
	ds_load_b64 v[30:31], v40 offset:448
	v_lshl_add_u64 v[28:29], v[22:23], 3, v[28:29]
	s_wait_dscnt 0x0
	global_store_b64 v[28:29], v[30:31], off
	s_cbranch_execnz .LBB97_8
	s_branch .LBB97_60
.LBB97_52:                              ;   in Loop: Header=BB97_10 Depth=1
	s_branch .LBB97_24
.LBB97_53:                              ;   in Loop: Header=BB97_10 Depth=1
	s_branch .LBB97_28
.LBB97_54:                              ;   in Loop: Header=BB97_10 Depth=1
	s_branch .LBB97_32
.LBB97_55:                              ;   in Loop: Header=BB97_10 Depth=1
	s_branch .LBB97_36
.LBB97_56:                              ;   in Loop: Header=BB97_10 Depth=1
	s_branch .LBB97_40
.LBB97_57:                              ;   in Loop: Header=BB97_10 Depth=1
	s_branch .LBB97_44
.LBB97_58:                              ;   in Loop: Header=BB97_10 Depth=1
	s_branch .LBB97_48
.LBB97_59:                              ;   in Loop: Header=BB97_10 Depth=1
.LBB97_60:                              ;   in Loop: Header=BB97_10 Depth=1
	s_wait_xcnt 0x0
	ds_load_b64 v[28:29], v40 offset:448
	s_wait_dscnt 0x0
	global_store_b64 v[26:27], v[28:29], off offset:448
	s_branch .LBB97_8
.LBB97_61:
	s_endpgm
	.section	.rodata,"a",@progbits
	.p2align	6, 0x0
	.amdhsa_kernel _ZN9rocsparseL44csr2gebsr_wavefront_per_row_multipass_kernelILi256ELi8ELi64ELi64EdEEv20rocsparse_direction_iiiiii21rocsparse_index_base_PKT3_PKiS7_S2_PS3_PiS9_
		.amdhsa_group_segment_fixed_size 16392
		.amdhsa_private_segment_fixed_size 0
		.amdhsa_kernarg_size 88
		.amdhsa_user_sgpr_count 2
		.amdhsa_user_sgpr_dispatch_ptr 0
		.amdhsa_user_sgpr_queue_ptr 0
		.amdhsa_user_sgpr_kernarg_segment_ptr 1
		.amdhsa_user_sgpr_dispatch_id 0
		.amdhsa_user_sgpr_kernarg_preload_length 0
		.amdhsa_user_sgpr_kernarg_preload_offset 0
		.amdhsa_user_sgpr_private_segment_size 0
		.amdhsa_wavefront_size32 1
		.amdhsa_uses_dynamic_stack 0
		.amdhsa_enable_private_segment 0
		.amdhsa_system_sgpr_workgroup_id_x 1
		.amdhsa_system_sgpr_workgroup_id_y 0
		.amdhsa_system_sgpr_workgroup_id_z 0
		.amdhsa_system_sgpr_workgroup_info 0
		.amdhsa_system_vgpr_workitem_id 0
		.amdhsa_next_free_vgpr 53
		.amdhsa_next_free_sgpr 30
		.amdhsa_named_barrier_count 0
		.amdhsa_reserve_vcc 1
		.amdhsa_float_round_mode_32 0
		.amdhsa_float_round_mode_16_64 0
		.amdhsa_float_denorm_mode_32 3
		.amdhsa_float_denorm_mode_16_64 3
		.amdhsa_fp16_overflow 0
		.amdhsa_memory_ordered 1
		.amdhsa_forward_progress 1
		.amdhsa_inst_pref_size 20
		.amdhsa_round_robin_scheduling 0
		.amdhsa_exception_fp_ieee_invalid_op 0
		.amdhsa_exception_fp_denorm_src 0
		.amdhsa_exception_fp_ieee_div_zero 0
		.amdhsa_exception_fp_ieee_overflow 0
		.amdhsa_exception_fp_ieee_underflow 0
		.amdhsa_exception_fp_ieee_inexact 0
		.amdhsa_exception_int_div_zero 0
	.end_amdhsa_kernel
	.section	.text._ZN9rocsparseL44csr2gebsr_wavefront_per_row_multipass_kernelILi256ELi8ELi64ELi64EdEEv20rocsparse_direction_iiiiii21rocsparse_index_base_PKT3_PKiS7_S2_PS3_PiS9_,"axG",@progbits,_ZN9rocsparseL44csr2gebsr_wavefront_per_row_multipass_kernelILi256ELi8ELi64ELi64EdEEv20rocsparse_direction_iiiiii21rocsparse_index_base_PKT3_PKiS7_S2_PS3_PiS9_,comdat
.Lfunc_end97:
	.size	_ZN9rocsparseL44csr2gebsr_wavefront_per_row_multipass_kernelILi256ELi8ELi64ELi64EdEEv20rocsparse_direction_iiiiii21rocsparse_index_base_PKT3_PKiS7_S2_PS3_PiS9_, .Lfunc_end97-_ZN9rocsparseL44csr2gebsr_wavefront_per_row_multipass_kernelILi256ELi8ELi64ELi64EdEEv20rocsparse_direction_iiiiii21rocsparse_index_base_PKT3_PKiS7_S2_PS3_PiS9_
                                        ; -- End function
	.set _ZN9rocsparseL44csr2gebsr_wavefront_per_row_multipass_kernelILi256ELi8ELi64ELi64EdEEv20rocsparse_direction_iiiiii21rocsparse_index_base_PKT3_PKiS7_S2_PS3_PiS9_.num_vgpr, 53
	.set _ZN9rocsparseL44csr2gebsr_wavefront_per_row_multipass_kernelILi256ELi8ELi64ELi64EdEEv20rocsparse_direction_iiiiii21rocsparse_index_base_PKT3_PKiS7_S2_PS3_PiS9_.num_agpr, 0
	.set _ZN9rocsparseL44csr2gebsr_wavefront_per_row_multipass_kernelILi256ELi8ELi64ELi64EdEEv20rocsparse_direction_iiiiii21rocsparse_index_base_PKT3_PKiS7_S2_PS3_PiS9_.numbered_sgpr, 30
	.set _ZN9rocsparseL44csr2gebsr_wavefront_per_row_multipass_kernelILi256ELi8ELi64ELi64EdEEv20rocsparse_direction_iiiiii21rocsparse_index_base_PKT3_PKiS7_S2_PS3_PiS9_.num_named_barrier, 0
	.set _ZN9rocsparseL44csr2gebsr_wavefront_per_row_multipass_kernelILi256ELi8ELi64ELi64EdEEv20rocsparse_direction_iiiiii21rocsparse_index_base_PKT3_PKiS7_S2_PS3_PiS9_.private_seg_size, 0
	.set _ZN9rocsparseL44csr2gebsr_wavefront_per_row_multipass_kernelILi256ELi8ELi64ELi64EdEEv20rocsparse_direction_iiiiii21rocsparse_index_base_PKT3_PKiS7_S2_PS3_PiS9_.uses_vcc, 1
	.set _ZN9rocsparseL44csr2gebsr_wavefront_per_row_multipass_kernelILi256ELi8ELi64ELi64EdEEv20rocsparse_direction_iiiiii21rocsparse_index_base_PKT3_PKiS7_S2_PS3_PiS9_.uses_flat_scratch, 0
	.set _ZN9rocsparseL44csr2gebsr_wavefront_per_row_multipass_kernelILi256ELi8ELi64ELi64EdEEv20rocsparse_direction_iiiiii21rocsparse_index_base_PKT3_PKiS7_S2_PS3_PiS9_.has_dyn_sized_stack, 0
	.set _ZN9rocsparseL44csr2gebsr_wavefront_per_row_multipass_kernelILi256ELi8ELi64ELi64EdEEv20rocsparse_direction_iiiiii21rocsparse_index_base_PKT3_PKiS7_S2_PS3_PiS9_.has_recursion, 0
	.set _ZN9rocsparseL44csr2gebsr_wavefront_per_row_multipass_kernelILi256ELi8ELi64ELi64EdEEv20rocsparse_direction_iiiiii21rocsparse_index_base_PKT3_PKiS7_S2_PS3_PiS9_.has_indirect_call, 0
	.section	.AMDGPU.csdata,"",@progbits
; Kernel info:
; codeLenInByte = 2452
; TotalNumSgprs: 32
; NumVgprs: 53
; ScratchSize: 0
; MemoryBound: 0
; FloatMode: 240
; IeeeMode: 1
; LDSByteSize: 16392 bytes/workgroup (compile time only)
; SGPRBlocks: 0
; VGPRBlocks: 3
; NumSGPRsForWavesPerEU: 32
; NumVGPRsForWavesPerEU: 53
; NamedBarCnt: 0
; Occupancy: 16
; WaveLimiterHint : 0
; COMPUTE_PGM_RSRC2:SCRATCH_EN: 0
; COMPUTE_PGM_RSRC2:USER_SGPR: 2
; COMPUTE_PGM_RSRC2:TRAP_HANDLER: 0
; COMPUTE_PGM_RSRC2:TGID_X_EN: 1
; COMPUTE_PGM_RSRC2:TGID_Y_EN: 0
; COMPUTE_PGM_RSRC2:TGID_Z_EN: 0
; COMPUTE_PGM_RSRC2:TIDIG_COMP_CNT: 0
	.section	.text._ZN9rocsparseL44csr2gebsr_wavefront_per_row_multipass_kernelILi128ELi8ELi64ELi32EdEEv20rocsparse_direction_iiiiii21rocsparse_index_base_PKT3_PKiS7_S2_PS3_PiS9_,"axG",@progbits,_ZN9rocsparseL44csr2gebsr_wavefront_per_row_multipass_kernelILi128ELi8ELi64ELi32EdEEv20rocsparse_direction_iiiiii21rocsparse_index_base_PKT3_PKiS7_S2_PS3_PiS9_,comdat
	.globl	_ZN9rocsparseL44csr2gebsr_wavefront_per_row_multipass_kernelILi128ELi8ELi64ELi32EdEEv20rocsparse_direction_iiiiii21rocsparse_index_base_PKT3_PKiS7_S2_PS3_PiS9_ ; -- Begin function _ZN9rocsparseL44csr2gebsr_wavefront_per_row_multipass_kernelILi128ELi8ELi64ELi32EdEEv20rocsparse_direction_iiiiii21rocsparse_index_base_PKT3_PKiS7_S2_PS3_PiS9_
	.p2align	8
	.type	_ZN9rocsparseL44csr2gebsr_wavefront_per_row_multipass_kernelILi128ELi8ELi64ELi32EdEEv20rocsparse_direction_iiiiii21rocsparse_index_base_PKT3_PKiS7_S2_PS3_PiS9_,@function
_ZN9rocsparseL44csr2gebsr_wavefront_per_row_multipass_kernelILi128ELi8ELi64ELi32EdEEv20rocsparse_direction_iiiiii21rocsparse_index_base_PKT3_PKiS7_S2_PS3_PiS9_: ; @_ZN9rocsparseL44csr2gebsr_wavefront_per_row_multipass_kernelILi128ELi8ELi64ELi32EdEEv20rocsparse_direction_iiiiii21rocsparse_index_base_PKT3_PKiS7_S2_PS3_PiS9_
; %bb.0:
	s_clause 0x1
	s_load_b128 s[16:19], s[0:1], 0xc
	s_load_b64 s[4:5], s[0:1], 0x0
	s_bfe_u32 s2, ttmp6, 0x4000c
	s_and_b32 s3, ttmp6, 15
	s_add_co_i32 s2, s2, 1
	s_getreg_b32 s6, hwreg(HW_REG_IB_STS2, 6, 4)
	s_mul_i32 s2, ttmp9, s2
	v_dual_lshrrev_b32 v46, 5, v0 :: v_dual_mov_b32 v2, 0
	s_add_co_i32 s3, s3, s2
	s_cmp_eq_u32 s6, 0
	v_bfe_u32 v1, v0, 2, 3
	s_cselect_b32 s2, ttmp9, s3
	s_clause 0x1
	s_load_b32 s33, s[0:1], 0x1c
	s_load_b64 s[6:7], s[0:1], 0x28
	v_lshl_or_b32 v3, s2, 2, v46
	v_mov_b32_e32 v55, 0
	s_wait_kmcnt 0x0
	s_delay_alu instid0(VALU_DEP_2) | instskip(SKIP_1) | instid1(VALU_DEP_2)
	v_mad_u32 v4, v3, s18, v1
	v_cmp_gt_i32_e32 vcc_lo, s18, v1
	v_cmp_gt_i32_e64 s2, s5, v4
	s_and_b32 s2, vcc_lo, s2
	s_delay_alu instid0(SALU_CYCLE_1)
	s_and_saveexec_b32 s3, s2
	s_cbranch_execz .LBB98_2
; %bb.1:
	global_load_b32 v5, v4, s[6:7] scale_offset
	s_wait_loadcnt 0x0
	v_subrev_nc_u32_e32 v55, s33, v5
.LBB98_2:
	s_or_b32 exec_lo, exec_lo, s3
	v_mov_b32_e32 v47, 0
	s_and_saveexec_b32 s3, s2
	s_cbranch_execz .LBB98_4
; %bb.3:
	global_load_b32 v4, v4, s[6:7] offset:4 scale_offset
	s_wait_loadcnt 0x0
	v_subrev_nc_u32_e32 v47, s33, v4
.LBB98_4:
	s_or_b32 exec_lo, exec_lo, s3
	s_load_b32 s34, s[0:1], 0x38
	s_mov_b32 s3, exec_lo
	v_cmpx_gt_i32_e64 s16, v3
	s_cbranch_execz .LBB98_6
; %bb.5:
	s_load_b64 s[6:7], s[0:1], 0x48
	s_wait_kmcnt 0x0
	global_load_b32 v2, v3, s[6:7] scale_offset
	s_wait_loadcnt 0x0
	v_subrev_nc_u32_e32 v2, s34, v2
.LBB98_6:
	s_or_b32 exec_lo, exec_lo, s3
	s_cmp_lt_i32 s17, 1
	s_cbranch_scc1 .LBB98_101
; %bb.7:
	v_mbcnt_lo_u32_b32 v3, -1, 0
	s_clause 0x3
	s_load_b64 s[20:21], s[0:1], 0x50
	s_load_b64 s[2:3], s[0:1], 0x40
	;; [unrolled: 1-line block ×4, first 2 shown]
	v_and_b32_e32 v48, 3, v0
	v_mul_lo_u32 v8, s19, v1
	s_cmp_lg_u32 s4, 0
	v_dual_lshlrev_b32 v0, 9, v1 :: v_dual_bitop2_b32 v4, 2, v3 bitop3:0x14
	s_mov_b32 s27, 0
	s_cselect_b32 s16, -1, 0
	s_mov_b32 s26, s18
	s_wait_xcnt 0x0
	v_cmp_gt_i32_e64 s0, 32, v4
	v_xor_b32_e32 v5, 1, v3
	v_lshl_or_b32 v49, v46, 12, v0
	s_ashr_i32 s29, s19, 31
	s_mov_b32 s28, s19
	v_cndmask_b32_e64 v4, v3, v4, s0
	v_cmp_gt_i32_e64 s0, 32, v5
	s_mul_u64 s[30:31], s[28:29], s[26:27]
	s_lshl_b32 s26, s18, 2
	v_lshl_or_b32 v52, v3, 2, 12
	v_lshlrev_b32_e32 v0, 3, v1
	v_dual_cndmask_b32 v5, v3, v5, s0 :: v_dual_lshlrev_b32 v12, 3, v48
	v_dual_mov_b32 v1, 0 :: v_dual_ashrrev_i32 v9, 31, v8
	s_delay_alu instid0(VALU_DEP_2) | instskip(SKIP_2) | instid1(VALU_DEP_3)
	v_dual_lshlrev_b32 v50, 2, v4 :: v_dual_lshlrev_b32 v51, 2, v5
	v_mul_lo_u32 v4, v48, s18
	s_wait_kmcnt 0x0
	v_add_nc_u64_e32 v[6:7], s[2:3], v[0:1]
	v_dual_mov_b32 v13, v1 :: v_dual_bitop2_b32 v0, 16, v3 bitop3:0x14
	v_xor_b32_e32 v5, 8, v3
	v_lshl_add_u64 v[14:15], v[8:9], 3, s[2:3]
	v_mov_b32_e32 v21, v1
	s_abs_i32 s18, s19
	v_cmp_gt_i32_e64 s0, 32, v0
	v_xor_b32_e32 v9, 4, v3
	s_cvt_f32_u32 s28, s18
	v_dual_mov_b32 v25, v1 :: v_dual_add_nc_u32 v8, s26, v4
	v_cndmask_b32_e64 v0, v3, v0, s0
	v_cmp_gt_i32_e64 s0, 32, v5
	v_or_b32_e32 v53, v49, v12
	v_add_nc_u64_e32 v[12:13], v[14:15], v[12:13]
	v_dual_mov_b32 v15, v1 :: v_dual_mov_b32 v39, v1
	s_delay_alu instid0(VALU_DEP_4) | instskip(SKIP_4) | instid1(VALU_DEP_2)
	v_dual_mov_b32 v59, 0 :: v_dual_cndmask_b32 v5, v3, v5, s0
	v_cmp_gt_i32_e64 s0, 32, v9
	v_dual_mov_b32 v11, v1 :: v_dual_add_nc_u32 v10, s26, v8
	s_mov_b32 s35, s27
	v_dual_mov_b32 v19, v1 :: v_dual_cndmask_b32 v3, v3, v9, s0
	v_dual_lshlrev_b32 v54, 2, v0 :: v_dual_add_nc_u32 v14, s26, v10
	v_dual_lshlrev_b32 v56, 2, v5 :: v_dual_bitop2_b32 v0, 4, v48 bitop3:0x54
	s_delay_alu instid0(VALU_DEP_3) | instskip(NEXT) | instid1(VALU_DEP_3)
	v_dual_lshlrev_b32 v57, 2, v3 :: v_dual_mov_b32 v5, v1
	v_dual_add_nc_u32 v16, s26, v14 :: v_dual_bitop2_b32 v3, 8, v48 bitop3:0x54
	v_mov_b32_e32 v9, v1
	s_delay_alu instid0(VALU_DEP_4) | instskip(SKIP_1) | instid1(VALU_DEP_4)
	v_cmp_gt_u32_e64 s1, s19, v0
	v_or_b32_e32 v0, 12, v48
	v_cmp_gt_u32_e64 s2, s19, v3
	v_add_nc_u32_e32 v18, s26, v16
	v_dual_mov_b32 v17, v1 :: v_dual_bitop2_b32 v3, 16, v48 bitop3:0x54
	s_delay_alu instid0(VALU_DEP_4) | instskip(NEXT) | instid1(VALU_DEP_3)
	v_cmp_gt_u32_e64 s3, s19, v0
	v_dual_add_nc_u32 v20, s26, v18 :: v_dual_bitop2_b32 v0, 20, v48 bitop3:0x54
	s_delay_alu instid0(VALU_DEP_3) | instskip(SKIP_2) | instid1(VALU_DEP_4)
	v_cmp_gt_u32_e64 s4, s19, v3
	v_or_b32_e32 v3, 24, v48
	v_cmp_gt_u32_e64 s0, s19, v48
	v_cmp_gt_u32_e64 s5, s19, v0
	v_add_nc_u32_e32 v22, s26, v20
	v_dual_mov_b32 v23, v1 :: v_dual_bitop2_b32 v0, 28, v48 bitop3:0x54
	v_cmp_gt_u32_e64 s6, s19, v3
	s_delay_alu instid0(VALU_DEP_3) | instskip(NEXT) | instid1(VALU_DEP_3)
	v_dual_mov_b32 v29, v1 :: v_dual_add_nc_u32 v24, s26, v22
	v_cmp_gt_u32_e64 s7, s19, v0
	v_or_b32_e32 v3, 32, v48
	s_and_b32 s1, vcc_lo, s1
	v_dual_mov_b32 v31, v1 :: v_dual_add_nc_u32 v26, s26, v24
	v_or_b32_e32 v0, 36, v48
	s_delay_alu instid0(VALU_DEP_3) | instskip(SKIP_1) | instid1(VALU_DEP_4)
	v_cmp_gt_u32_e64 s8, s19, v3
	v_dual_mov_b32 v35, v1 :: v_dual_bitop2_b32 v3, 40, v48 bitop3:0x54
	v_add_nc_u32_e32 v28, s26, v26
	s_delay_alu instid0(VALU_DEP_4) | instskip(SKIP_1) | instid1(VALU_DEP_4)
	v_cmp_gt_u32_e64 s9, s19, v0
	v_dual_mov_b32 v27, v1 :: v_dual_bitop2_b32 v0, 44, v48 bitop3:0x54
	v_cmp_gt_u32_e64 s10, s19, v3
	s_delay_alu instid0(VALU_DEP_4) | instskip(SKIP_1) | instid1(VALU_DEP_4)
	v_add_nc_u32_e32 v30, s26, v28
	v_or_b32_e32 v3, 48, v48
	v_cmp_gt_u32_e64 s11, s19, v0
	v_dual_mov_b32 v33, v1 :: v_dual_bitop2_b32 v0, 52, v48 bitop3:0x54
	s_delay_alu instid0(VALU_DEP_4) | instskip(NEXT) | instid1(VALU_DEP_4)
	v_add_nc_u32_e32 v32, s26, v30
	v_cmp_gt_u32_e64 s12, s19, v3
	v_or_b32_e32 v3, 60, v48
	s_delay_alu instid0(VALU_DEP_4)
	v_cmp_gt_u32_e64 s13, s19, v0
	v_or_b32_e32 v0, 56, v48
	v_add_nc_u32_e32 v34, s26, v32
	s_and_b32 s2, vcc_lo, s2
	v_cmp_gt_u32_e64 s15, s19, v3
	s_and_b32 s3, vcc_lo, s3
	v_cmp_gt_u32_e64 s14, s19, v0
	v_rcp_iflag_f32_e32 v0, s28
	s_and_b32 s28, s0, vcc_lo
	v_dual_mov_b32 v37, v1 :: v_dual_add_nc_u32 v36, s26, v34
	s_and_b32 s4, vcc_lo, s4
	s_and_b32 s5, vcc_lo, s5
	;; [unrolled: 1-line block ×3, first 2 shown]
	s_delay_alu instid0(TRANS32_DEP_1)
	v_readfirstlane_b32 s0, v0
	v_add_nc_u32_e32 v38, s26, v36
	s_sub_co_i32 s26, 0, s18
	s_and_b32 s7, vcc_lo, s7
	s_and_b32 s8, vcc_lo, s8
	s_mul_f32 s0, s0, 0x4f7ffffe
	s_and_b32 s9, vcc_lo, s9
	s_and_b32 s10, vcc_lo, s10
	s_and_b32 s11, vcc_lo, s11
	s_cvt_u32_f32 s0, s0
	s_and_b32 s12, vcc_lo, s12
	s_and_b32 s13, vcc_lo, s13
	;; [unrolled: 1-line block ×3, first 2 shown]
	s_mul_i32 s26, s26, s0
	s_and_b32 s15, vcc_lo, s15
	s_mul_hi_u32 s26, s0, s26
	s_delay_alu instid0(SALU_CYCLE_1)
	s_add_co_i32 s26, s0, s26
	s_branch .LBB98_10
.LBB98_8:                               ;   in Loop: Header=BB98_10 Depth=1
	s_wait_xcnt 0x0
	s_or_b32 exec_lo, exec_lo, s36
	v_mov_b32_e32 v0, 1
.LBB98_9:                               ;   in Loop: Header=BB98_10 Depth=1
	s_or_b32 exec_lo, exec_lo, s0
	ds_bpermute_b32 v3, v54, v58
	v_add_nc_u32_e32 v2, v0, v2
	s_wait_storecnt_dscnt 0x0
	v_min_i32_e32 v3, v3, v58
	ds_bpermute_b32 v40, v56, v3
	s_wait_dscnt 0x0
	v_min_i32_e32 v3, v40, v3
	ds_bpermute_b32 v40, v57, v3
	s_wait_dscnt 0x0
	;; [unrolled: 3-line block ×4, first 2 shown]
	v_dual_mov_b32 v40, 0x7c :: v_dual_min_i32 v3, v40, v3
	ds_bpermute_b32 v59, v40, v3
	s_wait_dscnt 0x0
	v_cmp_le_i32_e32 vcc_lo, s17, v59
	s_or_b32 s35, vcc_lo, s35
	s_delay_alu instid0(SALU_CYCLE_1)
	s_and_not1_b32 exec_lo, exec_lo, s35
	s_cbranch_execz .LBB98_101
.LBB98_10:                              ; =>This Loop Header: Depth=1
                                        ;     Child Loop BB98_11 Depth 2
                                        ;     Child Loop BB98_15 Depth 2
	v_dual_mov_b32 v0, v53 :: v_dual_bitop2_b32 v3, -4, v48 bitop3:0x54
	s_mov_b32 s0, 0
	ds_store_b8 v46, v1 offset:16384
.LBB98_11:                              ;   Parent Loop BB98_10 Depth=1
                                        ; =>  This Inner Loop Header: Depth=2
	v_mov_b64_e32 v[40:41], 0
	v_add_nc_u32_e32 v3, 4, v3
	ds_store_b64 v0, v[40:41]
	v_add_nc_u32_e32 v0, 32, v0
	v_cmp_lt_u32_e32 vcc_lo, 59, v3
	s_or_b32 s0, vcc_lo, s0
	s_delay_alu instid0(SALU_CYCLE_1)
	s_and_not1_b32 exec_lo, exec_lo, s0
	s_cbranch_execnz .LBB98_11
; %bb.12:                               ;   in Loop: Header=BB98_10 Depth=1
	s_or_b32 exec_lo, exec_lo, s0
	v_dual_add_nc_u32 v40, v55, v48 :: v_dual_mov_b32 v58, s17
	v_mov_b32_e32 v3, v47
	s_mov_b32 s36, exec_lo
	s_wait_dscnt 0x0
	s_delay_alu instid0(VALU_DEP_2)
	v_cmpx_lt_i32_e64 v40, v47
	s_cbranch_execz .LBB98_20
; %bb.13:                               ;   in Loop: Header=BB98_10 Depth=1
	v_dual_mov_b32 v58, s17 :: v_dual_ashrrev_i32 v41, 31, v40
	v_mov_b32_e32 v3, v47
	s_mov_b32 s37, 0
	s_delay_alu instid0(VALU_DEP_2)
	v_lshl_add_u64 v[42:43], v[40:41], 2, s[24:25]
	v_lshl_add_u64 v[44:45], v[40:41], 3, s[22:23]
	s_branch .LBB98_15
.LBB98_14:                              ;   in Loop: Header=BB98_15 Depth=2
	s_wait_xcnt 0x0
	s_or_b32 exec_lo, exec_lo, s0
	v_add_nc_u32_e32 v40, 4, v40
	s_xor_b32 s38, vcc_lo, -1
	v_add_nc_u64_e32 v[42:43], 16, v[42:43]
	v_add_nc_u64_e32 v[44:45], 32, v[44:45]
	s_delay_alu instid0(VALU_DEP_3) | instskip(SKIP_1) | instid1(SALU_CYCLE_1)
	v_cmp_ge_i32_e64 s0, v40, v47
	s_or_b32 s0, s38, s0
	s_and_b32 s0, exec_lo, s0
	s_delay_alu instid0(SALU_CYCLE_1) | instskip(NEXT) | instid1(SALU_CYCLE_1)
	s_or_b32 s37, s0, s37
	s_and_not1_b32 exec_lo, exec_lo, s37
	s_cbranch_execz .LBB98_19
.LBB98_15:                              ;   Parent Loop BB98_10 Depth=1
                                        ; =>  This Inner Loop Header: Depth=2
	global_load_b32 v0, v[42:43], off
	s_wait_loadcnt 0x0
	v_subrev_nc_u32_e32 v41, s33, v0
	s_delay_alu instid0(VALU_DEP_1) | instskip(NEXT) | instid1(VALU_DEP_1)
	v_sub_nc_u32_e32 v0, 0, v41
	v_max_i32_e32 v0, v41, v0
	s_delay_alu instid0(VALU_DEP_1) | instskip(NEXT) | instid1(VALU_DEP_1)
	v_mul_u64_e32 v[60:61], s[26:27], v[0:1]
	v_mul_lo_u32 v55, v61, s18
	s_delay_alu instid0(VALU_DEP_1) | instskip(NEXT) | instid1(VALU_DEP_1)
	v_dual_sub_nc_u32 v0, v0, v55 :: v_dual_add_nc_u32 v55, 1, v61
	v_cmp_le_u32_e32 vcc_lo, s18, v0
	s_delay_alu instid0(VALU_DEP_2) | instskip(SKIP_1) | instid1(VALU_DEP_1)
	v_dual_cndmask_b32 v55, v61, v55, vcc_lo :: v_dual_ashrrev_i32 v61, 31, v41
	v_subrev_nc_u32_e32 v60, s18, v0
	v_dual_cndmask_b32 v0, v0, v60, vcc_lo :: v_dual_add_nc_u32 v60, 1, v55
	s_delay_alu instid0(VALU_DEP_1) | instskip(NEXT) | instid1(VALU_DEP_2)
	v_cmp_le_u32_e32 vcc_lo, s18, v0
	v_dual_cndmask_b32 v0, v55, v60, vcc_lo :: v_dual_bitop2_b32 v61, s29, v61 bitop3:0x14
	s_delay_alu instid0(VALU_DEP_1) | instskip(NEXT) | instid1(VALU_DEP_1)
	v_xor_b32_e32 v0, v0, v61
	v_dual_mov_b32 v0, v3 :: v_dual_sub_nc_u32 v55, v0, v61
	s_delay_alu instid0(VALU_DEP_1) | instskip(SKIP_3) | instid1(SALU_CYCLE_1)
	v_cmp_ne_u32_e64 s0, v55, v59
	v_cmp_eq_u32_e32 vcc_lo, v55, v59
	s_wait_xcnt 0x0
	s_and_saveexec_b32 s38, s0
	s_xor_b32 s0, exec_lo, s38
; %bb.16:                               ;   in Loop: Header=BB98_15 Depth=2
	v_min_i32_e32 v58, v55, v58
                                        ; implicit-def: $vgpr41
                                        ; implicit-def: $vgpr0
; %bb.17:                               ;   in Loop: Header=BB98_15 Depth=2
	s_or_saveexec_b32 s0, s0
	v_mov_b32_e32 v3, v40
	s_xor_b32 exec_lo, exec_lo, s0
	s_cbranch_execz .LBB98_14
; %bb.18:                               ;   in Loop: Header=BB98_15 Depth=2
	global_load_b64 v[60:61], v[44:45], off
	v_mul_lo_u32 v3, v59, s19
	s_delay_alu instid0(VALU_DEP_1) | instskip(NEXT) | instid1(VALU_DEP_1)
	v_dual_sub_nc_u32 v3, v41, v3 :: v_dual_mov_b32 v41, 1
	v_lshl_add_u32 v55, v3, 3, v49
	v_mov_b32_e32 v3, v0
	ds_store_b8 v46, v41 offset:16384
	s_wait_loadcnt 0x0
	ds_store_b64 v55, v[60:61]
	s_branch .LBB98_14
.LBB98_19:                              ;   in Loop: Header=BB98_10 Depth=1
	s_or_b32 exec_lo, exec_lo, s37
.LBB98_20:                              ;   in Loop: Header=BB98_10 Depth=1
	s_delay_alu instid0(SALU_CYCLE_1)
	s_or_b32 exec_lo, exec_lo, s36
	ds_bpermute_b32 v0, v50, v3
	s_wait_dscnt 0x0
	ds_load_u8 v40, v46 offset:16384
	v_min_i32_e32 v0, v0, v3
	ds_bpermute_b32 v3, v51, v0
	s_wait_dscnt 0x0
	v_min_i32_e32 v0, v3, v0
	ds_bpermute_b32 v55, v52, v0
	v_and_b32_e32 v0, 1, v40
	s_delay_alu instid0(VALU_DEP_1)
	v_cmp_eq_u32_e32 vcc_lo, 1, v0
	v_mov_b32_e32 v0, 0
	s_and_saveexec_b32 s0, vcc_lo
	s_cbranch_execz .LBB98_9
; %bb.21:                               ;   in Loop: Header=BB98_10 Depth=1
	v_dual_ashrrev_i32 v3, 31, v2 :: v_dual_add_nc_u32 v0, s34, v59
	s_delay_alu instid0(VALU_DEP_1) | instskip(SKIP_2) | instid1(VALU_DEP_1)
	v_mul_u64_e32 v[40:41], s[30:31], v[2:3]
	global_store_b32 v2, v0, s[20:21] scale_offset
	v_lshlrev_b64_e32 v[40:41], 3, v[40:41]
	v_add_nc_u64_e32 v[42:43], v[6:7], v[40:41]
	v_add_nc_u64_e32 v[40:41], v[12:13], v[40:41]
	s_wait_xcnt 0x0
	s_and_saveexec_b32 s36, s28
	s_cbranch_execz .LBB98_25
; %bb.22:                               ;   in Loop: Header=BB98_10 Depth=1
	ds_load_b64 v[44:45], v53
	s_and_b32 vcc_lo, exec_lo, s16
	s_cbranch_vccz .LBB98_84
; %bb.23:                               ;   in Loop: Header=BB98_10 Depth=1
	v_lshl_add_u64 v[60:61], v[4:5], 3, v[42:43]
	s_wait_dscnt 0x0
	global_store_b64 v[60:61], v[44:45], off
	s_cbranch_execnz .LBB98_25
.LBB98_24:                              ;   in Loop: Header=BB98_10 Depth=1
	s_wait_dscnt 0x0
	global_store_b64 v[40:41], v[44:45], off
.LBB98_25:                              ;   in Loop: Header=BB98_10 Depth=1
	s_wait_xcnt 0x0
	s_or_b32 exec_lo, exec_lo, s36
	s_and_saveexec_b32 s36, s1
	s_cbranch_execz .LBB98_29
; %bb.26:                               ;   in Loop: Header=BB98_10 Depth=1
	s_and_not1_b32 vcc_lo, exec_lo, s16
	s_cbranch_vccnz .LBB98_85
; %bb.27:                               ;   in Loop: Header=BB98_10 Depth=1
	s_wait_dscnt 0x0
	ds_load_b64 v[44:45], v53 offset:32
	v_lshl_add_u64 v[60:61], v[8:9], 3, v[42:43]
	s_wait_dscnt 0x0
	global_store_b64 v[60:61], v[44:45], off
	s_cbranch_execnz .LBB98_29
.LBB98_28:                              ;   in Loop: Header=BB98_10 Depth=1
	s_wait_dscnt 0x0
	s_wait_xcnt 0x0
	ds_load_b64 v[44:45], v53 offset:32
	s_wait_dscnt 0x0
	global_store_b64 v[40:41], v[44:45], off offset:32
.LBB98_29:                              ;   in Loop: Header=BB98_10 Depth=1
	s_wait_xcnt 0x0
	s_or_b32 exec_lo, exec_lo, s36
	s_and_saveexec_b32 s36, s2
	s_cbranch_execz .LBB98_33
; %bb.30:                               ;   in Loop: Header=BB98_10 Depth=1
	s_and_not1_b32 vcc_lo, exec_lo, s16
	s_cbranch_vccnz .LBB98_86
; %bb.31:                               ;   in Loop: Header=BB98_10 Depth=1
	s_wait_dscnt 0x0
	ds_load_b64 v[44:45], v53 offset:64
	v_lshl_add_u64 v[60:61], v[10:11], 3, v[42:43]
	s_wait_dscnt 0x0
	global_store_b64 v[60:61], v[44:45], off
	s_cbranch_execnz .LBB98_33
.LBB98_32:                              ;   in Loop: Header=BB98_10 Depth=1
	s_wait_dscnt 0x0
	s_wait_xcnt 0x0
	ds_load_b64 v[44:45], v53 offset:64
	s_wait_dscnt 0x0
	global_store_b64 v[40:41], v[44:45], off offset:64
.LBB98_33:                              ;   in Loop: Header=BB98_10 Depth=1
	s_wait_xcnt 0x0
	s_or_b32 exec_lo, exec_lo, s36
	s_and_saveexec_b32 s36, s3
	s_cbranch_execz .LBB98_37
; %bb.34:                               ;   in Loop: Header=BB98_10 Depth=1
	s_and_not1_b32 vcc_lo, exec_lo, s16
	s_cbranch_vccnz .LBB98_87
; %bb.35:                               ;   in Loop: Header=BB98_10 Depth=1
	s_wait_dscnt 0x0
	ds_load_b64 v[44:45], v53 offset:96
	v_lshl_add_u64 v[60:61], v[14:15], 3, v[42:43]
	s_wait_dscnt 0x0
	global_store_b64 v[60:61], v[44:45], off
	s_cbranch_execnz .LBB98_37
.LBB98_36:                              ;   in Loop: Header=BB98_10 Depth=1
	s_wait_dscnt 0x0
	s_wait_xcnt 0x0
	ds_load_b64 v[44:45], v53 offset:96
	s_wait_dscnt 0x0
	global_store_b64 v[40:41], v[44:45], off offset:96
.LBB98_37:                              ;   in Loop: Header=BB98_10 Depth=1
	s_wait_xcnt 0x0
	s_or_b32 exec_lo, exec_lo, s36
	s_and_saveexec_b32 s36, s4
	s_cbranch_execz .LBB98_41
; %bb.38:                               ;   in Loop: Header=BB98_10 Depth=1
	s_and_not1_b32 vcc_lo, exec_lo, s16
	s_cbranch_vccnz .LBB98_88
; %bb.39:                               ;   in Loop: Header=BB98_10 Depth=1
	s_wait_dscnt 0x0
	ds_load_b64 v[44:45], v53 offset:128
	v_lshl_add_u64 v[60:61], v[16:17], 3, v[42:43]
	s_wait_dscnt 0x0
	global_store_b64 v[60:61], v[44:45], off
	s_cbranch_execnz .LBB98_41
.LBB98_40:                              ;   in Loop: Header=BB98_10 Depth=1
	s_wait_dscnt 0x0
	s_wait_xcnt 0x0
	ds_load_b64 v[44:45], v53 offset:128
	s_wait_dscnt 0x0
	global_store_b64 v[40:41], v[44:45], off offset:128
.LBB98_41:                              ;   in Loop: Header=BB98_10 Depth=1
	s_wait_xcnt 0x0
	s_or_b32 exec_lo, exec_lo, s36
	s_and_saveexec_b32 s36, s5
	s_cbranch_execz .LBB98_45
; %bb.42:                               ;   in Loop: Header=BB98_10 Depth=1
	s_and_not1_b32 vcc_lo, exec_lo, s16
	s_cbranch_vccnz .LBB98_89
; %bb.43:                               ;   in Loop: Header=BB98_10 Depth=1
	s_wait_dscnt 0x0
	ds_load_b64 v[44:45], v53 offset:160
	v_lshl_add_u64 v[60:61], v[18:19], 3, v[42:43]
	s_wait_dscnt 0x0
	global_store_b64 v[60:61], v[44:45], off
	s_cbranch_execnz .LBB98_45
.LBB98_44:                              ;   in Loop: Header=BB98_10 Depth=1
	s_wait_dscnt 0x0
	s_wait_xcnt 0x0
	ds_load_b64 v[44:45], v53 offset:160
	s_wait_dscnt 0x0
	global_store_b64 v[40:41], v[44:45], off offset:160
.LBB98_45:                              ;   in Loop: Header=BB98_10 Depth=1
	s_wait_xcnt 0x0
	s_or_b32 exec_lo, exec_lo, s36
	s_and_saveexec_b32 s36, s6
	s_cbranch_execz .LBB98_49
; %bb.46:                               ;   in Loop: Header=BB98_10 Depth=1
	s_and_not1_b32 vcc_lo, exec_lo, s16
	s_cbranch_vccnz .LBB98_90
; %bb.47:                               ;   in Loop: Header=BB98_10 Depth=1
	s_wait_dscnt 0x0
	ds_load_b64 v[44:45], v53 offset:192
	v_lshl_add_u64 v[60:61], v[20:21], 3, v[42:43]
	s_wait_dscnt 0x0
	global_store_b64 v[60:61], v[44:45], off
	s_cbranch_execnz .LBB98_49
.LBB98_48:                              ;   in Loop: Header=BB98_10 Depth=1
	s_wait_dscnt 0x0
	s_wait_xcnt 0x0
	ds_load_b64 v[44:45], v53 offset:192
	s_wait_dscnt 0x0
	global_store_b64 v[40:41], v[44:45], off offset:192
.LBB98_49:                              ;   in Loop: Header=BB98_10 Depth=1
	s_wait_xcnt 0x0
	s_or_b32 exec_lo, exec_lo, s36
	s_and_saveexec_b32 s36, s7
	s_cbranch_execz .LBB98_53
; %bb.50:                               ;   in Loop: Header=BB98_10 Depth=1
	s_and_not1_b32 vcc_lo, exec_lo, s16
	s_cbranch_vccnz .LBB98_91
; %bb.51:                               ;   in Loop: Header=BB98_10 Depth=1
	s_wait_dscnt 0x0
	ds_load_b64 v[44:45], v53 offset:224
	v_lshl_add_u64 v[60:61], v[22:23], 3, v[42:43]
	s_wait_dscnt 0x0
	global_store_b64 v[60:61], v[44:45], off
	s_cbranch_execnz .LBB98_53
.LBB98_52:                              ;   in Loop: Header=BB98_10 Depth=1
	s_wait_dscnt 0x0
	s_wait_xcnt 0x0
	ds_load_b64 v[44:45], v53 offset:224
	s_wait_dscnt 0x0
	global_store_b64 v[40:41], v[44:45], off offset:224
.LBB98_53:                              ;   in Loop: Header=BB98_10 Depth=1
	s_wait_xcnt 0x0
	s_or_b32 exec_lo, exec_lo, s36
	s_and_saveexec_b32 s36, s8
	s_cbranch_execz .LBB98_57
; %bb.54:                               ;   in Loop: Header=BB98_10 Depth=1
	s_and_not1_b32 vcc_lo, exec_lo, s16
	s_cbranch_vccnz .LBB98_92
; %bb.55:                               ;   in Loop: Header=BB98_10 Depth=1
	s_wait_dscnt 0x0
	ds_load_b64 v[44:45], v53 offset:256
	v_lshl_add_u64 v[60:61], v[24:25], 3, v[42:43]
	s_wait_dscnt 0x0
	global_store_b64 v[60:61], v[44:45], off
	s_cbranch_execnz .LBB98_57
.LBB98_56:                              ;   in Loop: Header=BB98_10 Depth=1
	s_wait_dscnt 0x0
	s_wait_xcnt 0x0
	ds_load_b64 v[44:45], v53 offset:256
	s_wait_dscnt 0x0
	global_store_b64 v[40:41], v[44:45], off offset:256
.LBB98_57:                              ;   in Loop: Header=BB98_10 Depth=1
	s_wait_xcnt 0x0
	s_or_b32 exec_lo, exec_lo, s36
	s_and_saveexec_b32 s36, s9
	s_cbranch_execz .LBB98_61
; %bb.58:                               ;   in Loop: Header=BB98_10 Depth=1
	s_and_not1_b32 vcc_lo, exec_lo, s16
	s_cbranch_vccnz .LBB98_93
; %bb.59:                               ;   in Loop: Header=BB98_10 Depth=1
	s_wait_dscnt 0x0
	ds_load_b64 v[44:45], v53 offset:288
	v_lshl_add_u64 v[60:61], v[26:27], 3, v[42:43]
	s_wait_dscnt 0x0
	global_store_b64 v[60:61], v[44:45], off
	s_cbranch_execnz .LBB98_61
.LBB98_60:                              ;   in Loop: Header=BB98_10 Depth=1
	s_wait_dscnt 0x0
	s_wait_xcnt 0x0
	ds_load_b64 v[44:45], v53 offset:288
	s_wait_dscnt 0x0
	global_store_b64 v[40:41], v[44:45], off offset:288
.LBB98_61:                              ;   in Loop: Header=BB98_10 Depth=1
	s_wait_xcnt 0x0
	s_or_b32 exec_lo, exec_lo, s36
	s_and_saveexec_b32 s36, s10
	s_cbranch_execz .LBB98_65
; %bb.62:                               ;   in Loop: Header=BB98_10 Depth=1
	s_and_not1_b32 vcc_lo, exec_lo, s16
	s_cbranch_vccnz .LBB98_94
; %bb.63:                               ;   in Loop: Header=BB98_10 Depth=1
	s_wait_dscnt 0x0
	ds_load_b64 v[44:45], v53 offset:320
	v_lshl_add_u64 v[60:61], v[28:29], 3, v[42:43]
	s_wait_dscnt 0x0
	global_store_b64 v[60:61], v[44:45], off
	s_cbranch_execnz .LBB98_65
.LBB98_64:                              ;   in Loop: Header=BB98_10 Depth=1
	s_wait_dscnt 0x0
	s_wait_xcnt 0x0
	ds_load_b64 v[44:45], v53 offset:320
	s_wait_dscnt 0x0
	global_store_b64 v[40:41], v[44:45], off offset:320
.LBB98_65:                              ;   in Loop: Header=BB98_10 Depth=1
	s_wait_xcnt 0x0
	s_or_b32 exec_lo, exec_lo, s36
	s_and_saveexec_b32 s36, s11
	s_cbranch_execz .LBB98_69
; %bb.66:                               ;   in Loop: Header=BB98_10 Depth=1
	s_and_not1_b32 vcc_lo, exec_lo, s16
	s_cbranch_vccnz .LBB98_95
; %bb.67:                               ;   in Loop: Header=BB98_10 Depth=1
	s_wait_dscnt 0x0
	ds_load_b64 v[44:45], v53 offset:352
	v_lshl_add_u64 v[60:61], v[30:31], 3, v[42:43]
	s_wait_dscnt 0x0
	global_store_b64 v[60:61], v[44:45], off
	s_cbranch_execnz .LBB98_69
.LBB98_68:                              ;   in Loop: Header=BB98_10 Depth=1
	s_wait_dscnt 0x0
	s_wait_xcnt 0x0
	ds_load_b64 v[44:45], v53 offset:352
	s_wait_dscnt 0x0
	global_store_b64 v[40:41], v[44:45], off offset:352
.LBB98_69:                              ;   in Loop: Header=BB98_10 Depth=1
	s_wait_xcnt 0x0
	s_or_b32 exec_lo, exec_lo, s36
	s_and_saveexec_b32 s36, s12
	s_cbranch_execz .LBB98_73
; %bb.70:                               ;   in Loop: Header=BB98_10 Depth=1
	s_and_not1_b32 vcc_lo, exec_lo, s16
	s_cbranch_vccnz .LBB98_96
; %bb.71:                               ;   in Loop: Header=BB98_10 Depth=1
	s_wait_dscnt 0x0
	ds_load_b64 v[44:45], v53 offset:384
	v_lshl_add_u64 v[60:61], v[32:33], 3, v[42:43]
	s_wait_dscnt 0x0
	global_store_b64 v[60:61], v[44:45], off
	s_cbranch_execnz .LBB98_73
.LBB98_72:                              ;   in Loop: Header=BB98_10 Depth=1
	s_wait_dscnt 0x0
	s_wait_xcnt 0x0
	ds_load_b64 v[44:45], v53 offset:384
	s_wait_dscnt 0x0
	global_store_b64 v[40:41], v[44:45], off offset:384
.LBB98_73:                              ;   in Loop: Header=BB98_10 Depth=1
	s_wait_xcnt 0x0
	s_or_b32 exec_lo, exec_lo, s36
	s_and_saveexec_b32 s36, s13
	s_cbranch_execz .LBB98_77
; %bb.74:                               ;   in Loop: Header=BB98_10 Depth=1
	s_and_not1_b32 vcc_lo, exec_lo, s16
	s_cbranch_vccnz .LBB98_97
; %bb.75:                               ;   in Loop: Header=BB98_10 Depth=1
	s_wait_dscnt 0x0
	ds_load_b64 v[44:45], v53 offset:416
	v_lshl_add_u64 v[60:61], v[34:35], 3, v[42:43]
	s_wait_dscnt 0x0
	global_store_b64 v[60:61], v[44:45], off
	s_cbranch_execnz .LBB98_77
.LBB98_76:                              ;   in Loop: Header=BB98_10 Depth=1
	s_wait_dscnt 0x0
	s_wait_xcnt 0x0
	ds_load_b64 v[44:45], v53 offset:416
	s_wait_dscnt 0x0
	global_store_b64 v[40:41], v[44:45], off offset:416
.LBB98_77:                              ;   in Loop: Header=BB98_10 Depth=1
	s_wait_xcnt 0x0
	s_or_b32 exec_lo, exec_lo, s36
	s_and_saveexec_b32 s36, s14
	s_cbranch_execz .LBB98_81
; %bb.78:                               ;   in Loop: Header=BB98_10 Depth=1
	s_and_not1_b32 vcc_lo, exec_lo, s16
	s_cbranch_vccnz .LBB98_98
; %bb.79:                               ;   in Loop: Header=BB98_10 Depth=1
	s_wait_dscnt 0x0
	ds_load_b64 v[44:45], v53 offset:448
	v_lshl_add_u64 v[60:61], v[36:37], 3, v[42:43]
	s_wait_dscnt 0x0
	global_store_b64 v[60:61], v[44:45], off
	s_cbranch_execnz .LBB98_81
.LBB98_80:                              ;   in Loop: Header=BB98_10 Depth=1
	s_wait_dscnt 0x0
	s_wait_xcnt 0x0
	ds_load_b64 v[44:45], v53 offset:448
	s_wait_dscnt 0x0
	global_store_b64 v[40:41], v[44:45], off offset:448
.LBB98_81:                              ;   in Loop: Header=BB98_10 Depth=1
	s_wait_xcnt 0x0
	s_or_b32 exec_lo, exec_lo, s36
	s_and_saveexec_b32 s36, s15
	s_cbranch_execz .LBB98_8
; %bb.82:                               ;   in Loop: Header=BB98_10 Depth=1
	s_and_not1_b32 vcc_lo, exec_lo, s16
	s_cbranch_vccnz .LBB98_99
; %bb.83:                               ;   in Loop: Header=BB98_10 Depth=1
	s_wait_dscnt 0x0
	ds_load_b64 v[44:45], v53 offset:480
	v_lshl_add_u64 v[42:43], v[38:39], 3, v[42:43]
	s_wait_dscnt 0x0
	global_store_b64 v[42:43], v[44:45], off
	s_cbranch_execnz .LBB98_8
	s_branch .LBB98_100
.LBB98_84:                              ;   in Loop: Header=BB98_10 Depth=1
	s_branch .LBB98_24
.LBB98_85:                              ;   in Loop: Header=BB98_10 Depth=1
	s_branch .LBB98_28
.LBB98_86:                              ;   in Loop: Header=BB98_10 Depth=1
	s_branch .LBB98_32
.LBB98_87:                              ;   in Loop: Header=BB98_10 Depth=1
	s_branch .LBB98_36
.LBB98_88:                              ;   in Loop: Header=BB98_10 Depth=1
	s_branch .LBB98_40
.LBB98_89:                              ;   in Loop: Header=BB98_10 Depth=1
	s_branch .LBB98_44
.LBB98_90:                              ;   in Loop: Header=BB98_10 Depth=1
	s_branch .LBB98_48
.LBB98_91:                              ;   in Loop: Header=BB98_10 Depth=1
	s_branch .LBB98_52
.LBB98_92:                              ;   in Loop: Header=BB98_10 Depth=1
	s_branch .LBB98_56
.LBB98_93:                              ;   in Loop: Header=BB98_10 Depth=1
	s_branch .LBB98_60
.LBB98_94:                              ;   in Loop: Header=BB98_10 Depth=1
	s_branch .LBB98_64
.LBB98_95:                              ;   in Loop: Header=BB98_10 Depth=1
	s_branch .LBB98_68
.LBB98_96:                              ;   in Loop: Header=BB98_10 Depth=1
	s_branch .LBB98_72
.LBB98_97:                              ;   in Loop: Header=BB98_10 Depth=1
	s_branch .LBB98_76
.LBB98_98:                              ;   in Loop: Header=BB98_10 Depth=1
	s_branch .LBB98_80
.LBB98_99:                              ;   in Loop: Header=BB98_10 Depth=1
.LBB98_100:                             ;   in Loop: Header=BB98_10 Depth=1
	s_wait_xcnt 0x0
	ds_load_b64 v[42:43], v53 offset:480
	s_wait_dscnt 0x0
	global_store_b64 v[40:41], v[42:43], off offset:480
	s_branch .LBB98_8
.LBB98_101:
	s_endpgm
	.section	.rodata,"a",@progbits
	.p2align	6, 0x0
	.amdhsa_kernel _ZN9rocsparseL44csr2gebsr_wavefront_per_row_multipass_kernelILi128ELi8ELi64ELi32EdEEv20rocsparse_direction_iiiiii21rocsparse_index_base_PKT3_PKiS7_S2_PS3_PiS9_
		.amdhsa_group_segment_fixed_size 16392
		.amdhsa_private_segment_fixed_size 0
		.amdhsa_kernarg_size 88
		.amdhsa_user_sgpr_count 2
		.amdhsa_user_sgpr_dispatch_ptr 0
		.amdhsa_user_sgpr_queue_ptr 0
		.amdhsa_user_sgpr_kernarg_segment_ptr 1
		.amdhsa_user_sgpr_dispatch_id 0
		.amdhsa_user_sgpr_kernarg_preload_length 0
		.amdhsa_user_sgpr_kernarg_preload_offset 0
		.amdhsa_user_sgpr_private_segment_size 0
		.amdhsa_wavefront_size32 1
		.amdhsa_uses_dynamic_stack 0
		.amdhsa_enable_private_segment 0
		.amdhsa_system_sgpr_workgroup_id_x 1
		.amdhsa_system_sgpr_workgroup_id_y 0
		.amdhsa_system_sgpr_workgroup_id_z 0
		.amdhsa_system_sgpr_workgroup_info 0
		.amdhsa_system_vgpr_workitem_id 0
		.amdhsa_next_free_vgpr 62
		.amdhsa_next_free_sgpr 39
		.amdhsa_named_barrier_count 0
		.amdhsa_reserve_vcc 1
		.amdhsa_float_round_mode_32 0
		.amdhsa_float_round_mode_16_64 0
		.amdhsa_float_denorm_mode_32 3
		.amdhsa_float_denorm_mode_16_64 3
		.amdhsa_fp16_overflow 0
		.amdhsa_memory_ordered 1
		.amdhsa_forward_progress 1
		.amdhsa_inst_pref_size 27
		.amdhsa_round_robin_scheduling 0
		.amdhsa_exception_fp_ieee_invalid_op 0
		.amdhsa_exception_fp_denorm_src 0
		.amdhsa_exception_fp_ieee_div_zero 0
		.amdhsa_exception_fp_ieee_overflow 0
		.amdhsa_exception_fp_ieee_underflow 0
		.amdhsa_exception_fp_ieee_inexact 0
		.amdhsa_exception_int_div_zero 0
	.end_amdhsa_kernel
	.section	.text._ZN9rocsparseL44csr2gebsr_wavefront_per_row_multipass_kernelILi128ELi8ELi64ELi32EdEEv20rocsparse_direction_iiiiii21rocsparse_index_base_PKT3_PKiS7_S2_PS3_PiS9_,"axG",@progbits,_ZN9rocsparseL44csr2gebsr_wavefront_per_row_multipass_kernelILi128ELi8ELi64ELi32EdEEv20rocsparse_direction_iiiiii21rocsparse_index_base_PKT3_PKiS7_S2_PS3_PiS9_,comdat
.Lfunc_end98:
	.size	_ZN9rocsparseL44csr2gebsr_wavefront_per_row_multipass_kernelILi128ELi8ELi64ELi32EdEEv20rocsparse_direction_iiiiii21rocsparse_index_base_PKT3_PKiS7_S2_PS3_PiS9_, .Lfunc_end98-_ZN9rocsparseL44csr2gebsr_wavefront_per_row_multipass_kernelILi128ELi8ELi64ELi32EdEEv20rocsparse_direction_iiiiii21rocsparse_index_base_PKT3_PKiS7_S2_PS3_PiS9_
                                        ; -- End function
	.set _ZN9rocsparseL44csr2gebsr_wavefront_per_row_multipass_kernelILi128ELi8ELi64ELi32EdEEv20rocsparse_direction_iiiiii21rocsparse_index_base_PKT3_PKiS7_S2_PS3_PiS9_.num_vgpr, 62
	.set _ZN9rocsparseL44csr2gebsr_wavefront_per_row_multipass_kernelILi128ELi8ELi64ELi32EdEEv20rocsparse_direction_iiiiii21rocsparse_index_base_PKT3_PKiS7_S2_PS3_PiS9_.num_agpr, 0
	.set _ZN9rocsparseL44csr2gebsr_wavefront_per_row_multipass_kernelILi128ELi8ELi64ELi32EdEEv20rocsparse_direction_iiiiii21rocsparse_index_base_PKT3_PKiS7_S2_PS3_PiS9_.numbered_sgpr, 39
	.set _ZN9rocsparseL44csr2gebsr_wavefront_per_row_multipass_kernelILi128ELi8ELi64ELi32EdEEv20rocsparse_direction_iiiiii21rocsparse_index_base_PKT3_PKiS7_S2_PS3_PiS9_.num_named_barrier, 0
	.set _ZN9rocsparseL44csr2gebsr_wavefront_per_row_multipass_kernelILi128ELi8ELi64ELi32EdEEv20rocsparse_direction_iiiiii21rocsparse_index_base_PKT3_PKiS7_S2_PS3_PiS9_.private_seg_size, 0
	.set _ZN9rocsparseL44csr2gebsr_wavefront_per_row_multipass_kernelILi128ELi8ELi64ELi32EdEEv20rocsparse_direction_iiiiii21rocsparse_index_base_PKT3_PKiS7_S2_PS3_PiS9_.uses_vcc, 1
	.set _ZN9rocsparseL44csr2gebsr_wavefront_per_row_multipass_kernelILi128ELi8ELi64ELi32EdEEv20rocsparse_direction_iiiiii21rocsparse_index_base_PKT3_PKiS7_S2_PS3_PiS9_.uses_flat_scratch, 0
	.set _ZN9rocsparseL44csr2gebsr_wavefront_per_row_multipass_kernelILi128ELi8ELi64ELi32EdEEv20rocsparse_direction_iiiiii21rocsparse_index_base_PKT3_PKiS7_S2_PS3_PiS9_.has_dyn_sized_stack, 0
	.set _ZN9rocsparseL44csr2gebsr_wavefront_per_row_multipass_kernelILi128ELi8ELi64ELi32EdEEv20rocsparse_direction_iiiiii21rocsparse_index_base_PKT3_PKiS7_S2_PS3_PiS9_.has_recursion, 0
	.set _ZN9rocsparseL44csr2gebsr_wavefront_per_row_multipass_kernelILi128ELi8ELi64ELi32EdEEv20rocsparse_direction_iiiiii21rocsparse_index_base_PKT3_PKiS7_S2_PS3_PiS9_.has_indirect_call, 0
	.section	.AMDGPU.csdata,"",@progbits
; Kernel info:
; codeLenInByte = 3424
; TotalNumSgprs: 41
; NumVgprs: 62
; ScratchSize: 0
; MemoryBound: 0
; FloatMode: 240
; IeeeMode: 1
; LDSByteSize: 16392 bytes/workgroup (compile time only)
; SGPRBlocks: 0
; VGPRBlocks: 3
; NumSGPRsForWavesPerEU: 41
; NumVGPRsForWavesPerEU: 62
; NamedBarCnt: 0
; Occupancy: 16
; WaveLimiterHint : 0
; COMPUTE_PGM_RSRC2:SCRATCH_EN: 0
; COMPUTE_PGM_RSRC2:USER_SGPR: 2
; COMPUTE_PGM_RSRC2:TRAP_HANDLER: 0
; COMPUTE_PGM_RSRC2:TGID_X_EN: 1
; COMPUTE_PGM_RSRC2:TGID_Y_EN: 0
; COMPUTE_PGM_RSRC2:TGID_Z_EN: 0
; COMPUTE_PGM_RSRC2:TIDIG_COMP_CNT: 0
	.section	.text._ZN9rocsparseL44csr2gebsr_wavefront_per_row_multipass_kernelILi256ELi16ELi2ELi32EdEEv20rocsparse_direction_iiiiii21rocsparse_index_base_PKT3_PKiS7_S2_PS3_PiS9_,"axG",@progbits,_ZN9rocsparseL44csr2gebsr_wavefront_per_row_multipass_kernelILi256ELi16ELi2ELi32EdEEv20rocsparse_direction_iiiiii21rocsparse_index_base_PKT3_PKiS7_S2_PS3_PiS9_,comdat
	.globl	_ZN9rocsparseL44csr2gebsr_wavefront_per_row_multipass_kernelILi256ELi16ELi2ELi32EdEEv20rocsparse_direction_iiiiii21rocsparse_index_base_PKT3_PKiS7_S2_PS3_PiS9_ ; -- Begin function _ZN9rocsparseL44csr2gebsr_wavefront_per_row_multipass_kernelILi256ELi16ELi2ELi32EdEEv20rocsparse_direction_iiiiii21rocsparse_index_base_PKT3_PKiS7_S2_PS3_PiS9_
	.p2align	8
	.type	_ZN9rocsparseL44csr2gebsr_wavefront_per_row_multipass_kernelILi256ELi16ELi2ELi32EdEEv20rocsparse_direction_iiiiii21rocsparse_index_base_PKT3_PKiS7_S2_PS3_PiS9_,@function
_ZN9rocsparseL44csr2gebsr_wavefront_per_row_multipass_kernelILi256ELi16ELi2ELi32EdEEv20rocsparse_direction_iiiiii21rocsparse_index_base_PKT3_PKiS7_S2_PS3_PiS9_: ; @_ZN9rocsparseL44csr2gebsr_wavefront_per_row_multipass_kernelILi256ELi16ELi2ELi32EdEEv20rocsparse_direction_iiiiii21rocsparse_index_base_PKT3_PKiS7_S2_PS3_PiS9_
; %bb.0:
	s_clause 0x1
	s_load_b128 s[4:7], s[0:1], 0xc
	s_load_b64 s[12:13], s[0:1], 0x0
	s_bfe_u32 s2, ttmp6, 0x4000c
	s_and_b32 s3, ttmp6, 15
	s_add_co_i32 s2, s2, 1
	s_getreg_b32 s8, hwreg(HW_REG_IB_STS2, 6, 4)
	s_mul_i32 s2, ttmp9, s2
	v_dual_lshrrev_b32 v18, 5, v0 :: v_dual_mov_b32 v2, 0
	s_add_co_i32 s3, s3, s2
	s_cmp_eq_u32 s8, 0
	v_bfe_u32 v3, v0, 1, 4
	s_cselect_b32 s2, ttmp9, s3
	s_clause 0x1
	s_load_b32 s16, s[0:1], 0x1c
	s_load_b64 s[8:9], s[0:1], 0x28
	v_lshl_or_b32 v1, s2, 3, v18
	v_mov_b32_e32 v8, 0
	s_wait_kmcnt 0x0
	s_delay_alu instid0(VALU_DEP_2) | instskip(SKIP_1) | instid1(VALU_DEP_2)
	v_mad_u32 v4, v1, s6, v3
	v_cmp_gt_i32_e32 vcc_lo, s6, v3
	v_cmp_gt_i32_e64 s2, s13, v4
	s_and_b32 s2, vcc_lo, s2
	s_delay_alu instid0(SALU_CYCLE_1)
	s_and_saveexec_b32 s3, s2
	s_cbranch_execz .LBB99_2
; %bb.1:
	global_load_b32 v5, v4, s[8:9] scale_offset
	s_wait_loadcnt 0x0
	v_subrev_nc_u32_e32 v8, s16, v5
.LBB99_2:
	s_or_b32 exec_lo, exec_lo, s3
	v_mov_b32_e32 v19, 0
	s_and_saveexec_b32 s3, s2
	s_cbranch_execz .LBB99_4
; %bb.3:
	global_load_b32 v4, v4, s[8:9] offset:4 scale_offset
	s_wait_loadcnt 0x0
	v_subrev_nc_u32_e32 v19, s16, v4
.LBB99_4:
	s_or_b32 exec_lo, exec_lo, s3
	s_load_b32 s17, s[0:1], 0x38
	s_mov_b32 s3, exec_lo
	v_cmpx_gt_i32_e64 s4, v1
	s_cbranch_execz .LBB99_6
; %bb.5:
	s_load_b64 s[8:9], s[0:1], 0x48
	s_wait_kmcnt 0x0
	global_load_b32 v1, v1, s[8:9] scale_offset
	s_wait_loadcnt 0x0
	v_subrev_nc_u32_e32 v2, s17, v1
.LBB99_6:
	s_or_b32 exec_lo, exec_lo, s3
	s_cmp_lt_i32 s5, 1
	s_cbranch_scc1 .LBB99_24
; %bb.7:
	v_mbcnt_lo_u32_b32 v9, -1, 0
	s_clause 0x3
	s_load_b64 s[2:3], s[0:1], 0x50
	s_load_b64 s[14:15], s[0:1], 0x40
	;; [unrolled: 1-line block ×4, first 2 shown]
	v_and_b32_e32 v5, 0xe0, v0
	v_mul_lo_u32 v10, s7, v3
	v_dual_mov_b32 v28, 0x7c :: v_dual_mov_b32 v29, 1
	v_dual_lshlrev_b32 v6, 4, v3 :: v_dual_bitop2_b32 v1, 1, v9 bitop3:0x14
	v_lshl_or_b32 v22, v9, 2, 4
	s_mov_b32 s13, 0
	s_wait_xcnt 0x0
	s_delay_alu instid0(VALU_DEP_2) | instskip(SKIP_2) | instid1(VALU_DEP_3)
	v_cmp_gt_i32_e64 s0, 32, v1
	v_and_b32_e32 v4, 1, v0
	v_lshl_or_b32 v20, v5, 3, v6
	v_dual_ashrrev_i32 v11, 31, v10 :: v_dual_cndmask_b32 v1, v9, v1, s0
	s_delay_alu instid0(VALU_DEP_3)
	v_mul_lo_u32 v0, s6, v4
	v_lshlrev_b32_e32 v12, 3, v4
	v_cmp_gt_u32_e64 s0, s7, v4
	s_wait_kmcnt 0x0
	v_lshl_add_u64 v[10:11], v[10:11], 3, s[14:15]
	v_dual_lshlrev_b32 v21, 2, v1 :: v_dual_mov_b32 v1, 0
	v_or_b32_e32 v23, v20, v12
	s_and_b32 s4, vcc_lo, s0
	s_cmp_lg_u32 s12, 0
	s_mov_b32 s12, s6
	v_mov_b32_e32 v13, v1
	v_lshl_add_u64 v[6:7], v[0:1], 3, s[14:15]
	v_lshlrev_b32_e32 v0, 3, v3
	s_cselect_b32 s18, -1, 0
	s_abs_i32 s6, s7
	s_ashr_i32 s1, s7, 31
	s_cvt_f32_u32 s14, s6
	v_add_nc_u64_e32 v[6:7], v[6:7], v[0:1]
	v_xor_b32_e32 v0, 16, v9
	v_add_nc_u64_e32 v[10:11], v[10:11], v[12:13]
	v_rcp_iflag_f32_e32 v3, s14
	s_mov_b32 s0, s7
	v_xor_b32_e32 v12, 8, v9
	v_cmp_gt_i32_e32 vcc_lo, 32, v0
	s_delay_alu instid0(TRANS32_DEP_1) | instskip(SKIP_4) | instid1(VALU_DEP_3)
	v_readfirstlane_b32 s14, v3
	v_cndmask_b32_e32 v0, v9, v0, vcc_lo
	v_mov_b32_e32 v5, v1
	v_cmp_gt_i32_e32 vcc_lo, 32, v12
	s_mul_f32 s14, s14, 0x4f7ffffe
	v_dual_lshlrev_b32 v24, 2, v0 :: v_dual_bitop2_b32 v0, 4, v9 bitop3:0x14
	v_cndmask_b32_e32 v3, v9, v12, vcc_lo
	s_delay_alu instid0(SALU_CYCLE_1) | instskip(SKIP_1) | instid1(VALU_DEP_2)
	s_cvt_u32_f32 s19, s14
	s_sub_co_i32 s14, 0, s6
	v_cmp_gt_i32_e32 vcc_lo, 32, v0
	v_xor_b32_e32 v13, 2, v9
	s_mul_i32 s14, s14, s19
	v_dual_lshlrev_b32 v25, 2, v3 :: v_dual_mov_b32 v3, 0
	v_cndmask_b32_e32 v0, v9, v0, vcc_lo
	s_delay_alu instid0(VALU_DEP_3)
	v_cmp_gt_i32_e32 vcc_lo, 32, v13
	s_mul_hi_u32 s20, s19, s14
	s_mul_u64 s[14:15], s[0:1], s[12:13]
	s_add_co_i32 s12, s19, s20
	s_mov_b32 s19, s13
	v_cndmask_b32_e32 v9, v9, v13, vcc_lo
	v_mov_b64_e32 v[12:13], 0
	s_delay_alu instid0(VALU_DEP_2)
	v_dual_lshlrev_b32 v26, 2, v0 :: v_dual_lshlrev_b32 v27, 2, v9
	s_branch .LBB99_10
.LBB99_8:                               ;   in Loop: Header=BB99_10 Depth=1
	s_wait_xcnt 0x0
	s_or_b32 exec_lo, exec_lo, s20
	v_mov_b32_e32 v0, 1
.LBB99_9:                               ;   in Loop: Header=BB99_10 Depth=1
	s_or_b32 exec_lo, exec_lo, s0
	ds_bpermute_b32 v3, v24, v30
	s_wait_storecnt_dscnt 0x0
	v_add_nc_u32_e32 v2, v0, v2
	v_min_i32_e32 v3, v3, v30
	ds_bpermute_b32 v9, v25, v3
	s_wait_dscnt 0x0
	v_min_i32_e32 v3, v9, v3
	ds_bpermute_b32 v9, v26, v3
	s_wait_dscnt 0x0
	;; [unrolled: 3-line block ×5, first 2 shown]
	v_cmp_le_i32_e32 vcc_lo, s5, v3
	s_or_b32 s19, vcc_lo, s19
	s_delay_alu instid0(SALU_CYCLE_1)
	s_and_not1_b32 exec_lo, exec_lo, s19
	s_cbranch_execz .LBB99_24
.LBB99_10:                              ; =>This Loop Header: Depth=1
                                        ;     Child Loop BB99_13 Depth 2
	v_dual_add_nc_u32 v16, v8, v4 :: v_dual_mov_b32 v30, s5
	v_mov_b32_e32 v31, v19
	s_mov_b32 s20, exec_lo
	ds_store_b8 v18, v1 offset:2048
	ds_store_b64 v23, v[12:13]
	s_wait_dscnt 0x0
	v_cmpx_lt_i32_e64 v16, v19
	s_cbranch_execz .LBB99_18
; %bb.11:                               ;   in Loop: Header=BB99_10 Depth=1
	v_dual_mov_b32 v30, s5 :: v_dual_ashrrev_i32 v9, 31, v8
	v_mul_lo_u32 v17, v3, s7
	v_mov_b32_e32 v31, v19
	s_mov_b32 s21, 0
	s_delay_alu instid0(VALU_DEP_3) | instskip(NEXT) | instid1(VALU_DEP_1)
	v_add_nc_u64_e32 v[14:15], v[4:5], v[8:9]
	v_lshl_add_u64 v[8:9], v[14:15], 2, s[10:11]
	v_lshl_add_u64 v[14:15], v[14:15], 3, s[8:9]
	s_branch .LBB99_13
.LBB99_12:                              ;   in Loop: Header=BB99_13 Depth=2
	s_wait_xcnt 0x0
	s_or_b32 exec_lo, exec_lo, s0
	v_add_nc_u32_e32 v16, 2, v16
	s_xor_b32 s22, vcc_lo, -1
	v_add_nc_u64_e32 v[8:9], 8, v[8:9]
	v_add_nc_u64_e32 v[14:15], 16, v[14:15]
	s_delay_alu instid0(VALU_DEP_3) | instskip(SKIP_1) | instid1(SALU_CYCLE_1)
	v_cmp_ge_i32_e64 s0, v16, v19
	s_or_b32 s0, s22, s0
	s_and_b32 s0, exec_lo, s0
	s_delay_alu instid0(SALU_CYCLE_1) | instskip(NEXT) | instid1(SALU_CYCLE_1)
	s_or_b32 s21, s0, s21
	s_and_not1_b32 exec_lo, exec_lo, s21
	s_cbranch_execz .LBB99_17
.LBB99_13:                              ;   Parent Loop BB99_10 Depth=1
                                        ; =>  This Inner Loop Header: Depth=2
	global_load_b32 v0, v[8:9], off
	s_wait_loadcnt 0x0
	v_subrev_nc_u32_e32 v32, s16, v0
	s_delay_alu instid0(VALU_DEP_1) | instskip(NEXT) | instid1(VALU_DEP_1)
	v_sub_nc_u32_e32 v0, 0, v32
	v_max_i32_e32 v0, v32, v0
	s_delay_alu instid0(VALU_DEP_1) | instskip(NEXT) | instid1(VALU_DEP_1)
	v_mul_u64_e32 v[34:35], s[12:13], v[0:1]
	v_mul_lo_u32 v33, v35, s6
	s_delay_alu instid0(VALU_DEP_1) | instskip(NEXT) | instid1(VALU_DEP_1)
	v_dual_sub_nc_u32 v0, v0, v33 :: v_dual_add_nc_u32 v33, 1, v35
	v_cmp_le_u32_e32 vcc_lo, s6, v0
	s_delay_alu instid0(VALU_DEP_2) | instskip(SKIP_1) | instid1(VALU_DEP_1)
	v_dual_cndmask_b32 v33, v35, v33, vcc_lo :: v_dual_ashrrev_i32 v35, 31, v32
	v_subrev_nc_u32_e32 v34, s6, v0
	v_dual_cndmask_b32 v0, v0, v34, vcc_lo :: v_dual_add_nc_u32 v34, 1, v33
	s_delay_alu instid0(VALU_DEP_1) | instskip(NEXT) | instid1(VALU_DEP_2)
	v_cmp_le_u32_e32 vcc_lo, s6, v0
	v_dual_cndmask_b32 v0, v33, v34, vcc_lo :: v_dual_bitop2_b32 v35, s1, v35 bitop3:0x14
	s_delay_alu instid0(VALU_DEP_1) | instskip(NEXT) | instid1(VALU_DEP_1)
	v_xor_b32_e32 v0, v0, v35
	v_dual_mov_b32 v0, v31 :: v_dual_sub_nc_u32 v33, v0, v35
	s_delay_alu instid0(VALU_DEP_1) | instskip(SKIP_3) | instid1(SALU_CYCLE_1)
	v_cmp_ne_u32_e64 s0, v33, v3
	v_cmp_eq_u32_e32 vcc_lo, v33, v3
	s_wait_xcnt 0x0
	s_and_saveexec_b32 s22, s0
	s_xor_b32 s0, exec_lo, s22
; %bb.14:                               ;   in Loop: Header=BB99_13 Depth=2
	v_min_i32_e32 v30, v33, v30
                                        ; implicit-def: $vgpr32
                                        ; implicit-def: $vgpr0
; %bb.15:                               ;   in Loop: Header=BB99_13 Depth=2
	s_or_saveexec_b32 s0, s0
	v_mov_b32_e32 v31, v16
	s_xor_b32 exec_lo, exec_lo, s0
	s_cbranch_execz .LBB99_12
; %bb.16:                               ;   in Loop: Header=BB99_13 Depth=2
	global_load_b64 v[34:35], v[14:15], off
	v_sub_nc_u32_e32 v31, v32, v17
	s_delay_alu instid0(VALU_DEP_1)
	v_lshl_add_u32 v32, v31, 3, v20
	v_mov_b32_e32 v31, v0
	ds_store_b8 v18, v29 offset:2048
	s_wait_loadcnt 0x0
	ds_store_b64 v32, v[34:35]
	s_branch .LBB99_12
.LBB99_17:                              ;   in Loop: Header=BB99_10 Depth=1
	s_or_b32 exec_lo, exec_lo, s21
.LBB99_18:                              ;   in Loop: Header=BB99_10 Depth=1
	s_delay_alu instid0(SALU_CYCLE_1)
	s_or_b32 exec_lo, exec_lo, s20
	ds_bpermute_b32 v0, v21, v31
	s_wait_dscnt 0x0
	ds_load_u8 v9, v18 offset:2048
	v_min_i32_e32 v0, v0, v31
	ds_bpermute_b32 v8, v22, v0
	s_wait_dscnt 0x1
	v_and_b32_e32 v0, 1, v9
	s_delay_alu instid0(VALU_DEP_1)
	v_cmp_eq_u32_e32 vcc_lo, 1, v0
	v_mov_b32_e32 v0, 0
	s_and_saveexec_b32 s0, vcc_lo
	s_cbranch_execz .LBB99_9
; %bb.19:                               ;   in Loop: Header=BB99_10 Depth=1
	v_add_nc_u32_e32 v0, s17, v3
	global_store_b32 v2, v0, s[2:3] scale_offset
	s_wait_xcnt 0x0
	s_and_saveexec_b32 s20, s4
	s_cbranch_execz .LBB99_8
; %bb.20:                               ;   in Loop: Header=BB99_10 Depth=1
	v_ashrrev_i32_e32 v3, 31, v2
	ds_load_b64 v[16:17], v23
	s_and_b32 vcc_lo, exec_lo, s18
	v_mul_u64_e32 v[14:15], s[14:15], v[2:3]
	s_cbranch_vccz .LBB99_22
; %bb.21:                               ;   in Loop: Header=BB99_10 Depth=1
	s_delay_alu instid0(VALU_DEP_1)
	v_lshl_add_u64 v[32:33], v[14:15], 3, v[6:7]
	s_wait_dscnt 0x0
	global_store_b64 v[32:33], v[16:17], off
	s_cbranch_execnz .LBB99_8
	s_branch .LBB99_23
.LBB99_22:                              ;   in Loop: Header=BB99_10 Depth=1
.LBB99_23:                              ;   in Loop: Header=BB99_10 Depth=1
	s_delay_alu instid0(VALU_DEP_1)
	v_lshl_add_u64 v[14:15], v[14:15], 3, v[10:11]
	s_wait_dscnt 0x0
	global_store_b64 v[14:15], v[16:17], off
	s_branch .LBB99_8
.LBB99_24:
	s_endpgm
	.section	.rodata,"a",@progbits
	.p2align	6, 0x0
	.amdhsa_kernel _ZN9rocsparseL44csr2gebsr_wavefront_per_row_multipass_kernelILi256ELi16ELi2ELi32EdEEv20rocsparse_direction_iiiiii21rocsparse_index_base_PKT3_PKiS7_S2_PS3_PiS9_
		.amdhsa_group_segment_fixed_size 2056
		.amdhsa_private_segment_fixed_size 0
		.amdhsa_kernarg_size 88
		.amdhsa_user_sgpr_count 2
		.amdhsa_user_sgpr_dispatch_ptr 0
		.amdhsa_user_sgpr_queue_ptr 0
		.amdhsa_user_sgpr_kernarg_segment_ptr 1
		.amdhsa_user_sgpr_dispatch_id 0
		.amdhsa_user_sgpr_kernarg_preload_length 0
		.amdhsa_user_sgpr_kernarg_preload_offset 0
		.amdhsa_user_sgpr_private_segment_size 0
		.amdhsa_wavefront_size32 1
		.amdhsa_uses_dynamic_stack 0
		.amdhsa_enable_private_segment 0
		.amdhsa_system_sgpr_workgroup_id_x 1
		.amdhsa_system_sgpr_workgroup_id_y 0
		.amdhsa_system_sgpr_workgroup_id_z 0
		.amdhsa_system_sgpr_workgroup_info 0
		.amdhsa_system_vgpr_workitem_id 0
		.amdhsa_next_free_vgpr 36
		.amdhsa_next_free_sgpr 23
		.amdhsa_named_barrier_count 0
		.amdhsa_reserve_vcc 1
		.amdhsa_float_round_mode_32 0
		.amdhsa_float_round_mode_16_64 0
		.amdhsa_float_denorm_mode_32 3
		.amdhsa_float_denorm_mode_16_64 3
		.amdhsa_fp16_overflow 0
		.amdhsa_memory_ordered 1
		.amdhsa_forward_progress 1
		.amdhsa_inst_pref_size 11
		.amdhsa_round_robin_scheduling 0
		.amdhsa_exception_fp_ieee_invalid_op 0
		.amdhsa_exception_fp_denorm_src 0
		.amdhsa_exception_fp_ieee_div_zero 0
		.amdhsa_exception_fp_ieee_overflow 0
		.amdhsa_exception_fp_ieee_underflow 0
		.amdhsa_exception_fp_ieee_inexact 0
		.amdhsa_exception_int_div_zero 0
	.end_amdhsa_kernel
	.section	.text._ZN9rocsparseL44csr2gebsr_wavefront_per_row_multipass_kernelILi256ELi16ELi2ELi32EdEEv20rocsparse_direction_iiiiii21rocsparse_index_base_PKT3_PKiS7_S2_PS3_PiS9_,"axG",@progbits,_ZN9rocsparseL44csr2gebsr_wavefront_per_row_multipass_kernelILi256ELi16ELi2ELi32EdEEv20rocsparse_direction_iiiiii21rocsparse_index_base_PKT3_PKiS7_S2_PS3_PiS9_,comdat
.Lfunc_end99:
	.size	_ZN9rocsparseL44csr2gebsr_wavefront_per_row_multipass_kernelILi256ELi16ELi2ELi32EdEEv20rocsparse_direction_iiiiii21rocsparse_index_base_PKT3_PKiS7_S2_PS3_PiS9_, .Lfunc_end99-_ZN9rocsparseL44csr2gebsr_wavefront_per_row_multipass_kernelILi256ELi16ELi2ELi32EdEEv20rocsparse_direction_iiiiii21rocsparse_index_base_PKT3_PKiS7_S2_PS3_PiS9_
                                        ; -- End function
	.set _ZN9rocsparseL44csr2gebsr_wavefront_per_row_multipass_kernelILi256ELi16ELi2ELi32EdEEv20rocsparse_direction_iiiiii21rocsparse_index_base_PKT3_PKiS7_S2_PS3_PiS9_.num_vgpr, 36
	.set _ZN9rocsparseL44csr2gebsr_wavefront_per_row_multipass_kernelILi256ELi16ELi2ELi32EdEEv20rocsparse_direction_iiiiii21rocsparse_index_base_PKT3_PKiS7_S2_PS3_PiS9_.num_agpr, 0
	.set _ZN9rocsparseL44csr2gebsr_wavefront_per_row_multipass_kernelILi256ELi16ELi2ELi32EdEEv20rocsparse_direction_iiiiii21rocsparse_index_base_PKT3_PKiS7_S2_PS3_PiS9_.numbered_sgpr, 23
	.set _ZN9rocsparseL44csr2gebsr_wavefront_per_row_multipass_kernelILi256ELi16ELi2ELi32EdEEv20rocsparse_direction_iiiiii21rocsparse_index_base_PKT3_PKiS7_S2_PS3_PiS9_.num_named_barrier, 0
	.set _ZN9rocsparseL44csr2gebsr_wavefront_per_row_multipass_kernelILi256ELi16ELi2ELi32EdEEv20rocsparse_direction_iiiiii21rocsparse_index_base_PKT3_PKiS7_S2_PS3_PiS9_.private_seg_size, 0
	.set _ZN9rocsparseL44csr2gebsr_wavefront_per_row_multipass_kernelILi256ELi16ELi2ELi32EdEEv20rocsparse_direction_iiiiii21rocsparse_index_base_PKT3_PKiS7_S2_PS3_PiS9_.uses_vcc, 1
	.set _ZN9rocsparseL44csr2gebsr_wavefront_per_row_multipass_kernelILi256ELi16ELi2ELi32EdEEv20rocsparse_direction_iiiiii21rocsparse_index_base_PKT3_PKiS7_S2_PS3_PiS9_.uses_flat_scratch, 0
	.set _ZN9rocsparseL44csr2gebsr_wavefront_per_row_multipass_kernelILi256ELi16ELi2ELi32EdEEv20rocsparse_direction_iiiiii21rocsparse_index_base_PKT3_PKiS7_S2_PS3_PiS9_.has_dyn_sized_stack, 0
	.set _ZN9rocsparseL44csr2gebsr_wavefront_per_row_multipass_kernelILi256ELi16ELi2ELi32EdEEv20rocsparse_direction_iiiiii21rocsparse_index_base_PKT3_PKiS7_S2_PS3_PiS9_.has_recursion, 0
	.set _ZN9rocsparseL44csr2gebsr_wavefront_per_row_multipass_kernelILi256ELi16ELi2ELi32EdEEv20rocsparse_direction_iiiiii21rocsparse_index_base_PKT3_PKiS7_S2_PS3_PiS9_.has_indirect_call, 0
	.section	.AMDGPU.csdata,"",@progbits
; Kernel info:
; codeLenInByte = 1408
; TotalNumSgprs: 25
; NumVgprs: 36
; ScratchSize: 0
; MemoryBound: 0
; FloatMode: 240
; IeeeMode: 1
; LDSByteSize: 2056 bytes/workgroup (compile time only)
; SGPRBlocks: 0
; VGPRBlocks: 2
; NumSGPRsForWavesPerEU: 25
; NumVGPRsForWavesPerEU: 36
; NamedBarCnt: 0
; Occupancy: 16
; WaveLimiterHint : 0
; COMPUTE_PGM_RSRC2:SCRATCH_EN: 0
; COMPUTE_PGM_RSRC2:USER_SGPR: 2
; COMPUTE_PGM_RSRC2:TRAP_HANDLER: 0
; COMPUTE_PGM_RSRC2:TGID_X_EN: 1
; COMPUTE_PGM_RSRC2:TGID_Y_EN: 0
; COMPUTE_PGM_RSRC2:TGID_Z_EN: 0
; COMPUTE_PGM_RSRC2:TIDIG_COMP_CNT: 0
	.section	.text._ZN9rocsparseL44csr2gebsr_wavefront_per_row_multipass_kernelILi256ELi16ELi4ELi64EdEEv20rocsparse_direction_iiiiii21rocsparse_index_base_PKT3_PKiS7_S2_PS3_PiS9_,"axG",@progbits,_ZN9rocsparseL44csr2gebsr_wavefront_per_row_multipass_kernelILi256ELi16ELi4ELi64EdEEv20rocsparse_direction_iiiiii21rocsparse_index_base_PKT3_PKiS7_S2_PS3_PiS9_,comdat
	.globl	_ZN9rocsparseL44csr2gebsr_wavefront_per_row_multipass_kernelILi256ELi16ELi4ELi64EdEEv20rocsparse_direction_iiiiii21rocsparse_index_base_PKT3_PKiS7_S2_PS3_PiS9_ ; -- Begin function _ZN9rocsparseL44csr2gebsr_wavefront_per_row_multipass_kernelILi256ELi16ELi4ELi64EdEEv20rocsparse_direction_iiiiii21rocsparse_index_base_PKT3_PKiS7_S2_PS3_PiS9_
	.p2align	8
	.type	_ZN9rocsparseL44csr2gebsr_wavefront_per_row_multipass_kernelILi256ELi16ELi4ELi64EdEEv20rocsparse_direction_iiiiii21rocsparse_index_base_PKT3_PKiS7_S2_PS3_PiS9_,@function
_ZN9rocsparseL44csr2gebsr_wavefront_per_row_multipass_kernelILi256ELi16ELi4ELi64EdEEv20rocsparse_direction_iiiiii21rocsparse_index_base_PKT3_PKiS7_S2_PS3_PiS9_: ; @_ZN9rocsparseL44csr2gebsr_wavefront_per_row_multipass_kernelILi256ELi16ELi4ELi64EdEEv20rocsparse_direction_iiiiii21rocsparse_index_base_PKT3_PKiS7_S2_PS3_PiS9_
; %bb.0:
	s_clause 0x1
	s_load_b128 s[4:7], s[0:1], 0xc
	s_load_b64 s[12:13], s[0:1], 0x0
	s_bfe_u32 s2, ttmp6, 0x4000c
	s_and_b32 s3, ttmp6, 15
	s_add_co_i32 s2, s2, 1
	s_getreg_b32 s8, hwreg(HW_REG_IB_STS2, 6, 4)
	s_mul_i32 s2, ttmp9, s2
	v_dual_lshrrev_b32 v18, 6, v0 :: v_dual_mov_b32 v2, 0
	s_add_co_i32 s3, s3, s2
	s_cmp_eq_u32 s8, 0
	v_bfe_u32 v1, v0, 2, 4
	s_cselect_b32 s2, ttmp9, s3
	s_clause 0x1
	s_load_b32 s16, s[0:1], 0x1c
	s_load_b64 s[8:9], s[0:1], 0x28
	v_lshl_or_b32 v3, s2, 2, v18
	v_mov_b32_e32 v8, 0
	s_wait_kmcnt 0x0
	s_delay_alu instid0(VALU_DEP_2) | instskip(SKIP_1) | instid1(VALU_DEP_2)
	v_mad_u32 v4, v3, s6, v1
	v_cmp_gt_i32_e32 vcc_lo, s6, v1
	v_cmp_gt_i32_e64 s2, s13, v4
	s_and_b32 s2, vcc_lo, s2
	s_delay_alu instid0(SALU_CYCLE_1)
	s_and_saveexec_b32 s3, s2
	s_cbranch_execz .LBB100_2
; %bb.1:
	global_load_b32 v5, v4, s[8:9] scale_offset
	s_wait_loadcnt 0x0
	v_subrev_nc_u32_e32 v8, s16, v5
.LBB100_2:
	s_or_b32 exec_lo, exec_lo, s3
	v_mov_b32_e32 v19, 0
	s_and_saveexec_b32 s3, s2
	s_cbranch_execz .LBB100_4
; %bb.3:
	global_load_b32 v4, v4, s[8:9] offset:4 scale_offset
	s_wait_loadcnt 0x0
	v_subrev_nc_u32_e32 v19, s16, v4
.LBB100_4:
	s_or_b32 exec_lo, exec_lo, s3
	s_load_b32 s17, s[0:1], 0x38
	s_mov_b32 s3, exec_lo
	v_cmpx_gt_i32_e64 s4, v3
	s_cbranch_execz .LBB100_6
; %bb.5:
	s_load_b64 s[8:9], s[0:1], 0x48
	s_wait_kmcnt 0x0
	global_load_b32 v2, v3, s[8:9] scale_offset
	s_wait_loadcnt 0x0
	v_subrev_nc_u32_e32 v2, s17, v2
.LBB100_6:
	s_or_b32 exec_lo, exec_lo, s3
	s_cmp_lt_i32 s5, 1
	s_cbranch_scc1 .LBB100_24
; %bb.7:
	v_mbcnt_lo_u32_b32 v3, -1, 0
	v_lshlrev_b32_e32 v5, 5, v1
	v_and_b32_e32 v4, 0xc0, v0
	s_clause 0x3
	s_load_b64 s[2:3], s[0:1], 0x50
	s_load_b64 s[14:15], s[0:1], 0x40
	;; [unrolled: 1-line block ×4, first 2 shown]
	v_mul_lo_u32 v10, s7, v1
	v_xor_b32_e32 v6, 2, v3
	v_lshl_or_b32 v23, v3, 2, 12
	v_lshl_or_b32 v20, v4, 3, v5
	v_bfrev_b32_e32 v29, 0.5
	s_mov_b32 s13, 0
	s_wait_xcnt 0x0
	v_cmp_gt_i32_e64 s0, 32, v6
	v_dual_mov_b32 v30, 1 :: v_dual_bitop2_b32 v7, 1, v3 bitop3:0x14
	s_delay_alu instid0(VALU_DEP_2) | instskip(NEXT) | instid1(VALU_DEP_2)
	v_cndmask_b32_e64 v5, v3, v6, s0
	v_cmp_gt_i32_e64 s0, 32, v7
	v_dual_ashrrev_i32 v11, 31, v10 :: v_dual_bitop2_b32 v0, 3, v0 bitop3:0x40
	s_delay_alu instid0(VALU_DEP_2) | instskip(NEXT) | instid1(VALU_DEP_2)
	v_cndmask_b32_e64 v6, v3, v7, s0
	v_mul_lo_u32 v4, s6, v0
	v_dual_lshlrev_b32 v21, 2, v5 :: v_dual_lshlrev_b32 v12, 3, v0
	v_mov_b32_e32 v5, 0
	v_cmp_gt_u32_e64 s0, s7, v0
	s_delay_alu instid0(VALU_DEP_3)
	v_dual_lshlrev_b32 v22, 2, v6 :: v_dual_bitop2_b32 v24, v20, v12 bitop3:0x54
	s_and_b32 s4, vcc_lo, s0
	s_cmp_lg_u32 s12, 0
	s_wait_kmcnt 0x0
	v_lshl_add_u64 v[6:7], v[4:5], 3, s[14:15]
	v_dual_lshlrev_b32 v4, 3, v1 :: v_dual_bitop2_b32 v1, 32, v3 bitop3:0x54
	v_lshl_add_u64 v[10:11], v[10:11], 3, s[14:15]
	s_cselect_b32 s18, -1, 0
	s_mov_b32 s12, s6
	s_abs_i32 s6, s7
	v_cmp_gt_i32_e32 vcc_lo, 32, v1
	v_mov_b32_e32 v13, v5
	s_cvt_f32_u32 s14, s6
	v_add_nc_u64_e32 v[6:7], v[6:7], v[4:5]
	s_ashr_i32 s1, s7, 31
	v_dual_cndmask_b32 v4, v3, v1 :: v_dual_mov_b32 v1, v5
	v_add_nc_u64_e32 v[10:11], v[10:11], v[12:13]
	v_xor_b32_e32 v12, 16, v3
	v_rcp_iflag_f32_e32 v9, s14
	s_delay_alu instid0(VALU_DEP_3) | instskip(SKIP_1) | instid1(VALU_DEP_2)
	v_dual_lshlrev_b32 v25, 2, v4 :: v_dual_bitop2_b32 v4, 8, v3 bitop3:0x14
	s_mov_b32 s0, s7
	v_cmp_gt_i32_e32 vcc_lo, 32, v12
	v_xor_b32_e32 v13, 4, v3
	s_delay_alu instid0(TRANS32_DEP_1)
	v_readfirstlane_b32 s14, v9
	v_cndmask_b32_e32 v9, v3, v12, vcc_lo
	v_cmp_gt_i32_e32 vcc_lo, 32, v4
	s_mul_f32 s14, s14, 0x4f7ffffe
	v_cndmask_b32_e32 v4, v3, v4, vcc_lo
	v_cmp_gt_i32_e32 vcc_lo, 32, v13
	s_delay_alu instid0(SALU_CYCLE_1)
	s_cvt_u32_f32 s19, s14
	s_sub_co_i32 s14, 0, s6
	v_cndmask_b32_e32 v3, v3, v13, vcc_lo
	v_mov_b64_e32 v[12:13], 0
	s_mul_i32 s14, s14, s19
	v_dual_lshlrev_b32 v26, 2, v9 :: v_dual_lshlrev_b32 v27, 2, v4
	s_delay_alu instid0(VALU_DEP_3)
	v_dual_mov_b32 v3, 0 :: v_dual_lshlrev_b32 v28, 2, v3
	s_mul_hi_u32 s20, s19, s14
	s_mul_u64 s[14:15], s[0:1], s[12:13]
	s_add_co_i32 s12, s19, s20
	s_mov_b32 s19, s13
	s_branch .LBB100_10
.LBB100_8:                              ;   in Loop: Header=BB100_10 Depth=1
	s_wait_xcnt 0x0
	s_or_b32 exec_lo, exec_lo, s20
	v_mov_b32_e32 v4, 1
.LBB100_9:                              ;   in Loop: Header=BB100_10 Depth=1
	s_or_b32 exec_lo, exec_lo, s0
	ds_bpermute_b32 v3, v25, v31
	s_wait_storecnt_dscnt 0x0
	v_dual_add_nc_u32 v2, v4, v2 :: v_dual_min_i32 v3, v3, v31
	ds_bpermute_b32 v9, v26, v3
	s_wait_dscnt 0x0
	v_min_i32_e32 v3, v9, v3
	ds_bpermute_b32 v9, v27, v3
	s_wait_dscnt 0x0
	v_min_i32_e32 v3, v9, v3
	ds_bpermute_b32 v9, v28, v3
	s_wait_dscnt 0x0
	v_min_i32_e32 v3, v9, v3
	ds_bpermute_b32 v9, v21, v3
	s_wait_dscnt 0x0
	v_min_i32_e32 v3, v9, v3
	ds_bpermute_b32 v9, v22, v3
	s_wait_dscnt 0x0
	v_min_i32_e32 v3, v9, v3
	ds_bpermute_b32 v3, v29, v3
	s_wait_dscnt 0x0
	v_cmp_le_i32_e32 vcc_lo, s5, v3
	s_or_b32 s19, vcc_lo, s19
	s_delay_alu instid0(SALU_CYCLE_1)
	s_and_not1_b32 exec_lo, exec_lo, s19
	s_cbranch_execz .LBB100_24
.LBB100_10:                             ; =>This Loop Header: Depth=1
                                        ;     Child Loop BB100_13 Depth 2
	v_dual_mov_b32 v31, s5 :: v_dual_add_nc_u32 v16, v8, v0
	v_mov_b32_e32 v32, v19
	s_mov_b32 s20, exec_lo
	ds_store_b8 v18, v5 offset:2048
	ds_store_b64 v24, v[12:13]
	s_wait_dscnt 0x0
	v_cmpx_lt_i32_e64 v16, v19
	s_cbranch_execz .LBB100_18
; %bb.11:                               ;   in Loop: Header=BB100_10 Depth=1
	v_dual_ashrrev_i32 v9, 31, v8 :: v_dual_mov_b32 v31, s5
	v_mul_lo_u32 v17, v3, s7
	v_mov_b32_e32 v32, v19
	s_mov_b32 s21, 0
	s_delay_alu instid0(VALU_DEP_3) | instskip(NEXT) | instid1(VALU_DEP_1)
	v_add_nc_u64_e32 v[14:15], v[0:1], v[8:9]
	v_lshl_add_u64 v[8:9], v[14:15], 2, s[10:11]
	v_lshl_add_u64 v[14:15], v[14:15], 3, s[8:9]
	s_branch .LBB100_13
.LBB100_12:                             ;   in Loop: Header=BB100_13 Depth=2
	s_wait_xcnt 0x0
	s_or_b32 exec_lo, exec_lo, s0
	v_add_nc_u32_e32 v16, 4, v16
	s_xor_b32 s22, vcc_lo, -1
	v_add_nc_u64_e32 v[8:9], 16, v[8:9]
	v_add_nc_u64_e32 v[14:15], 32, v[14:15]
	s_delay_alu instid0(VALU_DEP_3) | instskip(SKIP_1) | instid1(SALU_CYCLE_1)
	v_cmp_ge_i32_e64 s0, v16, v19
	s_or_b32 s0, s22, s0
	s_and_b32 s0, exec_lo, s0
	s_delay_alu instid0(SALU_CYCLE_1) | instskip(NEXT) | instid1(SALU_CYCLE_1)
	s_or_b32 s21, s0, s21
	s_and_not1_b32 exec_lo, exec_lo, s21
	s_cbranch_execz .LBB100_17
.LBB100_13:                             ;   Parent Loop BB100_10 Depth=1
                                        ; =>  This Inner Loop Header: Depth=2
	global_load_b32 v4, v[8:9], off
	s_wait_loadcnt 0x0
	v_subrev_nc_u32_e32 v33, s16, v4
	s_delay_alu instid0(VALU_DEP_1) | instskip(NEXT) | instid1(VALU_DEP_1)
	v_sub_nc_u32_e32 v4, 0, v33
	v_max_i32_e32 v4, v33, v4
	s_delay_alu instid0(VALU_DEP_1) | instskip(NEXT) | instid1(VALU_DEP_1)
	v_mul_u64_e32 v[34:35], s[12:13], v[4:5]
	v_mul_lo_u32 v34, v35, s6
	s_delay_alu instid0(VALU_DEP_1) | instskip(NEXT) | instid1(VALU_DEP_1)
	v_dual_sub_nc_u32 v4, v4, v34 :: v_dual_add_nc_u32 v34, 1, v35
	v_cmp_le_u32_e32 vcc_lo, s6, v4
	s_delay_alu instid0(VALU_DEP_2) | instskip(SKIP_1) | instid1(VALU_DEP_1)
	v_dual_cndmask_b32 v34, v35, v34 :: v_dual_ashrrev_i32 v35, 31, v33
	v_subrev_nc_u32_e32 v36, s6, v4
	v_dual_cndmask_b32 v4, v4, v36, vcc_lo :: v_dual_add_nc_u32 v36, 1, v34
	s_delay_alu instid0(VALU_DEP_1) | instskip(NEXT) | instid1(VALU_DEP_2)
	v_cmp_le_u32_e32 vcc_lo, s6, v4
	v_dual_cndmask_b32 v4, v34, v36, vcc_lo :: v_dual_bitop2_b32 v35, s1, v35 bitop3:0x14
	s_delay_alu instid0(VALU_DEP_1) | instskip(NEXT) | instid1(VALU_DEP_1)
	v_xor_b32_e32 v4, v4, v35
	v_sub_nc_u32_e32 v34, v4, v35
	v_mov_b32_e32 v4, v32
	s_delay_alu instid0(VALU_DEP_2) | instskip(SKIP_3) | instid1(SALU_CYCLE_1)
	v_cmp_ne_u32_e64 s0, v34, v3
	v_cmp_eq_u32_e32 vcc_lo, v34, v3
	s_wait_xcnt 0x0
	s_and_saveexec_b32 s22, s0
	s_xor_b32 s0, exec_lo, s22
; %bb.14:                               ;   in Loop: Header=BB100_13 Depth=2
	v_min_i32_e32 v31, v34, v31
                                        ; implicit-def: $vgpr33
                                        ; implicit-def: $vgpr4
; %bb.15:                               ;   in Loop: Header=BB100_13 Depth=2
	s_or_saveexec_b32 s0, s0
	v_mov_b32_e32 v32, v16
	s_xor_b32 exec_lo, exec_lo, s0
	s_cbranch_execz .LBB100_12
; %bb.16:                               ;   in Loop: Header=BB100_13 Depth=2
	global_load_b64 v[34:35], v[14:15], off
	v_sub_nc_u32_e32 v32, v33, v17
	s_delay_alu instid0(VALU_DEP_1)
	v_lshl_add_u32 v33, v32, 3, v20
	v_mov_b32_e32 v32, v4
	ds_store_b8 v18, v30 offset:2048
	s_wait_loadcnt 0x0
	ds_store_b64 v33, v[34:35]
	s_branch .LBB100_12
.LBB100_17:                             ;   in Loop: Header=BB100_10 Depth=1
	s_or_b32 exec_lo, exec_lo, s21
.LBB100_18:                             ;   in Loop: Header=BB100_10 Depth=1
	s_delay_alu instid0(SALU_CYCLE_1)
	s_or_b32 exec_lo, exec_lo, s20
	ds_bpermute_b32 v4, v21, v32
	s_wait_dscnt 0x0
	ds_load_u8 v9, v18 offset:2048
	v_min_i32_e32 v4, v4, v32
	ds_bpermute_b32 v8, v22, v4
	s_wait_dscnt 0x0
	v_min_i32_e32 v4, v8, v4
	ds_bpermute_b32 v8, v23, v4
	v_and_b32_e32 v4, 1, v9
	s_delay_alu instid0(VALU_DEP_1)
	v_cmp_eq_u32_e32 vcc_lo, 1, v4
	v_mov_b32_e32 v4, 0
	s_and_saveexec_b32 s0, vcc_lo
	s_cbranch_execz .LBB100_9
; %bb.19:                               ;   in Loop: Header=BB100_10 Depth=1
	v_add_nc_u32_e32 v3, s17, v3
	global_store_b32 v2, v3, s[2:3] scale_offset
	s_wait_xcnt 0x0
	s_and_saveexec_b32 s20, s4
	s_cbranch_execz .LBB100_8
; %bb.20:                               ;   in Loop: Header=BB100_10 Depth=1
	v_ashrrev_i32_e32 v3, 31, v2
	ds_load_b64 v[16:17], v24
	s_and_b32 vcc_lo, exec_lo, s18
	v_mul_u64_e32 v[14:15], s[14:15], v[2:3]
	s_cbranch_vccz .LBB100_22
; %bb.21:                               ;   in Loop: Header=BB100_10 Depth=1
	s_delay_alu instid0(VALU_DEP_1)
	v_lshl_add_u64 v[32:33], v[14:15], 3, v[6:7]
	s_wait_dscnt 0x0
	global_store_b64 v[32:33], v[16:17], off
	s_cbranch_execnz .LBB100_8
	s_branch .LBB100_23
.LBB100_22:                             ;   in Loop: Header=BB100_10 Depth=1
.LBB100_23:                             ;   in Loop: Header=BB100_10 Depth=1
	s_delay_alu instid0(VALU_DEP_1)
	v_lshl_add_u64 v[14:15], v[14:15], 3, v[10:11]
	s_wait_dscnt 0x0
	global_store_b64 v[14:15], v[16:17], off
	s_branch .LBB100_8
.LBB100_24:
	s_endpgm
	.section	.rodata,"a",@progbits
	.p2align	6, 0x0
	.amdhsa_kernel _ZN9rocsparseL44csr2gebsr_wavefront_per_row_multipass_kernelILi256ELi16ELi4ELi64EdEEv20rocsparse_direction_iiiiii21rocsparse_index_base_PKT3_PKiS7_S2_PS3_PiS9_
		.amdhsa_group_segment_fixed_size 2056
		.amdhsa_private_segment_fixed_size 0
		.amdhsa_kernarg_size 88
		.amdhsa_user_sgpr_count 2
		.amdhsa_user_sgpr_dispatch_ptr 0
		.amdhsa_user_sgpr_queue_ptr 0
		.amdhsa_user_sgpr_kernarg_segment_ptr 1
		.amdhsa_user_sgpr_dispatch_id 0
		.amdhsa_user_sgpr_kernarg_preload_length 0
		.amdhsa_user_sgpr_kernarg_preload_offset 0
		.amdhsa_user_sgpr_private_segment_size 0
		.amdhsa_wavefront_size32 1
		.amdhsa_uses_dynamic_stack 0
		.amdhsa_enable_private_segment 0
		.amdhsa_system_sgpr_workgroup_id_x 1
		.amdhsa_system_sgpr_workgroup_id_y 0
		.amdhsa_system_sgpr_workgroup_id_z 0
		.amdhsa_system_sgpr_workgroup_info 0
		.amdhsa_system_vgpr_workitem_id 0
		.amdhsa_next_free_vgpr 37
		.amdhsa_next_free_sgpr 23
		.amdhsa_named_barrier_count 0
		.amdhsa_reserve_vcc 1
		.amdhsa_float_round_mode_32 0
		.amdhsa_float_round_mode_16_64 0
		.amdhsa_float_denorm_mode_32 3
		.amdhsa_float_denorm_mode_16_64 3
		.amdhsa_fp16_overflow 0
		.amdhsa_memory_ordered 1
		.amdhsa_forward_progress 1
		.amdhsa_inst_pref_size 12
		.amdhsa_round_robin_scheduling 0
		.amdhsa_exception_fp_ieee_invalid_op 0
		.amdhsa_exception_fp_denorm_src 0
		.amdhsa_exception_fp_ieee_div_zero 0
		.amdhsa_exception_fp_ieee_overflow 0
		.amdhsa_exception_fp_ieee_underflow 0
		.amdhsa_exception_fp_ieee_inexact 0
		.amdhsa_exception_int_div_zero 0
	.end_amdhsa_kernel
	.section	.text._ZN9rocsparseL44csr2gebsr_wavefront_per_row_multipass_kernelILi256ELi16ELi4ELi64EdEEv20rocsparse_direction_iiiiii21rocsparse_index_base_PKT3_PKiS7_S2_PS3_PiS9_,"axG",@progbits,_ZN9rocsparseL44csr2gebsr_wavefront_per_row_multipass_kernelILi256ELi16ELi4ELi64EdEEv20rocsparse_direction_iiiiii21rocsparse_index_base_PKT3_PKiS7_S2_PS3_PiS9_,comdat
.Lfunc_end100:
	.size	_ZN9rocsparseL44csr2gebsr_wavefront_per_row_multipass_kernelILi256ELi16ELi4ELi64EdEEv20rocsparse_direction_iiiiii21rocsparse_index_base_PKT3_PKiS7_S2_PS3_PiS9_, .Lfunc_end100-_ZN9rocsparseL44csr2gebsr_wavefront_per_row_multipass_kernelILi256ELi16ELi4ELi64EdEEv20rocsparse_direction_iiiiii21rocsparse_index_base_PKT3_PKiS7_S2_PS3_PiS9_
                                        ; -- End function
	.set _ZN9rocsparseL44csr2gebsr_wavefront_per_row_multipass_kernelILi256ELi16ELi4ELi64EdEEv20rocsparse_direction_iiiiii21rocsparse_index_base_PKT3_PKiS7_S2_PS3_PiS9_.num_vgpr, 37
	.set _ZN9rocsparseL44csr2gebsr_wavefront_per_row_multipass_kernelILi256ELi16ELi4ELi64EdEEv20rocsparse_direction_iiiiii21rocsparse_index_base_PKT3_PKiS7_S2_PS3_PiS9_.num_agpr, 0
	.set _ZN9rocsparseL44csr2gebsr_wavefront_per_row_multipass_kernelILi256ELi16ELi4ELi64EdEEv20rocsparse_direction_iiiiii21rocsparse_index_base_PKT3_PKiS7_S2_PS3_PiS9_.numbered_sgpr, 23
	.set _ZN9rocsparseL44csr2gebsr_wavefront_per_row_multipass_kernelILi256ELi16ELi4ELi64EdEEv20rocsparse_direction_iiiiii21rocsparse_index_base_PKT3_PKiS7_S2_PS3_PiS9_.num_named_barrier, 0
	.set _ZN9rocsparseL44csr2gebsr_wavefront_per_row_multipass_kernelILi256ELi16ELi4ELi64EdEEv20rocsparse_direction_iiiiii21rocsparse_index_base_PKT3_PKiS7_S2_PS3_PiS9_.private_seg_size, 0
	.set _ZN9rocsparseL44csr2gebsr_wavefront_per_row_multipass_kernelILi256ELi16ELi4ELi64EdEEv20rocsparse_direction_iiiiii21rocsparse_index_base_PKT3_PKiS7_S2_PS3_PiS9_.uses_vcc, 1
	.set _ZN9rocsparseL44csr2gebsr_wavefront_per_row_multipass_kernelILi256ELi16ELi4ELi64EdEEv20rocsparse_direction_iiiiii21rocsparse_index_base_PKT3_PKiS7_S2_PS3_PiS9_.uses_flat_scratch, 0
	.set _ZN9rocsparseL44csr2gebsr_wavefront_per_row_multipass_kernelILi256ELi16ELi4ELi64EdEEv20rocsparse_direction_iiiiii21rocsparse_index_base_PKT3_PKiS7_S2_PS3_PiS9_.has_dyn_sized_stack, 0
	.set _ZN9rocsparseL44csr2gebsr_wavefront_per_row_multipass_kernelILi256ELi16ELi4ELi64EdEEv20rocsparse_direction_iiiiii21rocsparse_index_base_PKT3_PKiS7_S2_PS3_PiS9_.has_recursion, 0
	.set _ZN9rocsparseL44csr2gebsr_wavefront_per_row_multipass_kernelILi256ELi16ELi4ELi64EdEEv20rocsparse_direction_iiiiii21rocsparse_index_base_PKT3_PKiS7_S2_PS3_PiS9_.has_indirect_call, 0
	.section	.AMDGPU.csdata,"",@progbits
; Kernel info:
; codeLenInByte = 1468
; TotalNumSgprs: 25
; NumVgprs: 37
; ScratchSize: 0
; MemoryBound: 0
; FloatMode: 240
; IeeeMode: 1
; LDSByteSize: 2056 bytes/workgroup (compile time only)
; SGPRBlocks: 0
; VGPRBlocks: 2
; NumSGPRsForWavesPerEU: 25
; NumVGPRsForWavesPerEU: 37
; NamedBarCnt: 0
; Occupancy: 16
; WaveLimiterHint : 0
; COMPUTE_PGM_RSRC2:SCRATCH_EN: 0
; COMPUTE_PGM_RSRC2:USER_SGPR: 2
; COMPUTE_PGM_RSRC2:TRAP_HANDLER: 0
; COMPUTE_PGM_RSRC2:TGID_X_EN: 1
; COMPUTE_PGM_RSRC2:TGID_Y_EN: 0
; COMPUTE_PGM_RSRC2:TGID_Z_EN: 0
; COMPUTE_PGM_RSRC2:TIDIG_COMP_CNT: 0
	.section	.text._ZN9rocsparseL44csr2gebsr_wavefront_per_row_multipass_kernelILi256ELi16ELi4ELi32EdEEv20rocsparse_direction_iiiiii21rocsparse_index_base_PKT3_PKiS7_S2_PS3_PiS9_,"axG",@progbits,_ZN9rocsparseL44csr2gebsr_wavefront_per_row_multipass_kernelILi256ELi16ELi4ELi32EdEEv20rocsparse_direction_iiiiii21rocsparse_index_base_PKT3_PKiS7_S2_PS3_PiS9_,comdat
	.globl	_ZN9rocsparseL44csr2gebsr_wavefront_per_row_multipass_kernelILi256ELi16ELi4ELi32EdEEv20rocsparse_direction_iiiiii21rocsparse_index_base_PKT3_PKiS7_S2_PS3_PiS9_ ; -- Begin function _ZN9rocsparseL44csr2gebsr_wavefront_per_row_multipass_kernelILi256ELi16ELi4ELi32EdEEv20rocsparse_direction_iiiiii21rocsparse_index_base_PKT3_PKiS7_S2_PS3_PiS9_
	.p2align	8
	.type	_ZN9rocsparseL44csr2gebsr_wavefront_per_row_multipass_kernelILi256ELi16ELi4ELi32EdEEv20rocsparse_direction_iiiiii21rocsparse_index_base_PKT3_PKiS7_S2_PS3_PiS9_,@function
_ZN9rocsparseL44csr2gebsr_wavefront_per_row_multipass_kernelILi256ELi16ELi4ELi32EdEEv20rocsparse_direction_iiiiii21rocsparse_index_base_PKT3_PKiS7_S2_PS3_PiS9_: ; @_ZN9rocsparseL44csr2gebsr_wavefront_per_row_multipass_kernelILi256ELi16ELi4ELi32EdEEv20rocsparse_direction_iiiiii21rocsparse_index_base_PKT3_PKiS7_S2_PS3_PiS9_
; %bb.0:
	s_clause 0x1
	s_load_b128 s[4:7], s[0:1], 0xc
	s_load_b64 s[12:13], s[0:1], 0x0
	s_bfe_u32 s2, ttmp6, 0x4000c
	s_and_b32 s3, ttmp6, 15
	s_add_co_i32 s2, s2, 1
	s_getreg_b32 s8, hwreg(HW_REG_IB_STS2, 6, 4)
	s_mul_i32 s2, ttmp9, s2
	v_dual_lshrrev_b32 v20, 5, v0 :: v_dual_mov_b32 v2, 0
	s_add_co_i32 s3, s3, s2
	s_cmp_eq_u32 s8, 0
	v_bfe_u32 v3, v0, 1, 4
	s_cselect_b32 s2, ttmp9, s3
	s_clause 0x1
	s_load_b32 s18, s[0:1], 0x1c
	s_load_b64 s[8:9], s[0:1], 0x28
	v_lshl_or_b32 v1, s2, 3, v20
	v_mov_b32_e32 v28, 0
	s_wait_kmcnt 0x0
	s_delay_alu instid0(VALU_DEP_2) | instskip(SKIP_1) | instid1(VALU_DEP_2)
	v_mad_u32 v4, v1, s6, v3
	v_cmp_gt_i32_e32 vcc_lo, s6, v3
	v_cmp_gt_i32_e64 s2, s13, v4
	s_and_b32 s2, vcc_lo, s2
	s_delay_alu instid0(SALU_CYCLE_1)
	s_and_saveexec_b32 s3, s2
	s_cbranch_execz .LBB101_2
; %bb.1:
	global_load_b32 v5, v4, s[8:9] scale_offset
	s_wait_loadcnt 0x0
	v_subrev_nc_u32_e32 v28, s18, v5
.LBB101_2:
	s_or_b32 exec_lo, exec_lo, s3
	v_mov_b32_e32 v21, 0
	s_and_saveexec_b32 s3, s2
	s_cbranch_execz .LBB101_4
; %bb.3:
	global_load_b32 v4, v4, s[8:9] offset:4 scale_offset
	s_wait_loadcnt 0x0
	v_subrev_nc_u32_e32 v21, s18, v4
.LBB101_4:
	s_or_b32 exec_lo, exec_lo, s3
	s_load_b32 s19, s[0:1], 0x38
	s_mov_b32 s3, exec_lo
	v_cmpx_gt_i32_e64 s4, v1
	s_cbranch_execz .LBB101_6
; %bb.5:
	s_load_b64 s[8:9], s[0:1], 0x48
	s_wait_kmcnt 0x0
	global_load_b32 v1, v1, s[8:9] scale_offset
	s_wait_loadcnt 0x0
	v_subrev_nc_u32_e32 v2, s19, v1
.LBB101_6:
	s_or_b32 exec_lo, exec_lo, s3
	s_cmp_lt_i32 s5, 1
	s_cbranch_scc1 .LBB101_31
; %bb.7:
	v_mbcnt_lo_u32_b32 v10, -1, 0
	v_mul_lo_u32 v4, s7, v3
	s_clause 0x3
	s_load_b64 s[2:3], s[0:1], 0x50
	s_load_b64 s[20:21], s[0:1], 0x40
	;; [unrolled: 1-line block ×4, first 2 shown]
	s_cmp_lg_u32 s12, 0
	s_mov_b32 s13, 0
	v_xor_b32_e32 v1, 1, v10
	v_dual_lshlrev_b32 v0, 5, v3 :: v_dual_bitop2_b32 v22, 1, v0 bitop3:0x40
	v_xor_b32_e32 v11, 16, v10
	s_cselect_b32 s4, -1, 0
	s_wait_xcnt 0x0
	v_cmp_gt_i32_e64 s0, 32, v1
	s_mov_b32 s12, s6
	v_lshl_or_b32 v23, v20, 9, v0
	v_dual_ashrrev_i32 v5, 31, v4 :: v_dual_lshlrev_b32 v0, 3, v3
	v_cndmask_b32_e64 v1, v10, v1, s0
	v_cmp_gt_i32_e64 s0, 32, v11
	s_ashr_i32 s15, s7, 31
	s_mov_b32 s14, s7
	v_lshl_or_b32 v24, v10, 2, 4
	v_dual_lshlrev_b32 v25, 2, v1 :: v_dual_lshlrev_b32 v6, 3, v22
	v_mov_b32_e32 v1, 0
	s_wait_kmcnt 0x0
	v_lshl_add_u64 v[8:9], v[4:5], 3, s[20:21]
	s_mul_u64 s[16:17], s[14:15], s[12:13]
	v_dual_cndmask_b32 v3, v10, v11, s0 :: v_dual_bitop2_b32 v26, v23, v6 bitop3:0x54
	v_mov_b32_e32 v7, v1
	v_add_nc_u64_e32 v[4:5], s[20:21], v[0:1]
	s_abs_i32 s14, s7
	s_delay_alu instid0(VALU_DEP_3)
	v_dual_lshlrev_b32 v27, 2, v3 :: v_dual_bitop2_b32 v3, 4, v10 bitop3:0x14
	v_xor_b32_e32 v0, 8, v10
	s_cvt_f32_u32 s1, s14
	v_add_nc_u64_e32 v[6:7], v[8:9], v[6:7]
	v_mov_b64_e32 v[12:13], 0
	v_dual_mov_b32 v11, v1 :: v_dual_bitop2_b32 v33, -2, v22 bitop3:0x54
	v_cmp_gt_i32_e64 s0, 32, v0
	v_rcp_iflag_f32_e32 v9, s1
	v_dual_mov_b32 v34, 1 :: v_dual_mov_b32 v36, 0
	v_mov_b32_e32 v32, 0x7c
	s_delay_alu instid0(VALU_DEP_3) | instskip(SKIP_1) | instid1(VALU_DEP_2)
	v_dual_cndmask_b32 v0, v10, v0, s0 :: v_dual_bitop2_b32 v8, 2, v10 bitop3:0x14
	v_cmp_gt_i32_e64 s0, 32, v3
	v_dual_lshlrev_b32 v29, 2, v0 :: v_dual_bitop2_b32 v0, 2, v22 bitop3:0x54
	s_delay_alu instid0(VALU_DEP_2) | instskip(NEXT) | instid1(VALU_DEP_4)
	v_cndmask_b32_e64 v3, v10, v3, s0
	v_cmp_gt_i32_e64 s0, 32, v8
	s_delay_alu instid0(VALU_DEP_1)
	v_dual_lshlrev_b32 v30, 2, v3 :: v_dual_cndmask_b32 v10, v10, v8, s0
	v_mul_lo_u32 v8, v22, s6
	v_readfirstlane_b32 s0, v9
	v_mov_b32_e32 v9, v1
	v_cmp_gt_u32_e64 s1, s7, v0
	v_lshlrev_b32_e32 v31, 2, v10
	s_mul_f32 s12, s0, 0x4f7ffffe
	v_cmp_gt_u32_e64 s0, s7, v22
	s_and_b32 s1, vcc_lo, s1
	s_delay_alu instid0(SALU_CYCLE_1) | instskip(SKIP_2) | instid1(SALU_CYCLE_1)
	s_cvt_u32_f32 s12, s12
	v_lshl_add_u32 v10, s6, 1, v8
	s_sub_co_i32 s6, 0, s14
	s_mul_i32 s20, s6, s12
	s_and_b32 s6, s0, vcc_lo
	s_mul_hi_u32 s0, s12, s20
	s_mov_b32 s20, s13
	s_add_co_i32 s12, s12, s0
	s_branch .LBB101_10
.LBB101_8:                              ;   in Loop: Header=BB101_10 Depth=1
	s_wait_xcnt 0x0
	s_or_b32 exec_lo, exec_lo, s21
	v_mov_b32_e32 v0, 1
.LBB101_9:                              ;   in Loop: Header=BB101_10 Depth=1
	s_or_b32 exec_lo, exec_lo, s0
	ds_bpermute_b32 v3, v27, v35
	s_wait_storecnt_dscnt 0x0
	v_dual_add_nc_u32 v2, v0, v2 :: v_dual_min_i32 v3, v3, v35
	ds_bpermute_b32 v14, v29, v3
	s_wait_dscnt 0x0
	v_min_i32_e32 v3, v14, v3
	ds_bpermute_b32 v14, v30, v3
	s_wait_dscnt 0x0
	v_min_i32_e32 v3, v14, v3
	;; [unrolled: 3-line block ×4, first 2 shown]
	ds_bpermute_b32 v36, v32, v3
	s_wait_dscnt 0x0
	v_cmp_le_i32_e32 vcc_lo, s5, v36
	s_or_b32 s20, vcc_lo, s20
	s_delay_alu instid0(SALU_CYCLE_1)
	s_and_not1_b32 exec_lo, exec_lo, s20
	s_cbranch_execz .LBB101_31
.LBB101_10:                             ; =>This Loop Header: Depth=1
                                        ;     Child Loop BB101_11 Depth 2
                                        ;     Child Loop BB101_15 Depth 2
	v_dual_mov_b32 v0, v26 :: v_dual_mov_b32 v3, v33
	s_mov_b32 s0, 0
	ds_store_b8 v20, v1 offset:4096
.LBB101_11:                             ;   Parent Loop BB101_10 Depth=1
                                        ; =>  This Inner Loop Header: Depth=2
	v_add_co_u32 v3, s21, v3, 2
	s_xor_b32 s21, s21, -1
	ds_store_b64 v0, v[12:13]
	v_add_nc_u32_e32 v0, 16, v0
	s_and_b32 s21, exec_lo, s21
	s_delay_alu instid0(SALU_CYCLE_1) | instskip(NEXT) | instid1(SALU_CYCLE_1)
	s_or_b32 s0, s21, s0
	s_and_not1_b32 exec_lo, exec_lo, s0
	s_cbranch_execnz .LBB101_11
; %bb.12:                               ;   in Loop: Header=BB101_10 Depth=1
	s_or_b32 exec_lo, exec_lo, s0
	v_dual_mov_b32 v35, s5 :: v_dual_add_nc_u32 v14, v28, v22
	v_mov_b32_e32 v15, v21
	s_mov_b32 s21, exec_lo
	s_wait_dscnt 0x0
	s_delay_alu instid0(VALU_DEP_2)
	v_cmpx_lt_i32_e64 v14, v21
	s_cbranch_execz .LBB101_20
; %bb.13:                               ;   in Loop: Header=BB101_10 Depth=1
	v_mul_lo_u32 v3, v36, s7
	v_dual_ashrrev_i32 v15, 31, v14 :: v_dual_mov_b32 v35, s5
	s_mov_b32 s22, 0
	s_delay_alu instid0(VALU_DEP_1)
	v_lshl_add_u64 v[16:17], v[14:15], 2, s[10:11]
	v_lshl_add_u64 v[18:19], v[14:15], 3, s[8:9]
	v_mov_b32_e32 v15, v21
	s_branch .LBB101_15
.LBB101_14:                             ;   in Loop: Header=BB101_15 Depth=2
	s_wait_xcnt 0x0
	s_or_b32 exec_lo, exec_lo, s0
	v_add_nc_u32_e32 v14, 2, v14
	s_xor_b32 s23, vcc_lo, -1
	v_add_nc_u64_e32 v[16:17], 8, v[16:17]
	v_add_nc_u64_e32 v[18:19], 16, v[18:19]
	s_delay_alu instid0(VALU_DEP_3) | instskip(SKIP_1) | instid1(SALU_CYCLE_1)
	v_cmp_ge_i32_e64 s0, v14, v21
	s_or_b32 s0, s23, s0
	s_and_b32 s0, exec_lo, s0
	s_delay_alu instid0(SALU_CYCLE_1) | instskip(NEXT) | instid1(SALU_CYCLE_1)
	s_or_b32 s22, s0, s22
	s_and_not1_b32 exec_lo, exec_lo, s22
	s_cbranch_execz .LBB101_19
.LBB101_15:                             ;   Parent Loop BB101_10 Depth=1
                                        ; =>  This Inner Loop Header: Depth=2
	global_load_b32 v0, v[16:17], off
	s_wait_loadcnt 0x0
	v_subrev_nc_u32_e32 v28, s18, v0
	s_delay_alu instid0(VALU_DEP_1) | instskip(NEXT) | instid1(VALU_DEP_1)
	v_sub_nc_u32_e32 v0, 0, v28
	v_max_i32_e32 v0, v28, v0
	s_delay_alu instid0(VALU_DEP_1) | instskip(NEXT) | instid1(VALU_DEP_1)
	v_mul_u64_e32 v[38:39], s[12:13], v[0:1]
	v_mul_lo_u32 v37, v39, s14
	s_delay_alu instid0(VALU_DEP_1) | instskip(NEXT) | instid1(VALU_DEP_1)
	v_dual_sub_nc_u32 v0, v0, v37 :: v_dual_add_nc_u32 v37, 1, v39
	v_cmp_le_u32_e32 vcc_lo, s14, v0
	s_delay_alu instid0(VALU_DEP_2) | instskip(SKIP_1) | instid1(VALU_DEP_1)
	v_dual_cndmask_b32 v37, v39, v37, vcc_lo :: v_dual_ashrrev_i32 v39, 31, v28
	v_subrev_nc_u32_e32 v38, s14, v0
	v_dual_cndmask_b32 v0, v0, v38, vcc_lo :: v_dual_add_nc_u32 v38, 1, v37
	s_delay_alu instid0(VALU_DEP_1) | instskip(NEXT) | instid1(VALU_DEP_2)
	v_cmp_le_u32_e32 vcc_lo, s14, v0
	v_dual_cndmask_b32 v0, v37, v38, vcc_lo :: v_dual_bitop2_b32 v39, s15, v39 bitop3:0x14
	s_delay_alu instid0(VALU_DEP_1) | instskip(NEXT) | instid1(VALU_DEP_1)
	v_xor_b32_e32 v0, v0, v39
	v_dual_mov_b32 v0, v15 :: v_dual_sub_nc_u32 v37, v0, v39
	s_delay_alu instid0(VALU_DEP_1) | instskip(SKIP_3) | instid1(SALU_CYCLE_1)
	v_cmp_ne_u32_e64 s0, v37, v36
	v_cmp_eq_u32_e32 vcc_lo, v37, v36
	s_wait_xcnt 0x0
	s_and_saveexec_b32 s23, s0
	s_xor_b32 s0, exec_lo, s23
; %bb.16:                               ;   in Loop: Header=BB101_15 Depth=2
	v_min_i32_e32 v35, v37, v35
                                        ; implicit-def: $vgpr28
                                        ; implicit-def: $vgpr0
; %bb.17:                               ;   in Loop: Header=BB101_15 Depth=2
	s_or_saveexec_b32 s0, s0
	v_mov_b32_e32 v15, v14
	s_xor_b32 exec_lo, exec_lo, s0
	s_cbranch_execz .LBB101_14
; %bb.18:                               ;   in Loop: Header=BB101_15 Depth=2
	global_load_b64 v[38:39], v[18:19], off
	v_sub_nc_u32_e32 v15, v28, v3
	s_delay_alu instid0(VALU_DEP_1)
	v_lshl_add_u32 v28, v15, 3, v23
	v_mov_b32_e32 v15, v0
	ds_store_b8 v20, v34 offset:4096
	s_wait_loadcnt 0x0
	ds_store_b64 v28, v[38:39]
	s_branch .LBB101_14
.LBB101_19:                             ;   in Loop: Header=BB101_10 Depth=1
	s_or_b32 exec_lo, exec_lo, s22
.LBB101_20:                             ;   in Loop: Header=BB101_10 Depth=1
	s_delay_alu instid0(SALU_CYCLE_1)
	s_or_b32 exec_lo, exec_lo, s21
	ds_bpermute_b32 v0, v25, v15
	s_wait_dscnt 0x0
	ds_load_u8 v3, v20 offset:4096
	v_min_i32_e32 v0, v0, v15
	ds_bpermute_b32 v28, v24, v0
	s_wait_dscnt 0x1
	v_and_b32_e32 v0, 1, v3
	s_delay_alu instid0(VALU_DEP_1)
	v_cmp_eq_u32_e32 vcc_lo, 1, v0
	v_mov_b32_e32 v0, 0
	s_and_saveexec_b32 s0, vcc_lo
	s_cbranch_execz .LBB101_9
; %bb.21:                               ;   in Loop: Header=BB101_10 Depth=1
	v_dual_ashrrev_i32 v3, 31, v2 :: v_dual_add_nc_u32 v0, s19, v36
	s_delay_alu instid0(VALU_DEP_1) | instskip(SKIP_2) | instid1(VALU_DEP_1)
	v_mul_u64_e32 v[14:15], s[16:17], v[2:3]
	global_store_b32 v2, v0, s[2:3] scale_offset
	v_lshlrev_b64_e32 v[14:15], 3, v[14:15]
	v_add_nc_u64_e32 v[16:17], v[4:5], v[14:15]
	v_add_nc_u64_e32 v[14:15], v[6:7], v[14:15]
	s_wait_xcnt 0x0
	s_and_saveexec_b32 s21, s6
	s_cbranch_execz .LBB101_25
; %bb.22:                               ;   in Loop: Header=BB101_10 Depth=1
	ds_load_b64 v[18:19], v26
	s_and_b32 vcc_lo, exec_lo, s4
	s_cbranch_vccz .LBB101_28
; %bb.23:                               ;   in Loop: Header=BB101_10 Depth=1
	v_lshl_add_u64 v[36:37], v[8:9], 3, v[16:17]
	s_wait_dscnt 0x0
	global_store_b64 v[36:37], v[18:19], off
	s_cbranch_execnz .LBB101_25
.LBB101_24:                             ;   in Loop: Header=BB101_10 Depth=1
	s_wait_dscnt 0x0
	global_store_b64 v[14:15], v[18:19], off
.LBB101_25:                             ;   in Loop: Header=BB101_10 Depth=1
	s_wait_xcnt 0x0
	s_or_b32 exec_lo, exec_lo, s21
	s_and_saveexec_b32 s21, s1
	s_cbranch_execz .LBB101_8
; %bb.26:                               ;   in Loop: Header=BB101_10 Depth=1
	s_and_not1_b32 vcc_lo, exec_lo, s4
	s_cbranch_vccnz .LBB101_29
; %bb.27:                               ;   in Loop: Header=BB101_10 Depth=1
	s_wait_dscnt 0x0
	ds_load_b64 v[18:19], v26 offset:16
	v_lshl_add_u64 v[16:17], v[10:11], 3, v[16:17]
	s_wait_dscnt 0x0
	global_store_b64 v[16:17], v[18:19], off
	s_cbranch_execnz .LBB101_8
	s_branch .LBB101_30
.LBB101_28:                             ;   in Loop: Header=BB101_10 Depth=1
	s_branch .LBB101_24
.LBB101_29:                             ;   in Loop: Header=BB101_10 Depth=1
.LBB101_30:                             ;   in Loop: Header=BB101_10 Depth=1
	s_wait_xcnt 0x0
	ds_load_b64 v[16:17], v26 offset:16
	s_wait_dscnt 0x0
	global_store_b64 v[14:15], v[16:17], off offset:16
	s_branch .LBB101_8
.LBB101_31:
	s_endpgm
	.section	.rodata,"a",@progbits
	.p2align	6, 0x0
	.amdhsa_kernel _ZN9rocsparseL44csr2gebsr_wavefront_per_row_multipass_kernelILi256ELi16ELi4ELi32EdEEv20rocsparse_direction_iiiiii21rocsparse_index_base_PKT3_PKiS7_S2_PS3_PiS9_
		.amdhsa_group_segment_fixed_size 4104
		.amdhsa_private_segment_fixed_size 0
		.amdhsa_kernarg_size 88
		.amdhsa_user_sgpr_count 2
		.amdhsa_user_sgpr_dispatch_ptr 0
		.amdhsa_user_sgpr_queue_ptr 0
		.amdhsa_user_sgpr_kernarg_segment_ptr 1
		.amdhsa_user_sgpr_dispatch_id 0
		.amdhsa_user_sgpr_kernarg_preload_length 0
		.amdhsa_user_sgpr_kernarg_preload_offset 0
		.amdhsa_user_sgpr_private_segment_size 0
		.amdhsa_wavefront_size32 1
		.amdhsa_uses_dynamic_stack 0
		.amdhsa_enable_private_segment 0
		.amdhsa_system_sgpr_workgroup_id_x 1
		.amdhsa_system_sgpr_workgroup_id_y 0
		.amdhsa_system_sgpr_workgroup_id_z 0
		.amdhsa_system_sgpr_workgroup_info 0
		.amdhsa_system_vgpr_workitem_id 0
		.amdhsa_next_free_vgpr 40
		.amdhsa_next_free_sgpr 24
		.amdhsa_named_barrier_count 0
		.amdhsa_reserve_vcc 1
		.amdhsa_float_round_mode_32 0
		.amdhsa_float_round_mode_16_64 0
		.amdhsa_float_denorm_mode_32 3
		.amdhsa_float_denorm_mode_16_64 3
		.amdhsa_fp16_overflow 0
		.amdhsa_memory_ordered 1
		.amdhsa_forward_progress 1
		.amdhsa_inst_pref_size 13
		.amdhsa_round_robin_scheduling 0
		.amdhsa_exception_fp_ieee_invalid_op 0
		.amdhsa_exception_fp_denorm_src 0
		.amdhsa_exception_fp_ieee_div_zero 0
		.amdhsa_exception_fp_ieee_overflow 0
		.amdhsa_exception_fp_ieee_underflow 0
		.amdhsa_exception_fp_ieee_inexact 0
		.amdhsa_exception_int_div_zero 0
	.end_amdhsa_kernel
	.section	.text._ZN9rocsparseL44csr2gebsr_wavefront_per_row_multipass_kernelILi256ELi16ELi4ELi32EdEEv20rocsparse_direction_iiiiii21rocsparse_index_base_PKT3_PKiS7_S2_PS3_PiS9_,"axG",@progbits,_ZN9rocsparseL44csr2gebsr_wavefront_per_row_multipass_kernelILi256ELi16ELi4ELi32EdEEv20rocsparse_direction_iiiiii21rocsparse_index_base_PKT3_PKiS7_S2_PS3_PiS9_,comdat
.Lfunc_end101:
	.size	_ZN9rocsparseL44csr2gebsr_wavefront_per_row_multipass_kernelILi256ELi16ELi4ELi32EdEEv20rocsparse_direction_iiiiii21rocsparse_index_base_PKT3_PKiS7_S2_PS3_PiS9_, .Lfunc_end101-_ZN9rocsparseL44csr2gebsr_wavefront_per_row_multipass_kernelILi256ELi16ELi4ELi32EdEEv20rocsparse_direction_iiiiii21rocsparse_index_base_PKT3_PKiS7_S2_PS3_PiS9_
                                        ; -- End function
	.set _ZN9rocsparseL44csr2gebsr_wavefront_per_row_multipass_kernelILi256ELi16ELi4ELi32EdEEv20rocsparse_direction_iiiiii21rocsparse_index_base_PKT3_PKiS7_S2_PS3_PiS9_.num_vgpr, 40
	.set _ZN9rocsparseL44csr2gebsr_wavefront_per_row_multipass_kernelILi256ELi16ELi4ELi32EdEEv20rocsparse_direction_iiiiii21rocsparse_index_base_PKT3_PKiS7_S2_PS3_PiS9_.num_agpr, 0
	.set _ZN9rocsparseL44csr2gebsr_wavefront_per_row_multipass_kernelILi256ELi16ELi4ELi32EdEEv20rocsparse_direction_iiiiii21rocsparse_index_base_PKT3_PKiS7_S2_PS3_PiS9_.numbered_sgpr, 24
	.set _ZN9rocsparseL44csr2gebsr_wavefront_per_row_multipass_kernelILi256ELi16ELi4ELi32EdEEv20rocsparse_direction_iiiiii21rocsparse_index_base_PKT3_PKiS7_S2_PS3_PiS9_.num_named_barrier, 0
	.set _ZN9rocsparseL44csr2gebsr_wavefront_per_row_multipass_kernelILi256ELi16ELi4ELi32EdEEv20rocsparse_direction_iiiiii21rocsparse_index_base_PKT3_PKiS7_S2_PS3_PiS9_.private_seg_size, 0
	.set _ZN9rocsparseL44csr2gebsr_wavefront_per_row_multipass_kernelILi256ELi16ELi4ELi32EdEEv20rocsparse_direction_iiiiii21rocsparse_index_base_PKT3_PKiS7_S2_PS3_PiS9_.uses_vcc, 1
	.set _ZN9rocsparseL44csr2gebsr_wavefront_per_row_multipass_kernelILi256ELi16ELi4ELi32EdEEv20rocsparse_direction_iiiiii21rocsparse_index_base_PKT3_PKiS7_S2_PS3_PiS9_.uses_flat_scratch, 0
	.set _ZN9rocsparseL44csr2gebsr_wavefront_per_row_multipass_kernelILi256ELi16ELi4ELi32EdEEv20rocsparse_direction_iiiiii21rocsparse_index_base_PKT3_PKiS7_S2_PS3_PiS9_.has_dyn_sized_stack, 0
	.set _ZN9rocsparseL44csr2gebsr_wavefront_per_row_multipass_kernelILi256ELi16ELi4ELi32EdEEv20rocsparse_direction_iiiiii21rocsparse_index_base_PKT3_PKiS7_S2_PS3_PiS9_.has_recursion, 0
	.set _ZN9rocsparseL44csr2gebsr_wavefront_per_row_multipass_kernelILi256ELi16ELi4ELi32EdEEv20rocsparse_direction_iiiiii21rocsparse_index_base_PKT3_PKiS7_S2_PS3_PiS9_.has_indirect_call, 0
	.section	.AMDGPU.csdata,"",@progbits
; Kernel info:
; codeLenInByte = 1616
; TotalNumSgprs: 26
; NumVgprs: 40
; ScratchSize: 0
; MemoryBound: 0
; FloatMode: 240
; IeeeMode: 1
; LDSByteSize: 4104 bytes/workgroup (compile time only)
; SGPRBlocks: 0
; VGPRBlocks: 2
; NumSGPRsForWavesPerEU: 26
; NumVGPRsForWavesPerEU: 40
; NamedBarCnt: 0
; Occupancy: 16
; WaveLimiterHint : 0
; COMPUTE_PGM_RSRC2:SCRATCH_EN: 0
; COMPUTE_PGM_RSRC2:USER_SGPR: 2
; COMPUTE_PGM_RSRC2:TRAP_HANDLER: 0
; COMPUTE_PGM_RSRC2:TGID_X_EN: 1
; COMPUTE_PGM_RSRC2:TGID_Y_EN: 0
; COMPUTE_PGM_RSRC2:TGID_Z_EN: 0
; COMPUTE_PGM_RSRC2:TIDIG_COMP_CNT: 0
	.section	.text._ZN9rocsparseL44csr2gebsr_wavefront_per_row_multipass_kernelILi256ELi16ELi8ELi64EdEEv20rocsparse_direction_iiiiii21rocsparse_index_base_PKT3_PKiS7_S2_PS3_PiS9_,"axG",@progbits,_ZN9rocsparseL44csr2gebsr_wavefront_per_row_multipass_kernelILi256ELi16ELi8ELi64EdEEv20rocsparse_direction_iiiiii21rocsparse_index_base_PKT3_PKiS7_S2_PS3_PiS9_,comdat
	.globl	_ZN9rocsparseL44csr2gebsr_wavefront_per_row_multipass_kernelILi256ELi16ELi8ELi64EdEEv20rocsparse_direction_iiiiii21rocsparse_index_base_PKT3_PKiS7_S2_PS3_PiS9_ ; -- Begin function _ZN9rocsparseL44csr2gebsr_wavefront_per_row_multipass_kernelILi256ELi16ELi8ELi64EdEEv20rocsparse_direction_iiiiii21rocsparse_index_base_PKT3_PKiS7_S2_PS3_PiS9_
	.p2align	8
	.type	_ZN9rocsparseL44csr2gebsr_wavefront_per_row_multipass_kernelILi256ELi16ELi8ELi64EdEEv20rocsparse_direction_iiiiii21rocsparse_index_base_PKT3_PKiS7_S2_PS3_PiS9_,@function
_ZN9rocsparseL44csr2gebsr_wavefront_per_row_multipass_kernelILi256ELi16ELi8ELi64EdEEv20rocsparse_direction_iiiiii21rocsparse_index_base_PKT3_PKiS7_S2_PS3_PiS9_: ; @_ZN9rocsparseL44csr2gebsr_wavefront_per_row_multipass_kernelILi256ELi16ELi8ELi64EdEEv20rocsparse_direction_iiiiii21rocsparse_index_base_PKT3_PKiS7_S2_PS3_PiS9_
; %bb.0:
	s_clause 0x1
	s_load_b128 s[4:7], s[0:1], 0xc
	s_load_b64 s[12:13], s[0:1], 0x0
	s_bfe_u32 s2, ttmp6, 0x4000c
	s_and_b32 s3, ttmp6, 15
	s_add_co_i32 s2, s2, 1
	s_getreg_b32 s8, hwreg(HW_REG_IB_STS2, 6, 4)
	s_mul_i32 s2, ttmp9, s2
	v_dual_lshrrev_b32 v20, 6, v0 :: v_dual_mov_b32 v2, 0
	s_add_co_i32 s3, s3, s2
	s_cmp_eq_u32 s8, 0
	v_bfe_u32 v3, v0, 2, 4
	s_cselect_b32 s2, ttmp9, s3
	s_clause 0x1
	s_load_b32 s18, s[0:1], 0x1c
	s_load_b64 s[8:9], s[0:1], 0x28
	v_lshl_or_b32 v1, s2, 2, v20
	v_mov_b32_e32 v29, 0
	s_wait_kmcnt 0x0
	s_delay_alu instid0(VALU_DEP_2) | instskip(SKIP_1) | instid1(VALU_DEP_2)
	v_mad_u32 v4, v1, s6, v3
	v_cmp_gt_i32_e32 vcc_lo, s6, v3
	v_cmp_gt_i32_e64 s2, s13, v4
	s_and_b32 s2, vcc_lo, s2
	s_delay_alu instid0(SALU_CYCLE_1)
	s_and_saveexec_b32 s3, s2
	s_cbranch_execz .LBB102_2
; %bb.1:
	global_load_b32 v5, v4, s[8:9] scale_offset
	s_wait_loadcnt 0x0
	v_subrev_nc_u32_e32 v29, s18, v5
.LBB102_2:
	s_or_b32 exec_lo, exec_lo, s3
	v_mov_b32_e32 v21, 0
	s_and_saveexec_b32 s3, s2
	s_cbranch_execz .LBB102_4
; %bb.3:
	global_load_b32 v4, v4, s[8:9] offset:4 scale_offset
	s_wait_loadcnt 0x0
	v_subrev_nc_u32_e32 v21, s18, v4
.LBB102_4:
	s_or_b32 exec_lo, exec_lo, s3
	s_load_b32 s19, s[0:1], 0x38
	s_mov_b32 s3, exec_lo
	v_cmpx_gt_i32_e64 s4, v1
	s_cbranch_execz .LBB102_6
; %bb.5:
	s_load_b64 s[8:9], s[0:1], 0x48
	s_wait_kmcnt 0x0
	global_load_b32 v1, v1, s[8:9] scale_offset
	s_wait_loadcnt 0x0
	v_subrev_nc_u32_e32 v2, s19, v1
.LBB102_6:
	s_or_b32 exec_lo, exec_lo, s3
	s_cmp_lt_i32 s5, 1
	s_cbranch_scc1 .LBB102_31
; %bb.7:
	v_mbcnt_lo_u32_b32 v10, -1, 0
	s_clause 0x3
	s_load_b64 s[2:3], s[0:1], 0x50
	s_load_b64 s[20:21], s[0:1], 0x40
	s_load_b64 s[8:9], s[0:1], 0x20
	s_load_b64 s[10:11], s[0:1], 0x30
	v_and_b32_e32 v22, 3, v0
	s_cmp_lg_u32 s12, 0
	s_mov_b32 s13, 0
	v_dual_lshlrev_b32 v0, 6, v3 :: v_dual_bitop2_b32 v1, 2, v10 bitop3:0x14
	s_cselect_b32 s4, -1, 0
	s_mov_b32 s12, s6
	s_ashr_i32 s15, s7, 31
	s_wait_xcnt 0x0
	v_cmp_gt_i32_e64 s0, 32, v1
	v_xor_b32_e32 v4, 1, v10
	v_lshl_or_b32 v23, v20, 10, v0
	s_mov_b32 s14, s7
	v_lshl_or_b32 v26, v10, 2, 12
	v_cndmask_b32_e64 v1, v10, v1, s0
	v_cmp_gt_i32_e64 s0, 32, v4
	s_mul_u64 s[16:17], s[14:15], s[12:13]
	s_abs_i32 s14, s7
	v_mov_b64_e32 v[12:13], 0
	v_dual_lshlrev_b32 v24, 2, v1 :: v_dual_cndmask_b32 v5, v10, v4, s0
	v_lshlrev_b32_e32 v6, 3, v22
	v_mul_lo_u32 v4, s7, v3
	v_dual_mov_b32 v1, 0 :: v_dual_bitop2_b32 v11, 32, v10 bitop3:0x54
	s_delay_alu instid0(VALU_DEP_4) | instskip(SKIP_1) | instid1(VALU_DEP_2)
	v_dual_lshlrev_b32 v25, 2, v5 :: v_dual_lshlrev_b32 v0, 3, v3
	s_cvt_f32_u32 s1, s14
	v_mov_b32_e32 v7, v1
	s_delay_alu instid0(VALU_DEP_3) | instskip(SKIP_3) | instid1(VALU_DEP_4)
	v_cmp_gt_i32_e64 s0, 32, v11
	v_or_b32_e32 v27, v23, v6
	v_bfrev_b32_e32 v33, 0.5
	v_dual_ashrrev_i32 v5, 31, v4 :: v_dual_bitop2_b32 v34, -4, v22 bitop3:0x54
	v_dual_cndmask_b32 v3, v10, v11, s0 :: v_dual_mov_b32 v11, v1
	v_dual_mov_b32 v35, 1 :: v_dual_mov_b32 v37, 0
	s_wait_kmcnt 0x0
	s_delay_alu instid0(VALU_DEP_3) | instskip(SKIP_2) | instid1(VALU_DEP_3)
	v_lshl_add_u64 v[8:9], v[4:5], 3, s[20:21]
	v_add_nc_u64_e32 v[4:5], s[20:21], v[0:1]
	v_dual_lshlrev_b32 v28, 2, v3 :: v_dual_bitop2_b32 v0, 16, v10 bitop3:0x14
	v_add_nc_u64_e32 v[6:7], v[8:9], v[6:7]
	v_rcp_iflag_f32_e32 v9, s1
	s_delay_alu instid0(VALU_DEP_2) | instskip(NEXT) | instid1(VALU_DEP_1)
	v_cmp_gt_i32_e64 s0, 32, v0
	v_dual_cndmask_b32 v0, v10, v0, s0 :: v_dual_bitop2_b32 v3, 8, v10 bitop3:0x14
	s_delay_alu instid0(VALU_DEP_1) | instskip(NEXT) | instid1(VALU_DEP_1)
	v_cmp_gt_i32_e64 s0, 32, v3
	v_dual_cndmask_b32 v3, v10, v3, s0 :: v_dual_bitop2_b32 v8, 4, v10 bitop3:0x14
	s_delay_alu instid0(VALU_DEP_1) | instskip(NEXT) | instid1(VALU_DEP_1)
	v_cmp_gt_i32_e64 s0, 32, v8
	v_dual_lshlrev_b32 v31, 2, v3 :: v_dual_cndmask_b32 v10, v10, v8, s0
	v_mul_lo_u32 v8, v22, s6
	v_readfirstlane_b32 s0, v9
	v_dual_lshlrev_b32 v30, 2, v0 :: v_dual_bitop2_b32 v0, 4, v22 bitop3:0x54
	s_delay_alu instid0(VALU_DEP_4) | instskip(SKIP_2) | instid1(VALU_DEP_3)
	v_dual_mov_b32 v9, v1 :: v_dual_lshlrev_b32 v32, 2, v10
	s_mul_f32 s12, s0, 0x4f7ffffe
	v_cmp_gt_u32_e64 s0, s7, v22
	v_cmp_gt_u32_e64 s1, s7, v0
	s_delay_alu instid0(SALU_CYCLE_1)
	s_cvt_u32_f32 s12, s12
	v_lshl_add_u32 v10, s6, 2, v8
	s_sub_co_i32 s6, 0, s14
	s_and_b32 s1, vcc_lo, s1
	s_mul_i32 s20, s6, s12
	s_and_b32 s6, s0, vcc_lo
	s_mul_hi_u32 s0, s12, s20
	s_mov_b32 s20, s13
	s_add_co_i32 s12, s12, s0
	s_branch .LBB102_10
.LBB102_8:                              ;   in Loop: Header=BB102_10 Depth=1
	s_wait_xcnt 0x0
	s_or_b32 exec_lo, exec_lo, s21
	v_mov_b32_e32 v0, 1
.LBB102_9:                              ;   in Loop: Header=BB102_10 Depth=1
	s_or_b32 exec_lo, exec_lo, s0
	ds_bpermute_b32 v3, v28, v36
	s_wait_storecnt_dscnt 0x0
	v_dual_add_nc_u32 v2, v0, v2 :: v_dual_min_i32 v3, v3, v36
	ds_bpermute_b32 v14, v30, v3
	s_wait_dscnt 0x0
	v_min_i32_e32 v3, v14, v3
	ds_bpermute_b32 v14, v31, v3
	s_wait_dscnt 0x0
	v_min_i32_e32 v3, v14, v3
	;; [unrolled: 3-line block ×5, first 2 shown]
	ds_bpermute_b32 v37, v33, v3
	s_wait_dscnt 0x0
	v_cmp_le_i32_e32 vcc_lo, s5, v37
	s_or_b32 s20, vcc_lo, s20
	s_delay_alu instid0(SALU_CYCLE_1)
	s_and_not1_b32 exec_lo, exec_lo, s20
	s_cbranch_execz .LBB102_31
.LBB102_10:                             ; =>This Loop Header: Depth=1
                                        ;     Child Loop BB102_11 Depth 2
                                        ;     Child Loop BB102_15 Depth 2
	v_dual_mov_b32 v0, v27 :: v_dual_mov_b32 v3, v34
	s_mov_b32 s0, 0
	ds_store_b8 v20, v1 offset:4096
.LBB102_11:                             ;   Parent Loop BB102_10 Depth=1
                                        ; =>  This Inner Loop Header: Depth=2
	v_add_co_u32 v3, s21, v3, 4
	s_xor_b32 s21, s21, -1
	ds_store_b64 v0, v[12:13]
	v_add_nc_u32_e32 v0, 32, v0
	s_and_b32 s21, exec_lo, s21
	s_delay_alu instid0(SALU_CYCLE_1) | instskip(NEXT) | instid1(SALU_CYCLE_1)
	s_or_b32 s0, s21, s0
	s_and_not1_b32 exec_lo, exec_lo, s0
	s_cbranch_execnz .LBB102_11
; %bb.12:                               ;   in Loop: Header=BB102_10 Depth=1
	s_or_b32 exec_lo, exec_lo, s0
	v_dual_add_nc_u32 v14, v29, v22 :: v_dual_mov_b32 v36, s5
	v_mov_b32_e32 v15, v21
	s_mov_b32 s21, exec_lo
	s_wait_dscnt 0x0
	s_delay_alu instid0(VALU_DEP_2)
	v_cmpx_lt_i32_e64 v14, v21
	s_cbranch_execz .LBB102_20
; %bb.13:                               ;   in Loop: Header=BB102_10 Depth=1
	v_mul_lo_u32 v3, v37, s7
	v_dual_mov_b32 v36, s5 :: v_dual_ashrrev_i32 v15, 31, v14
	s_mov_b32 s22, 0
	s_delay_alu instid0(VALU_DEP_1)
	v_lshl_add_u64 v[16:17], v[14:15], 2, s[10:11]
	v_lshl_add_u64 v[18:19], v[14:15], 3, s[8:9]
	v_mov_b32_e32 v15, v21
	s_branch .LBB102_15
.LBB102_14:                             ;   in Loop: Header=BB102_15 Depth=2
	s_wait_xcnt 0x0
	s_or_b32 exec_lo, exec_lo, s0
	v_add_nc_u32_e32 v14, 4, v14
	s_xor_b32 s23, vcc_lo, -1
	v_add_nc_u64_e32 v[16:17], 16, v[16:17]
	v_add_nc_u64_e32 v[18:19], 32, v[18:19]
	s_delay_alu instid0(VALU_DEP_3) | instskip(SKIP_1) | instid1(SALU_CYCLE_1)
	v_cmp_ge_i32_e64 s0, v14, v21
	s_or_b32 s0, s23, s0
	s_and_b32 s0, exec_lo, s0
	s_delay_alu instid0(SALU_CYCLE_1) | instskip(NEXT) | instid1(SALU_CYCLE_1)
	s_or_b32 s22, s0, s22
	s_and_not1_b32 exec_lo, exec_lo, s22
	s_cbranch_execz .LBB102_19
.LBB102_15:                             ;   Parent Loop BB102_10 Depth=1
                                        ; =>  This Inner Loop Header: Depth=2
	global_load_b32 v0, v[16:17], off
	s_wait_loadcnt 0x0
	v_subrev_nc_u32_e32 v29, s18, v0
	s_delay_alu instid0(VALU_DEP_1) | instskip(NEXT) | instid1(VALU_DEP_1)
	v_sub_nc_u32_e32 v0, 0, v29
	v_max_i32_e32 v0, v29, v0
	s_delay_alu instid0(VALU_DEP_1) | instskip(NEXT) | instid1(VALU_DEP_1)
	v_mul_u64_e32 v[38:39], s[12:13], v[0:1]
	v_mul_lo_u32 v38, v39, s14
	s_delay_alu instid0(VALU_DEP_1) | instskip(NEXT) | instid1(VALU_DEP_1)
	v_dual_sub_nc_u32 v0, v0, v38 :: v_dual_add_nc_u32 v38, 1, v39
	v_cmp_le_u32_e32 vcc_lo, s14, v0
	s_delay_alu instid0(VALU_DEP_2) | instskip(SKIP_1) | instid1(VALU_DEP_1)
	v_dual_cndmask_b32 v38, v39, v38 :: v_dual_ashrrev_i32 v39, 31, v29
	v_subrev_nc_u32_e32 v40, s14, v0
	v_dual_cndmask_b32 v0, v0, v40, vcc_lo :: v_dual_add_nc_u32 v40, 1, v38
	s_delay_alu instid0(VALU_DEP_1) | instskip(NEXT) | instid1(VALU_DEP_2)
	v_cmp_le_u32_e32 vcc_lo, s14, v0
	v_dual_cndmask_b32 v0, v38, v40, vcc_lo :: v_dual_bitop2_b32 v39, s15, v39 bitop3:0x14
	s_delay_alu instid0(VALU_DEP_1) | instskip(NEXT) | instid1(VALU_DEP_1)
	v_xor_b32_e32 v0, v0, v39
	v_dual_sub_nc_u32 v38, v0, v39 :: v_dual_mov_b32 v0, v15
	s_delay_alu instid0(VALU_DEP_1) | instskip(SKIP_3) | instid1(SALU_CYCLE_1)
	v_cmp_ne_u32_e64 s0, v38, v37
	v_cmp_eq_u32_e32 vcc_lo, v38, v37
	s_wait_xcnt 0x0
	s_and_saveexec_b32 s23, s0
	s_xor_b32 s0, exec_lo, s23
; %bb.16:                               ;   in Loop: Header=BB102_15 Depth=2
	v_min_i32_e32 v36, v38, v36
                                        ; implicit-def: $vgpr29
                                        ; implicit-def: $vgpr0
; %bb.17:                               ;   in Loop: Header=BB102_15 Depth=2
	s_or_saveexec_b32 s0, s0
	v_mov_b32_e32 v15, v14
	s_xor_b32 exec_lo, exec_lo, s0
	s_cbranch_execz .LBB102_14
; %bb.18:                               ;   in Loop: Header=BB102_15 Depth=2
	global_load_b64 v[38:39], v[18:19], off
	v_sub_nc_u32_e32 v15, v29, v3
	s_delay_alu instid0(VALU_DEP_1)
	v_lshl_add_u32 v29, v15, 3, v23
	v_mov_b32_e32 v15, v0
	ds_store_b8 v20, v35 offset:4096
	s_wait_loadcnt 0x0
	ds_store_b64 v29, v[38:39]
	s_branch .LBB102_14
.LBB102_19:                             ;   in Loop: Header=BB102_10 Depth=1
	s_or_b32 exec_lo, exec_lo, s22
.LBB102_20:                             ;   in Loop: Header=BB102_10 Depth=1
	s_delay_alu instid0(SALU_CYCLE_1)
	s_or_b32 exec_lo, exec_lo, s21
	ds_bpermute_b32 v0, v24, v15
	s_wait_dscnt 0x0
	ds_load_u8 v14, v20 offset:4096
	v_min_i32_e32 v0, v0, v15
	ds_bpermute_b32 v3, v25, v0
	s_wait_dscnt 0x0
	v_min_i32_e32 v0, v3, v0
	ds_bpermute_b32 v29, v26, v0
	v_and_b32_e32 v0, 1, v14
	s_delay_alu instid0(VALU_DEP_1)
	v_cmp_eq_u32_e32 vcc_lo, 1, v0
	v_mov_b32_e32 v0, 0
	s_and_saveexec_b32 s0, vcc_lo
	s_cbranch_execz .LBB102_9
; %bb.21:                               ;   in Loop: Header=BB102_10 Depth=1
	v_dual_ashrrev_i32 v3, 31, v2 :: v_dual_add_nc_u32 v0, s19, v37
	s_delay_alu instid0(VALU_DEP_1) | instskip(SKIP_2) | instid1(VALU_DEP_1)
	v_mul_u64_e32 v[14:15], s[16:17], v[2:3]
	global_store_b32 v2, v0, s[2:3] scale_offset
	v_lshlrev_b64_e32 v[14:15], 3, v[14:15]
	v_add_nc_u64_e32 v[16:17], v[4:5], v[14:15]
	v_add_nc_u64_e32 v[14:15], v[6:7], v[14:15]
	s_wait_xcnt 0x0
	s_and_saveexec_b32 s21, s6
	s_cbranch_execz .LBB102_25
; %bb.22:                               ;   in Loop: Header=BB102_10 Depth=1
	ds_load_b64 v[18:19], v27
	s_and_b32 vcc_lo, exec_lo, s4
	s_cbranch_vccz .LBB102_28
; %bb.23:                               ;   in Loop: Header=BB102_10 Depth=1
	v_lshl_add_u64 v[38:39], v[8:9], 3, v[16:17]
	s_wait_dscnt 0x0
	global_store_b64 v[38:39], v[18:19], off
	s_cbranch_execnz .LBB102_25
.LBB102_24:                             ;   in Loop: Header=BB102_10 Depth=1
	s_wait_dscnt 0x0
	global_store_b64 v[14:15], v[18:19], off
.LBB102_25:                             ;   in Loop: Header=BB102_10 Depth=1
	s_wait_xcnt 0x0
	s_or_b32 exec_lo, exec_lo, s21
	s_and_saveexec_b32 s21, s1
	s_cbranch_execz .LBB102_8
; %bb.26:                               ;   in Loop: Header=BB102_10 Depth=1
	s_and_not1_b32 vcc_lo, exec_lo, s4
	s_cbranch_vccnz .LBB102_29
; %bb.27:                               ;   in Loop: Header=BB102_10 Depth=1
	s_wait_dscnt 0x0
	ds_load_b64 v[18:19], v27 offset:32
	v_lshl_add_u64 v[16:17], v[10:11], 3, v[16:17]
	s_wait_dscnt 0x0
	global_store_b64 v[16:17], v[18:19], off
	s_cbranch_execnz .LBB102_8
	s_branch .LBB102_30
.LBB102_28:                             ;   in Loop: Header=BB102_10 Depth=1
	s_branch .LBB102_24
.LBB102_29:                             ;   in Loop: Header=BB102_10 Depth=1
.LBB102_30:                             ;   in Loop: Header=BB102_10 Depth=1
	s_wait_xcnt 0x0
	ds_load_b64 v[16:17], v27 offset:32
	s_wait_dscnt 0x0
	global_store_b64 v[14:15], v[16:17], off offset:32
	s_branch .LBB102_8
.LBB102_31:
	s_endpgm
	.section	.rodata,"a",@progbits
	.p2align	6, 0x0
	.amdhsa_kernel _ZN9rocsparseL44csr2gebsr_wavefront_per_row_multipass_kernelILi256ELi16ELi8ELi64EdEEv20rocsparse_direction_iiiiii21rocsparse_index_base_PKT3_PKiS7_S2_PS3_PiS9_
		.amdhsa_group_segment_fixed_size 4104
		.amdhsa_private_segment_fixed_size 0
		.amdhsa_kernarg_size 88
		.amdhsa_user_sgpr_count 2
		.amdhsa_user_sgpr_dispatch_ptr 0
		.amdhsa_user_sgpr_queue_ptr 0
		.amdhsa_user_sgpr_kernarg_segment_ptr 1
		.amdhsa_user_sgpr_dispatch_id 0
		.amdhsa_user_sgpr_kernarg_preload_length 0
		.amdhsa_user_sgpr_kernarg_preload_offset 0
		.amdhsa_user_sgpr_private_segment_size 0
		.amdhsa_wavefront_size32 1
		.amdhsa_uses_dynamic_stack 0
		.amdhsa_enable_private_segment 0
		.amdhsa_system_sgpr_workgroup_id_x 1
		.amdhsa_system_sgpr_workgroup_id_y 0
		.amdhsa_system_sgpr_workgroup_id_z 0
		.amdhsa_system_sgpr_workgroup_info 0
		.amdhsa_system_vgpr_workitem_id 0
		.amdhsa_next_free_vgpr 41
		.amdhsa_next_free_sgpr 24
		.amdhsa_named_barrier_count 0
		.amdhsa_reserve_vcc 1
		.amdhsa_float_round_mode_32 0
		.amdhsa_float_round_mode_16_64 0
		.amdhsa_float_denorm_mode_32 3
		.amdhsa_float_denorm_mode_16_64 3
		.amdhsa_fp16_overflow 0
		.amdhsa_memory_ordered 1
		.amdhsa_forward_progress 1
		.amdhsa_inst_pref_size 14
		.amdhsa_round_robin_scheduling 0
		.amdhsa_exception_fp_ieee_invalid_op 0
		.amdhsa_exception_fp_denorm_src 0
		.amdhsa_exception_fp_ieee_div_zero 0
		.amdhsa_exception_fp_ieee_overflow 0
		.amdhsa_exception_fp_ieee_underflow 0
		.amdhsa_exception_fp_ieee_inexact 0
		.amdhsa_exception_int_div_zero 0
	.end_amdhsa_kernel
	.section	.text._ZN9rocsparseL44csr2gebsr_wavefront_per_row_multipass_kernelILi256ELi16ELi8ELi64EdEEv20rocsparse_direction_iiiiii21rocsparse_index_base_PKT3_PKiS7_S2_PS3_PiS9_,"axG",@progbits,_ZN9rocsparseL44csr2gebsr_wavefront_per_row_multipass_kernelILi256ELi16ELi8ELi64EdEEv20rocsparse_direction_iiiiii21rocsparse_index_base_PKT3_PKiS7_S2_PS3_PiS9_,comdat
.Lfunc_end102:
	.size	_ZN9rocsparseL44csr2gebsr_wavefront_per_row_multipass_kernelILi256ELi16ELi8ELi64EdEEv20rocsparse_direction_iiiiii21rocsparse_index_base_PKT3_PKiS7_S2_PS3_PiS9_, .Lfunc_end102-_ZN9rocsparseL44csr2gebsr_wavefront_per_row_multipass_kernelILi256ELi16ELi8ELi64EdEEv20rocsparse_direction_iiiiii21rocsparse_index_base_PKT3_PKiS7_S2_PS3_PiS9_
                                        ; -- End function
	.set _ZN9rocsparseL44csr2gebsr_wavefront_per_row_multipass_kernelILi256ELi16ELi8ELi64EdEEv20rocsparse_direction_iiiiii21rocsparse_index_base_PKT3_PKiS7_S2_PS3_PiS9_.num_vgpr, 41
	.set _ZN9rocsparseL44csr2gebsr_wavefront_per_row_multipass_kernelILi256ELi16ELi8ELi64EdEEv20rocsparse_direction_iiiiii21rocsparse_index_base_PKT3_PKiS7_S2_PS3_PiS9_.num_agpr, 0
	.set _ZN9rocsparseL44csr2gebsr_wavefront_per_row_multipass_kernelILi256ELi16ELi8ELi64EdEEv20rocsparse_direction_iiiiii21rocsparse_index_base_PKT3_PKiS7_S2_PS3_PiS9_.numbered_sgpr, 24
	.set _ZN9rocsparseL44csr2gebsr_wavefront_per_row_multipass_kernelILi256ELi16ELi8ELi64EdEEv20rocsparse_direction_iiiiii21rocsparse_index_base_PKT3_PKiS7_S2_PS3_PiS9_.num_named_barrier, 0
	.set _ZN9rocsparseL44csr2gebsr_wavefront_per_row_multipass_kernelILi256ELi16ELi8ELi64EdEEv20rocsparse_direction_iiiiii21rocsparse_index_base_PKT3_PKiS7_S2_PS3_PiS9_.private_seg_size, 0
	.set _ZN9rocsparseL44csr2gebsr_wavefront_per_row_multipass_kernelILi256ELi16ELi8ELi64EdEEv20rocsparse_direction_iiiiii21rocsparse_index_base_PKT3_PKiS7_S2_PS3_PiS9_.uses_vcc, 1
	.set _ZN9rocsparseL44csr2gebsr_wavefront_per_row_multipass_kernelILi256ELi16ELi8ELi64EdEEv20rocsparse_direction_iiiiii21rocsparse_index_base_PKT3_PKiS7_S2_PS3_PiS9_.uses_flat_scratch, 0
	.set _ZN9rocsparseL44csr2gebsr_wavefront_per_row_multipass_kernelILi256ELi16ELi8ELi64EdEEv20rocsparse_direction_iiiiii21rocsparse_index_base_PKT3_PKiS7_S2_PS3_PiS9_.has_dyn_sized_stack, 0
	.set _ZN9rocsparseL44csr2gebsr_wavefront_per_row_multipass_kernelILi256ELi16ELi8ELi64EdEEv20rocsparse_direction_iiiiii21rocsparse_index_base_PKT3_PKiS7_S2_PS3_PiS9_.has_recursion, 0
	.set _ZN9rocsparseL44csr2gebsr_wavefront_per_row_multipass_kernelILi256ELi16ELi8ELi64EdEEv20rocsparse_direction_iiiiii21rocsparse_index_base_PKT3_PKiS7_S2_PS3_PiS9_.has_indirect_call, 0
	.section	.AMDGPU.csdata,"",@progbits
; Kernel info:
; codeLenInByte = 1676
; TotalNumSgprs: 26
; NumVgprs: 41
; ScratchSize: 0
; MemoryBound: 0
; FloatMode: 240
; IeeeMode: 1
; LDSByteSize: 4104 bytes/workgroup (compile time only)
; SGPRBlocks: 0
; VGPRBlocks: 2
; NumSGPRsForWavesPerEU: 26
; NumVGPRsForWavesPerEU: 41
; NamedBarCnt: 0
; Occupancy: 16
; WaveLimiterHint : 0
; COMPUTE_PGM_RSRC2:SCRATCH_EN: 0
; COMPUTE_PGM_RSRC2:USER_SGPR: 2
; COMPUTE_PGM_RSRC2:TRAP_HANDLER: 0
; COMPUTE_PGM_RSRC2:TGID_X_EN: 1
; COMPUTE_PGM_RSRC2:TGID_Y_EN: 0
; COMPUTE_PGM_RSRC2:TGID_Z_EN: 0
; COMPUTE_PGM_RSRC2:TIDIG_COMP_CNT: 0
	.section	.text._ZN9rocsparseL44csr2gebsr_wavefront_per_row_multipass_kernelILi256ELi16ELi8ELi32EdEEv20rocsparse_direction_iiiiii21rocsparse_index_base_PKT3_PKiS7_S2_PS3_PiS9_,"axG",@progbits,_ZN9rocsparseL44csr2gebsr_wavefront_per_row_multipass_kernelILi256ELi16ELi8ELi32EdEEv20rocsparse_direction_iiiiii21rocsparse_index_base_PKT3_PKiS7_S2_PS3_PiS9_,comdat
	.globl	_ZN9rocsparseL44csr2gebsr_wavefront_per_row_multipass_kernelILi256ELi16ELi8ELi32EdEEv20rocsparse_direction_iiiiii21rocsparse_index_base_PKT3_PKiS7_S2_PS3_PiS9_ ; -- Begin function _ZN9rocsparseL44csr2gebsr_wavefront_per_row_multipass_kernelILi256ELi16ELi8ELi32EdEEv20rocsparse_direction_iiiiii21rocsparse_index_base_PKT3_PKiS7_S2_PS3_PiS9_
	.p2align	8
	.type	_ZN9rocsparseL44csr2gebsr_wavefront_per_row_multipass_kernelILi256ELi16ELi8ELi32EdEEv20rocsparse_direction_iiiiii21rocsparse_index_base_PKT3_PKiS7_S2_PS3_PiS9_,@function
_ZN9rocsparseL44csr2gebsr_wavefront_per_row_multipass_kernelILi256ELi16ELi8ELi32EdEEv20rocsparse_direction_iiiiii21rocsparse_index_base_PKT3_PKiS7_S2_PS3_PiS9_: ; @_ZN9rocsparseL44csr2gebsr_wavefront_per_row_multipass_kernelILi256ELi16ELi8ELi32EdEEv20rocsparse_direction_iiiiii21rocsparse_index_base_PKT3_PKiS7_S2_PS3_PiS9_
; %bb.0:
	s_clause 0x1
	s_load_b128 s[4:7], s[0:1], 0xc
	s_load_b64 s[14:15], s[0:1], 0x0
	s_bfe_u32 s2, ttmp6, 0x4000c
	s_and_b32 s3, ttmp6, 15
	s_add_co_i32 s2, s2, 1
	s_getreg_b32 s8, hwreg(HW_REG_IB_STS2, 6, 4)
	s_mul_i32 s2, ttmp9, s2
	v_dual_lshrrev_b32 v24, 5, v0 :: v_dual_mov_b32 v2, 0
	s_add_co_i32 s3, s3, s2
	s_cmp_eq_u32 s8, 0
	v_bfe_u32 v3, v0, 1, 4
	s_cselect_b32 s2, ttmp9, s3
	s_clause 0x1
	s_load_b32 s20, s[0:1], 0x1c
	s_load_b64 s[8:9], s[0:1], 0x28
	v_lshl_or_b32 v1, s2, 3, v24
	v_mov_b32_e32 v34, 0
	s_wait_kmcnt 0x0
	s_delay_alu instid0(VALU_DEP_2) | instskip(SKIP_1) | instid1(VALU_DEP_2)
	v_mad_u32 v4, v1, s6, v3
	v_cmp_gt_i32_e32 vcc_lo, s6, v3
	v_cmp_gt_i32_e64 s2, s15, v4
	s_and_b32 s2, vcc_lo, s2
	s_delay_alu instid0(SALU_CYCLE_1)
	s_and_saveexec_b32 s3, s2
	s_cbranch_execz .LBB103_2
; %bb.1:
	global_load_b32 v5, v4, s[8:9] scale_offset
	s_wait_loadcnt 0x0
	v_subrev_nc_u32_e32 v34, s20, v5
.LBB103_2:
	s_or_b32 exec_lo, exec_lo, s3
	v_mov_b32_e32 v25, 0
	s_and_saveexec_b32 s3, s2
	s_cbranch_execz .LBB103_4
; %bb.3:
	global_load_b32 v4, v4, s[8:9] offset:4 scale_offset
	s_wait_loadcnt 0x0
	v_subrev_nc_u32_e32 v25, s20, v4
.LBB103_4:
	s_or_b32 exec_lo, exec_lo, s3
	s_load_b32 s21, s[0:1], 0x38
	s_mov_b32 s3, exec_lo
	v_cmpx_gt_i32_e64 s4, v1
	s_cbranch_execz .LBB103_6
; %bb.5:
	s_load_b64 s[8:9], s[0:1], 0x48
	s_wait_kmcnt 0x0
	global_load_b32 v1, v1, s[8:9] scale_offset
	s_wait_loadcnt 0x0
	v_subrev_nc_u32_e32 v2, s21, v1
.LBB103_6:
	s_or_b32 exec_lo, exec_lo, s3
	s_cmp_lt_i32 s5, 1
	s_cbranch_scc1 .LBB103_41
; %bb.7:
	v_mbcnt_lo_u32_b32 v10, -1, 0
	s_clause 0x3
	s_load_b64 s[8:9], s[0:1], 0x50
	s_load_b64 s[2:3], s[0:1], 0x40
	;; [unrolled: 1-line block ×4, first 2 shown]
	v_mul_lo_u32 v4, s7, v3
	s_cmp_lg_u32 s14, 0
	s_mov_b32 s15, 0
	v_xor_b32_e32 v1, 1, v10
	v_dual_lshlrev_b32 v0, 6, v3 :: v_dual_bitop2_b32 v26, 1, v0 bitop3:0x40
	s_cselect_b32 s4, -1, 0
	s_mov_b32 s14, s6
	s_wait_xcnt 0x0
	v_cmp_gt_i32_e64 s0, 32, v1
	s_ashr_i32 s17, s7, 31
	v_lshl_or_b32 v27, v24, 10, v0
	v_ashrrev_i32_e32 v5, 31, v4
	s_mov_b32 s16, s7
	v_cndmask_b32_e64 v1, v10, v1, s0
	s_mul_u64 s[18:19], s[16:17], s[14:15]
	s_abs_i32 s16, s7
	v_lshl_or_b32 v28, v10, 2, 4
	s_cvt_f32_u32 s1, s16
	v_dual_lshlrev_b32 v29, 2, v1 :: v_dual_lshlrev_b32 v6, 3, v26
	v_dual_mov_b32 v1, 0 :: v_dual_lshlrev_b32 v0, 3, v3
	s_wait_kmcnt 0x0
	v_lshl_add_u64 v[8:9], v[4:5], 3, s[2:3]
	v_mov_b64_e32 v[16:17], 0
	v_dual_mov_b32 v38, 1 :: v_dual_bitop2_b32 v37, -2, v26 bitop3:0x54
	v_mov_b32_e32 v7, v1
	v_add_nc_u64_e32 v[4:5], s[2:3], v[0:1]
	v_xor_b32_e32 v0, 8, v10
	v_dual_mov_b32 v11, v1 :: v_dual_bitop2_b32 v3, 16, v10 bitop3:0x14
	v_mov_b32_e32 v40, 0
	s_mov_b32 s22, s15
	v_mov_b32_e32 v36, 0x7c
	s_delay_alu instid0(VALU_DEP_3) | instskip(SKIP_3) | instid1(VALU_DEP_4)
	v_cmp_gt_i32_e64 s0, 32, v3
	v_or_b32_e32 v30, v27, v6
	v_add_nc_u64_e32 v[6:7], v[8:9], v[6:7]
	v_dual_mov_b32 v13, v1 :: v_dual_mov_b32 v15, v1
	v_dual_cndmask_b32 v3, v10, v3, s0 :: v_dual_bitop2_b32 v8, 4, v10 bitop3:0x14
	v_cmp_gt_i32_e64 s0, 32, v0
	s_delay_alu instid0(VALU_DEP_1) | instskip(SKIP_1) | instid1(VALU_DEP_4)
	v_dual_lshlrev_b32 v31, 2, v3 :: v_dual_cndmask_b32 v0, v10, v0, s0
	v_xor_b32_e32 v9, 2, v10
	v_cmp_gt_i32_e64 s0, 32, v8
	s_delay_alu instid0(VALU_DEP_3) | instskip(NEXT) | instid1(VALU_DEP_2)
	v_dual_lshlrev_b32 v32, 2, v0 :: v_dual_bitop2_b32 v0, 2, v26 bitop3:0x54
	v_cndmask_b32_e64 v8, v10, v8, s0
	s_delay_alu instid0(VALU_DEP_4) | instskip(NEXT) | instid1(VALU_DEP_1)
	v_cmp_gt_i32_e64 s0, 32, v9
	v_dual_lshlrev_b32 v33, 2, v8 :: v_dual_cndmask_b32 v3, v10, v9, s0
	v_mul_lo_u32 v8, v26, s6
	s_lshl_b32 s6, s6, 1
	v_cmp_gt_u32_e64 s0, s7, v26
	s_delay_alu instid0(VALU_DEP_3) | instskip(SKIP_2) | instid1(VALU_DEP_4)
	v_dual_mov_b32 v9, v1 :: v_dual_lshlrev_b32 v35, 2, v3
	v_rcp_iflag_f32_e32 v3, s1
	v_cmp_gt_u32_e64 s1, s7, v0
	v_dual_add_nc_u32 v10, s6, v8 :: v_dual_bitop2_b32 v0, 4, v26 bitop3:0x54
	s_delay_alu instid0(TRANS32_DEP_1) | instskip(SKIP_1) | instid1(VALU_DEP_3)
	v_readfirstlane_b32 s3, v3
	v_or_b32_e32 v3, 6, v26
	v_cmp_gt_u32_e64 s2, s7, v0
	s_and_b32 s1, vcc_lo, s1
	v_add_nc_u32_e32 v12, s6, v10
	s_mul_f32 s14, s3, 0x4f7ffffe
	v_cmp_gt_u32_e64 s3, s7, v3
	s_and_b32 s2, vcc_lo, s2
	s_delay_alu instid0(SALU_CYCLE_1)
	s_cvt_u32_f32 s14, s14
	v_add_nc_u32_e32 v14, s6, v12
	s_and_b32 s6, s0, vcc_lo
	s_sub_co_i32 s0, 0, s16
	s_and_b32 s3, vcc_lo, s3
	s_mul_i32 s0, s0, s14
	s_delay_alu instid0(SALU_CYCLE_1) | instskip(NEXT) | instid1(SALU_CYCLE_1)
	s_mul_hi_u32 s0, s14, s0
	s_add_co_i32 s14, s14, s0
	s_branch .LBB103_10
.LBB103_8:                              ;   in Loop: Header=BB103_10 Depth=1
	s_wait_xcnt 0x0
	s_or_b32 exec_lo, exec_lo, s23
	v_mov_b32_e32 v0, 1
.LBB103_9:                              ;   in Loop: Header=BB103_10 Depth=1
	s_or_b32 exec_lo, exec_lo, s0
	ds_bpermute_b32 v3, v31, v39
	s_wait_storecnt_dscnt 0x0
	v_dual_add_nc_u32 v2, v0, v2 :: v_dual_min_i32 v3, v3, v39
	ds_bpermute_b32 v18, v32, v3
	s_wait_dscnt 0x0
	v_min_i32_e32 v3, v18, v3
	ds_bpermute_b32 v18, v33, v3
	s_wait_dscnt 0x0
	v_min_i32_e32 v3, v18, v3
	;; [unrolled: 3-line block ×4, first 2 shown]
	ds_bpermute_b32 v40, v36, v3
	s_wait_dscnt 0x0
	v_cmp_le_i32_e32 vcc_lo, s5, v40
	s_or_b32 s22, vcc_lo, s22
	s_delay_alu instid0(SALU_CYCLE_1)
	s_and_not1_b32 exec_lo, exec_lo, s22
	s_cbranch_execz .LBB103_41
.LBB103_10:                             ; =>This Loop Header: Depth=1
                                        ;     Child Loop BB103_11 Depth 2
                                        ;     Child Loop BB103_15 Depth 2
	v_dual_mov_b32 v0, v30 :: v_dual_mov_b32 v3, v37
	s_mov_b32 s0, 0
	ds_store_b8 v24, v1 offset:8192
.LBB103_11:                             ;   Parent Loop BB103_10 Depth=1
                                        ; =>  This Inner Loop Header: Depth=2
	v_add_nc_u32_e32 v3, 2, v3
	ds_store_b64 v0, v[16:17]
	v_add_nc_u32_e32 v0, 16, v0
	v_cmp_lt_u32_e32 vcc_lo, 5, v3
	s_or_b32 s0, vcc_lo, s0
	s_delay_alu instid0(SALU_CYCLE_1)
	s_and_not1_b32 exec_lo, exec_lo, s0
	s_cbranch_execnz .LBB103_11
; %bb.12:                               ;   in Loop: Header=BB103_10 Depth=1
	s_or_b32 exec_lo, exec_lo, s0
	v_dual_mov_b32 v39, s5 :: v_dual_add_nc_u32 v18, v34, v26
	v_mov_b32_e32 v19, v25
	s_mov_b32 s23, exec_lo
	s_wait_dscnt 0x0
	s_delay_alu instid0(VALU_DEP_2)
	v_cmpx_lt_i32_e64 v18, v25
	s_cbranch_execz .LBB103_20
; %bb.13:                               ;   in Loop: Header=BB103_10 Depth=1
	v_mul_lo_u32 v3, v40, s7
	v_dual_ashrrev_i32 v19, 31, v18 :: v_dual_mov_b32 v39, s5
	s_mov_b32 s24, 0
	s_delay_alu instid0(VALU_DEP_1)
	v_lshl_add_u64 v[20:21], v[18:19], 2, s[12:13]
	v_lshl_add_u64 v[22:23], v[18:19], 3, s[10:11]
	v_mov_b32_e32 v19, v25
	s_branch .LBB103_15
.LBB103_14:                             ;   in Loop: Header=BB103_15 Depth=2
	s_wait_xcnt 0x0
	s_or_b32 exec_lo, exec_lo, s0
	v_add_nc_u32_e32 v18, 2, v18
	s_xor_b32 s25, vcc_lo, -1
	v_add_nc_u64_e32 v[20:21], 8, v[20:21]
	v_add_nc_u64_e32 v[22:23], 16, v[22:23]
	s_delay_alu instid0(VALU_DEP_3) | instskip(SKIP_1) | instid1(SALU_CYCLE_1)
	v_cmp_ge_i32_e64 s0, v18, v25
	s_or_b32 s0, s25, s0
	s_and_b32 s0, exec_lo, s0
	s_delay_alu instid0(SALU_CYCLE_1) | instskip(NEXT) | instid1(SALU_CYCLE_1)
	s_or_b32 s24, s0, s24
	s_and_not1_b32 exec_lo, exec_lo, s24
	s_cbranch_execz .LBB103_19
.LBB103_15:                             ;   Parent Loop BB103_10 Depth=1
                                        ; =>  This Inner Loop Header: Depth=2
	global_load_b32 v0, v[20:21], off
	s_wait_loadcnt 0x0
	v_subrev_nc_u32_e32 v34, s20, v0
	s_delay_alu instid0(VALU_DEP_1) | instskip(NEXT) | instid1(VALU_DEP_1)
	v_sub_nc_u32_e32 v0, 0, v34
	v_max_i32_e32 v0, v34, v0
	s_delay_alu instid0(VALU_DEP_1) | instskip(NEXT) | instid1(VALU_DEP_1)
	v_mul_u64_e32 v[42:43], s[14:15], v[0:1]
	v_mul_lo_u32 v41, v43, s16
	s_delay_alu instid0(VALU_DEP_1) | instskip(NEXT) | instid1(VALU_DEP_1)
	v_dual_sub_nc_u32 v0, v0, v41 :: v_dual_add_nc_u32 v41, 1, v43
	v_cmp_le_u32_e32 vcc_lo, s16, v0
	s_delay_alu instid0(VALU_DEP_2) | instskip(SKIP_1) | instid1(VALU_DEP_1)
	v_dual_cndmask_b32 v41, v43, v41, vcc_lo :: v_dual_ashrrev_i32 v43, 31, v34
	v_subrev_nc_u32_e32 v42, s16, v0
	v_dual_cndmask_b32 v0, v0, v42, vcc_lo :: v_dual_add_nc_u32 v42, 1, v41
	s_delay_alu instid0(VALU_DEP_1) | instskip(NEXT) | instid1(VALU_DEP_2)
	v_cmp_le_u32_e32 vcc_lo, s16, v0
	v_dual_cndmask_b32 v0, v41, v42, vcc_lo :: v_dual_bitop2_b32 v43, s17, v43 bitop3:0x14
	s_delay_alu instid0(VALU_DEP_1) | instskip(NEXT) | instid1(VALU_DEP_1)
	v_xor_b32_e32 v0, v0, v43
	v_dual_mov_b32 v0, v19 :: v_dual_sub_nc_u32 v41, v0, v43
	s_delay_alu instid0(VALU_DEP_1) | instskip(SKIP_3) | instid1(SALU_CYCLE_1)
	v_cmp_ne_u32_e64 s0, v41, v40
	v_cmp_eq_u32_e32 vcc_lo, v41, v40
	s_wait_xcnt 0x0
	s_and_saveexec_b32 s25, s0
	s_xor_b32 s0, exec_lo, s25
; %bb.16:                               ;   in Loop: Header=BB103_15 Depth=2
	v_min_i32_e32 v39, v41, v39
                                        ; implicit-def: $vgpr34
                                        ; implicit-def: $vgpr0
; %bb.17:                               ;   in Loop: Header=BB103_15 Depth=2
	s_or_saveexec_b32 s0, s0
	v_mov_b32_e32 v19, v18
	s_xor_b32 exec_lo, exec_lo, s0
	s_cbranch_execz .LBB103_14
; %bb.18:                               ;   in Loop: Header=BB103_15 Depth=2
	global_load_b64 v[42:43], v[22:23], off
	v_sub_nc_u32_e32 v19, v34, v3
	s_delay_alu instid0(VALU_DEP_1)
	v_lshl_add_u32 v34, v19, 3, v27
	v_mov_b32_e32 v19, v0
	ds_store_b8 v24, v38 offset:8192
	s_wait_loadcnt 0x0
	ds_store_b64 v34, v[42:43]
	s_branch .LBB103_14
.LBB103_19:                             ;   in Loop: Header=BB103_10 Depth=1
	s_or_b32 exec_lo, exec_lo, s24
.LBB103_20:                             ;   in Loop: Header=BB103_10 Depth=1
	s_delay_alu instid0(SALU_CYCLE_1)
	s_or_b32 exec_lo, exec_lo, s23
	ds_bpermute_b32 v0, v29, v19
	s_wait_dscnt 0x0
	ds_load_u8 v3, v24 offset:8192
	v_min_i32_e32 v0, v0, v19
	ds_bpermute_b32 v34, v28, v0
	s_wait_dscnt 0x1
	v_and_b32_e32 v0, 1, v3
	s_delay_alu instid0(VALU_DEP_1)
	v_cmp_eq_u32_e32 vcc_lo, 1, v0
	v_mov_b32_e32 v0, 0
	s_and_saveexec_b32 s0, vcc_lo
	s_cbranch_execz .LBB103_9
; %bb.21:                               ;   in Loop: Header=BB103_10 Depth=1
	v_dual_ashrrev_i32 v3, 31, v2 :: v_dual_add_nc_u32 v0, s21, v40
	s_delay_alu instid0(VALU_DEP_1) | instskip(SKIP_2) | instid1(VALU_DEP_1)
	v_mul_u64_e32 v[18:19], s[18:19], v[2:3]
	global_store_b32 v2, v0, s[8:9] scale_offset
	v_lshlrev_b64_e32 v[18:19], 3, v[18:19]
	v_add_nc_u64_e32 v[20:21], v[4:5], v[18:19]
	v_add_nc_u64_e32 v[18:19], v[6:7], v[18:19]
	s_wait_xcnt 0x0
	s_and_saveexec_b32 s23, s6
	s_cbranch_execz .LBB103_25
; %bb.22:                               ;   in Loop: Header=BB103_10 Depth=1
	ds_load_b64 v[22:23], v30
	s_and_b32 vcc_lo, exec_lo, s4
	s_cbranch_vccz .LBB103_36
; %bb.23:                               ;   in Loop: Header=BB103_10 Depth=1
	v_lshl_add_u64 v[40:41], v[8:9], 3, v[20:21]
	s_wait_dscnt 0x0
	global_store_b64 v[40:41], v[22:23], off
	s_cbranch_execnz .LBB103_25
.LBB103_24:                             ;   in Loop: Header=BB103_10 Depth=1
	s_wait_dscnt 0x0
	global_store_b64 v[18:19], v[22:23], off
.LBB103_25:                             ;   in Loop: Header=BB103_10 Depth=1
	s_wait_xcnt 0x0
	s_or_b32 exec_lo, exec_lo, s23
	s_and_saveexec_b32 s23, s1
	s_cbranch_execz .LBB103_29
; %bb.26:                               ;   in Loop: Header=BB103_10 Depth=1
	s_and_not1_b32 vcc_lo, exec_lo, s4
	s_cbranch_vccnz .LBB103_37
; %bb.27:                               ;   in Loop: Header=BB103_10 Depth=1
	s_wait_dscnt 0x0
	ds_load_b64 v[22:23], v30 offset:16
	v_lshl_add_u64 v[40:41], v[10:11], 3, v[20:21]
	s_wait_dscnt 0x0
	global_store_b64 v[40:41], v[22:23], off
	s_cbranch_execnz .LBB103_29
.LBB103_28:                             ;   in Loop: Header=BB103_10 Depth=1
	s_wait_dscnt 0x0
	s_wait_xcnt 0x0
	ds_load_b64 v[22:23], v30 offset:16
	s_wait_dscnt 0x0
	global_store_b64 v[18:19], v[22:23], off offset:16
.LBB103_29:                             ;   in Loop: Header=BB103_10 Depth=1
	s_wait_xcnt 0x0
	s_or_b32 exec_lo, exec_lo, s23
	s_and_saveexec_b32 s23, s2
	s_cbranch_execz .LBB103_33
; %bb.30:                               ;   in Loop: Header=BB103_10 Depth=1
	s_and_not1_b32 vcc_lo, exec_lo, s4
	s_cbranch_vccnz .LBB103_38
; %bb.31:                               ;   in Loop: Header=BB103_10 Depth=1
	s_wait_dscnt 0x0
	ds_load_b64 v[22:23], v30 offset:32
	v_lshl_add_u64 v[40:41], v[12:13], 3, v[20:21]
	s_wait_dscnt 0x0
	global_store_b64 v[40:41], v[22:23], off
	s_cbranch_execnz .LBB103_33
.LBB103_32:                             ;   in Loop: Header=BB103_10 Depth=1
	s_wait_dscnt 0x0
	s_wait_xcnt 0x0
	ds_load_b64 v[22:23], v30 offset:32
	s_wait_dscnt 0x0
	global_store_b64 v[18:19], v[22:23], off offset:32
.LBB103_33:                             ;   in Loop: Header=BB103_10 Depth=1
	s_wait_xcnt 0x0
	s_or_b32 exec_lo, exec_lo, s23
	s_and_saveexec_b32 s23, s3
	s_cbranch_execz .LBB103_8
; %bb.34:                               ;   in Loop: Header=BB103_10 Depth=1
	s_and_not1_b32 vcc_lo, exec_lo, s4
	s_cbranch_vccnz .LBB103_39
; %bb.35:                               ;   in Loop: Header=BB103_10 Depth=1
	s_wait_dscnt 0x0
	ds_load_b64 v[22:23], v30 offset:48
	v_lshl_add_u64 v[20:21], v[14:15], 3, v[20:21]
	s_wait_dscnt 0x0
	global_store_b64 v[20:21], v[22:23], off
	s_cbranch_execnz .LBB103_8
	s_branch .LBB103_40
.LBB103_36:                             ;   in Loop: Header=BB103_10 Depth=1
	s_branch .LBB103_24
.LBB103_37:                             ;   in Loop: Header=BB103_10 Depth=1
	s_branch .LBB103_28
.LBB103_38:                             ;   in Loop: Header=BB103_10 Depth=1
	s_branch .LBB103_32
.LBB103_39:                             ;   in Loop: Header=BB103_10 Depth=1
.LBB103_40:                             ;   in Loop: Header=BB103_10 Depth=1
	s_wait_xcnt 0x0
	ds_load_b64 v[20:21], v30 offset:48
	s_wait_dscnt 0x0
	global_store_b64 v[18:19], v[20:21], off offset:48
	s_branch .LBB103_8
.LBB103_41:
	s_endpgm
	.section	.rodata,"a",@progbits
	.p2align	6, 0x0
	.amdhsa_kernel _ZN9rocsparseL44csr2gebsr_wavefront_per_row_multipass_kernelILi256ELi16ELi8ELi32EdEEv20rocsparse_direction_iiiiii21rocsparse_index_base_PKT3_PKiS7_S2_PS3_PiS9_
		.amdhsa_group_segment_fixed_size 8200
		.amdhsa_private_segment_fixed_size 0
		.amdhsa_kernarg_size 88
		.amdhsa_user_sgpr_count 2
		.amdhsa_user_sgpr_dispatch_ptr 0
		.amdhsa_user_sgpr_queue_ptr 0
		.amdhsa_user_sgpr_kernarg_segment_ptr 1
		.amdhsa_user_sgpr_dispatch_id 0
		.amdhsa_user_sgpr_kernarg_preload_length 0
		.amdhsa_user_sgpr_kernarg_preload_offset 0
		.amdhsa_user_sgpr_private_segment_size 0
		.amdhsa_wavefront_size32 1
		.amdhsa_uses_dynamic_stack 0
		.amdhsa_enable_private_segment 0
		.amdhsa_system_sgpr_workgroup_id_x 1
		.amdhsa_system_sgpr_workgroup_id_y 0
		.amdhsa_system_sgpr_workgroup_id_z 0
		.amdhsa_system_sgpr_workgroup_info 0
		.amdhsa_system_vgpr_workitem_id 0
		.amdhsa_next_free_vgpr 44
		.amdhsa_next_free_sgpr 26
		.amdhsa_named_barrier_count 0
		.amdhsa_reserve_vcc 1
		.amdhsa_float_round_mode_32 0
		.amdhsa_float_round_mode_16_64 0
		.amdhsa_float_denorm_mode_32 3
		.amdhsa_float_denorm_mode_16_64 3
		.amdhsa_fp16_overflow 0
		.amdhsa_memory_ordered 1
		.amdhsa_forward_progress 1
		.amdhsa_inst_pref_size 15
		.amdhsa_round_robin_scheduling 0
		.amdhsa_exception_fp_ieee_invalid_op 0
		.amdhsa_exception_fp_denorm_src 0
		.amdhsa_exception_fp_ieee_div_zero 0
		.amdhsa_exception_fp_ieee_overflow 0
		.amdhsa_exception_fp_ieee_underflow 0
		.amdhsa_exception_fp_ieee_inexact 0
		.amdhsa_exception_int_div_zero 0
	.end_amdhsa_kernel
	.section	.text._ZN9rocsparseL44csr2gebsr_wavefront_per_row_multipass_kernelILi256ELi16ELi8ELi32EdEEv20rocsparse_direction_iiiiii21rocsparse_index_base_PKT3_PKiS7_S2_PS3_PiS9_,"axG",@progbits,_ZN9rocsparseL44csr2gebsr_wavefront_per_row_multipass_kernelILi256ELi16ELi8ELi32EdEEv20rocsparse_direction_iiiiii21rocsparse_index_base_PKT3_PKiS7_S2_PS3_PiS9_,comdat
.Lfunc_end103:
	.size	_ZN9rocsparseL44csr2gebsr_wavefront_per_row_multipass_kernelILi256ELi16ELi8ELi32EdEEv20rocsparse_direction_iiiiii21rocsparse_index_base_PKT3_PKiS7_S2_PS3_PiS9_, .Lfunc_end103-_ZN9rocsparseL44csr2gebsr_wavefront_per_row_multipass_kernelILi256ELi16ELi8ELi32EdEEv20rocsparse_direction_iiiiii21rocsparse_index_base_PKT3_PKiS7_S2_PS3_PiS9_
                                        ; -- End function
	.set _ZN9rocsparseL44csr2gebsr_wavefront_per_row_multipass_kernelILi256ELi16ELi8ELi32EdEEv20rocsparse_direction_iiiiii21rocsparse_index_base_PKT3_PKiS7_S2_PS3_PiS9_.num_vgpr, 44
	.set _ZN9rocsparseL44csr2gebsr_wavefront_per_row_multipass_kernelILi256ELi16ELi8ELi32EdEEv20rocsparse_direction_iiiiii21rocsparse_index_base_PKT3_PKiS7_S2_PS3_PiS9_.num_agpr, 0
	.set _ZN9rocsparseL44csr2gebsr_wavefront_per_row_multipass_kernelILi256ELi16ELi8ELi32EdEEv20rocsparse_direction_iiiiii21rocsparse_index_base_PKT3_PKiS7_S2_PS3_PiS9_.numbered_sgpr, 26
	.set _ZN9rocsparseL44csr2gebsr_wavefront_per_row_multipass_kernelILi256ELi16ELi8ELi32EdEEv20rocsparse_direction_iiiiii21rocsparse_index_base_PKT3_PKiS7_S2_PS3_PiS9_.num_named_barrier, 0
	.set _ZN9rocsparseL44csr2gebsr_wavefront_per_row_multipass_kernelILi256ELi16ELi8ELi32EdEEv20rocsparse_direction_iiiiii21rocsparse_index_base_PKT3_PKiS7_S2_PS3_PiS9_.private_seg_size, 0
	.set _ZN9rocsparseL44csr2gebsr_wavefront_per_row_multipass_kernelILi256ELi16ELi8ELi32EdEEv20rocsparse_direction_iiiiii21rocsparse_index_base_PKT3_PKiS7_S2_PS3_PiS9_.uses_vcc, 1
	.set _ZN9rocsparseL44csr2gebsr_wavefront_per_row_multipass_kernelILi256ELi16ELi8ELi32EdEEv20rocsparse_direction_iiiiii21rocsparse_index_base_PKT3_PKiS7_S2_PS3_PiS9_.uses_flat_scratch, 0
	.set _ZN9rocsparseL44csr2gebsr_wavefront_per_row_multipass_kernelILi256ELi16ELi8ELi32EdEEv20rocsparse_direction_iiiiii21rocsparse_index_base_PKT3_PKiS7_S2_PS3_PiS9_.has_dyn_sized_stack, 0
	.set _ZN9rocsparseL44csr2gebsr_wavefront_per_row_multipass_kernelILi256ELi16ELi8ELi32EdEEv20rocsparse_direction_iiiiii21rocsparse_index_base_PKT3_PKiS7_S2_PS3_PiS9_.has_recursion, 0
	.set _ZN9rocsparseL44csr2gebsr_wavefront_per_row_multipass_kernelILi256ELi16ELi8ELi32EdEEv20rocsparse_direction_iiiiii21rocsparse_index_base_PKT3_PKiS7_S2_PS3_PiS9_.has_indirect_call, 0
	.section	.AMDGPU.csdata,"",@progbits
; Kernel info:
; codeLenInByte = 1872
; TotalNumSgprs: 28
; NumVgprs: 44
; ScratchSize: 0
; MemoryBound: 0
; FloatMode: 240
; IeeeMode: 1
; LDSByteSize: 8200 bytes/workgroup (compile time only)
; SGPRBlocks: 0
; VGPRBlocks: 2
; NumSGPRsForWavesPerEU: 28
; NumVGPRsForWavesPerEU: 44
; NamedBarCnt: 0
; Occupancy: 16
; WaveLimiterHint : 0
; COMPUTE_PGM_RSRC2:SCRATCH_EN: 0
; COMPUTE_PGM_RSRC2:USER_SGPR: 2
; COMPUTE_PGM_RSRC2:TRAP_HANDLER: 0
; COMPUTE_PGM_RSRC2:TGID_X_EN: 1
; COMPUTE_PGM_RSRC2:TGID_Y_EN: 0
; COMPUTE_PGM_RSRC2:TGID_Z_EN: 0
; COMPUTE_PGM_RSRC2:TIDIG_COMP_CNT: 0
	.section	.text._ZN9rocsparseL44csr2gebsr_wavefront_per_row_multipass_kernelILi256ELi16ELi16ELi64EdEEv20rocsparse_direction_iiiiii21rocsparse_index_base_PKT3_PKiS7_S2_PS3_PiS9_,"axG",@progbits,_ZN9rocsparseL44csr2gebsr_wavefront_per_row_multipass_kernelILi256ELi16ELi16ELi64EdEEv20rocsparse_direction_iiiiii21rocsparse_index_base_PKT3_PKiS7_S2_PS3_PiS9_,comdat
	.globl	_ZN9rocsparseL44csr2gebsr_wavefront_per_row_multipass_kernelILi256ELi16ELi16ELi64EdEEv20rocsparse_direction_iiiiii21rocsparse_index_base_PKT3_PKiS7_S2_PS3_PiS9_ ; -- Begin function _ZN9rocsparseL44csr2gebsr_wavefront_per_row_multipass_kernelILi256ELi16ELi16ELi64EdEEv20rocsparse_direction_iiiiii21rocsparse_index_base_PKT3_PKiS7_S2_PS3_PiS9_
	.p2align	8
	.type	_ZN9rocsparseL44csr2gebsr_wavefront_per_row_multipass_kernelILi256ELi16ELi16ELi64EdEEv20rocsparse_direction_iiiiii21rocsparse_index_base_PKT3_PKiS7_S2_PS3_PiS9_,@function
_ZN9rocsparseL44csr2gebsr_wavefront_per_row_multipass_kernelILi256ELi16ELi16ELi64EdEEv20rocsparse_direction_iiiiii21rocsparse_index_base_PKT3_PKiS7_S2_PS3_PiS9_: ; @_ZN9rocsparseL44csr2gebsr_wavefront_per_row_multipass_kernelILi256ELi16ELi16ELi64EdEEv20rocsparse_direction_iiiiii21rocsparse_index_base_PKT3_PKiS7_S2_PS3_PiS9_
; %bb.0:
	s_clause 0x1
	s_load_b128 s[4:7], s[0:1], 0xc
	s_load_b64 s[14:15], s[0:1], 0x0
	s_bfe_u32 s2, ttmp6, 0x4000c
	s_and_b32 s3, ttmp6, 15
	s_add_co_i32 s2, s2, 1
	s_getreg_b32 s8, hwreg(HW_REG_IB_STS2, 6, 4)
	s_mul_i32 s2, ttmp9, s2
	v_dual_lshrrev_b32 v24, 6, v0 :: v_dual_mov_b32 v2, 0
	s_add_co_i32 s3, s3, s2
	s_cmp_eq_u32 s8, 0
	v_bfe_u32 v3, v0, 2, 4
	s_cselect_b32 s2, ttmp9, s3
	s_clause 0x1
	s_load_b32 s20, s[0:1], 0x1c
	s_load_b64 s[8:9], s[0:1], 0x28
	v_lshl_or_b32 v1, s2, 2, v24
	v_mov_b32_e32 v35, 0
	s_wait_kmcnt 0x0
	s_delay_alu instid0(VALU_DEP_2) | instskip(SKIP_1) | instid1(VALU_DEP_2)
	v_mad_u32 v4, v1, s6, v3
	v_cmp_gt_i32_e32 vcc_lo, s6, v3
	v_cmp_gt_i32_e64 s2, s15, v4
	s_and_b32 s2, vcc_lo, s2
	s_delay_alu instid0(SALU_CYCLE_1)
	s_and_saveexec_b32 s3, s2
	s_cbranch_execz .LBB104_2
; %bb.1:
	global_load_b32 v5, v4, s[8:9] scale_offset
	s_wait_loadcnt 0x0
	v_subrev_nc_u32_e32 v35, s20, v5
.LBB104_2:
	s_or_b32 exec_lo, exec_lo, s3
	v_mov_b32_e32 v25, 0
	s_and_saveexec_b32 s3, s2
	s_cbranch_execz .LBB104_4
; %bb.3:
	global_load_b32 v4, v4, s[8:9] offset:4 scale_offset
	s_wait_loadcnt 0x0
	v_subrev_nc_u32_e32 v25, s20, v4
.LBB104_4:
	s_or_b32 exec_lo, exec_lo, s3
	s_load_b32 s21, s[0:1], 0x38
	s_mov_b32 s3, exec_lo
	v_cmpx_gt_i32_e64 s4, v1
	s_cbranch_execz .LBB104_6
; %bb.5:
	s_load_b64 s[8:9], s[0:1], 0x48
	s_wait_kmcnt 0x0
	global_load_b32 v1, v1, s[8:9] scale_offset
	s_wait_loadcnt 0x0
	v_subrev_nc_u32_e32 v2, s21, v1
.LBB104_6:
	s_or_b32 exec_lo, exec_lo, s3
	s_cmp_lt_i32 s5, 1
	s_cbranch_scc1 .LBB104_41
; %bb.7:
	v_mbcnt_lo_u32_b32 v10, -1, 0
	s_clause 0x3
	s_load_b64 s[8:9], s[0:1], 0x50
	s_load_b64 s[2:3], s[0:1], 0x40
	;; [unrolled: 1-line block ×4, first 2 shown]
	s_cmp_lg_u32 s14, 0
	s_mov_b32 s15, 0
	s_cselect_b32 s4, -1, 0
	v_dual_lshlrev_b32 v5, 7, v3 :: v_dual_bitop2_b32 v1, 2, v10 bitop3:0x14
	s_mov_b32 s14, s6
	s_ashr_i32 s17, s7, 31
	s_mov_b32 s16, s7
	s_wait_xcnt 0x0
	v_cmp_gt_i32_e64 s0, 32, v1
	v_xor_b32_e32 v4, 1, v10
	v_lshl_or_b32 v27, v24, 11, v5
	s_mul_u64 s[18:19], s[16:17], s[14:15]
	s_abs_i32 s16, s7
	v_cndmask_b32_e64 v1, v10, v1, s0
	v_cmp_gt_i32_e64 s0, 32, v4
	s_cvt_f32_u32 s1, s16
	v_lshl_or_b32 v30, v10, 2, 12
	v_mov_b64_e32 v[16:17], 0
	v_dual_lshlrev_b32 v28, 2, v1 :: v_dual_cndmask_b32 v6, v10, v4, s0
	v_mul_lo_u32 v4, s7, v3
	v_dual_mov_b32 v1, 0 :: v_dual_bitop2_b32 v26, 3, v0 bitop3:0x40
	s_delay_alu instid0(VALU_DEP_3) | instskip(SKIP_1) | instid1(VALU_DEP_3)
	v_dual_lshlrev_b32 v0, 3, v3 :: v_dual_lshlrev_b32 v29, 2, v6
	v_bfrev_b32_e32 v37, 0.5
	v_dual_mov_b32 v11, v1 :: v_dual_lshlrev_b32 v6, 3, v26
	v_dual_mov_b32 v39, 1 :: v_dual_bitop2_b32 v38, -4, v26 bitop3:0x54
	v_dual_mov_b32 v41, 0 :: v_dual_ashrrev_i32 v5, 31, v4
	s_delay_alu instid0(VALU_DEP_3)
	v_dual_mov_b32 v7, v1 :: v_dual_bitop2_b32 v31, v27, v6 bitop3:0x54
	s_mov_b32 s22, s15
	v_mov_b32_e32 v13, v1
	s_wait_kmcnt 0x0
	v_lshl_add_u64 v[8:9], v[4:5], 3, s[2:3]
	v_add_nc_u64_e32 v[4:5], s[2:3], v[0:1]
	v_xor_b32_e32 v0, 16, v10
	v_dual_mov_b32 v15, v1 :: v_dual_bitop2_b32 v3, 32, v10 bitop3:0x54
	s_delay_alu instid0(VALU_DEP_4) | instskip(NEXT) | instid1(VALU_DEP_2)
	v_add_nc_u64_e32 v[6:7], v[8:9], v[6:7]
	v_cmp_gt_i32_e64 s0, 32, v3
	s_delay_alu instid0(VALU_DEP_1) | instskip(SKIP_1) | instid1(VALU_DEP_1)
	v_dual_cndmask_b32 v3, v10, v3, s0 :: v_dual_bitop2_b32 v8, 8, v10 bitop3:0x14
	v_cmp_gt_i32_e64 s0, 32, v0
	v_dual_lshlrev_b32 v32, 2, v3 :: v_dual_cndmask_b32 v0, v10, v0, s0
	s_delay_alu instid0(VALU_DEP_3) | instskip(NEXT) | instid1(VALU_DEP_2)
	v_cmp_gt_i32_e64 s0, 32, v8
	v_dual_lshlrev_b32 v33, 2, v0 :: v_dual_bitop2_b32 v9, 4, v10 bitop3:0x14
	s_delay_alu instid0(VALU_DEP_2) | instskip(NEXT) | instid1(VALU_DEP_2)
	v_cndmask_b32_e64 v8, v10, v8, s0
	v_cmp_gt_i32_e64 s0, 32, v9
	s_delay_alu instid0(VALU_DEP_1) | instskip(NEXT) | instid1(VALU_DEP_3)
	v_dual_cndmask_b32 v3, v10, v9, s0 :: v_dual_bitop2_b32 v0, 4, v26 bitop3:0x54
	v_lshlrev_b32_e32 v34, 2, v8
	v_mul_lo_u32 v8, v26, s6
	s_lshl_b32 s6, s6, 2
	v_cmp_gt_u32_e64 s0, s7, v26
	v_lshlrev_b32_e32 v36, 2, v3
	v_rcp_iflag_f32_e32 v3, s1
	v_mov_b32_e32 v9, v1
	v_cmp_gt_u32_e64 s1, s7, v0
	v_dual_add_nc_u32 v10, s6, v8 :: v_dual_bitop2_b32 v0, 8, v26 bitop3:0x54
	s_delay_alu instid0(TRANS32_DEP_1) | instskip(SKIP_1) | instid1(VALU_DEP_3)
	v_readfirstlane_b32 s3, v3
	v_or_b32_e32 v3, 12, v26
	v_cmp_gt_u32_e64 s2, s7, v0
	s_and_b32 s1, vcc_lo, s1
	v_add_nc_u32_e32 v12, s6, v10
	s_mul_f32 s14, s3, 0x4f7ffffe
	v_cmp_gt_u32_e64 s3, s7, v3
	s_and_b32 s2, vcc_lo, s2
	s_delay_alu instid0(SALU_CYCLE_1)
	s_cvt_u32_f32 s14, s14
	v_add_nc_u32_e32 v14, s6, v12
	s_and_b32 s6, s0, vcc_lo
	s_sub_co_i32 s0, 0, s16
	s_and_b32 s3, vcc_lo, s3
	s_mul_i32 s0, s0, s14
	s_delay_alu instid0(SALU_CYCLE_1) | instskip(NEXT) | instid1(SALU_CYCLE_1)
	s_mul_hi_u32 s0, s14, s0
	s_add_co_i32 s14, s14, s0
	s_branch .LBB104_10
.LBB104_8:                              ;   in Loop: Header=BB104_10 Depth=1
	s_wait_xcnt 0x0
	s_or_b32 exec_lo, exec_lo, s23
	v_mov_b32_e32 v0, 1
.LBB104_9:                              ;   in Loop: Header=BB104_10 Depth=1
	s_or_b32 exec_lo, exec_lo, s0
	ds_bpermute_b32 v3, v32, v40
	s_wait_storecnt_dscnt 0x0
	v_dual_add_nc_u32 v2, v0, v2 :: v_dual_min_i32 v3, v3, v40
	ds_bpermute_b32 v18, v33, v3
	s_wait_dscnt 0x0
	v_min_i32_e32 v3, v18, v3
	ds_bpermute_b32 v18, v34, v3
	s_wait_dscnt 0x0
	v_min_i32_e32 v3, v18, v3
	;; [unrolled: 3-line block ×5, first 2 shown]
	ds_bpermute_b32 v41, v37, v3
	s_wait_dscnt 0x0
	v_cmp_le_i32_e32 vcc_lo, s5, v41
	s_or_b32 s22, vcc_lo, s22
	s_delay_alu instid0(SALU_CYCLE_1)
	s_and_not1_b32 exec_lo, exec_lo, s22
	s_cbranch_execz .LBB104_41
.LBB104_10:                             ; =>This Loop Header: Depth=1
                                        ;     Child Loop BB104_11 Depth 2
                                        ;     Child Loop BB104_15 Depth 2
	v_dual_mov_b32 v0, v31 :: v_dual_mov_b32 v3, v38
	s_mov_b32 s0, 0
	ds_store_b8 v24, v1 offset:8192
.LBB104_11:                             ;   Parent Loop BB104_10 Depth=1
                                        ; =>  This Inner Loop Header: Depth=2
	v_add_nc_u32_e32 v3, 4, v3
	ds_store_b64 v0, v[16:17]
	v_add_nc_u32_e32 v0, 32, v0
	v_cmp_lt_u32_e32 vcc_lo, 11, v3
	s_or_b32 s0, vcc_lo, s0
	s_delay_alu instid0(SALU_CYCLE_1)
	s_and_not1_b32 exec_lo, exec_lo, s0
	s_cbranch_execnz .LBB104_11
; %bb.12:                               ;   in Loop: Header=BB104_10 Depth=1
	s_or_b32 exec_lo, exec_lo, s0
	v_dual_add_nc_u32 v18, v35, v26 :: v_dual_mov_b32 v40, s5
	v_mov_b32_e32 v19, v25
	s_mov_b32 s23, exec_lo
	s_wait_dscnt 0x0
	s_delay_alu instid0(VALU_DEP_2)
	v_cmpx_lt_i32_e64 v18, v25
	s_cbranch_execz .LBB104_20
; %bb.13:                               ;   in Loop: Header=BB104_10 Depth=1
	v_mul_lo_u32 v3, v41, s7
	v_dual_mov_b32 v40, s5 :: v_dual_ashrrev_i32 v19, 31, v18
	s_mov_b32 s24, 0
	s_delay_alu instid0(VALU_DEP_1)
	v_lshl_add_u64 v[20:21], v[18:19], 2, s[12:13]
	v_lshl_add_u64 v[22:23], v[18:19], 3, s[10:11]
	v_mov_b32_e32 v19, v25
	s_branch .LBB104_15
.LBB104_14:                             ;   in Loop: Header=BB104_15 Depth=2
	s_wait_xcnt 0x0
	s_or_b32 exec_lo, exec_lo, s0
	v_add_nc_u32_e32 v18, 4, v18
	s_xor_b32 s25, vcc_lo, -1
	v_add_nc_u64_e32 v[20:21], 16, v[20:21]
	v_add_nc_u64_e32 v[22:23], 32, v[22:23]
	s_delay_alu instid0(VALU_DEP_3) | instskip(SKIP_1) | instid1(SALU_CYCLE_1)
	v_cmp_ge_i32_e64 s0, v18, v25
	s_or_b32 s0, s25, s0
	s_and_b32 s0, exec_lo, s0
	s_delay_alu instid0(SALU_CYCLE_1) | instskip(NEXT) | instid1(SALU_CYCLE_1)
	s_or_b32 s24, s0, s24
	s_and_not1_b32 exec_lo, exec_lo, s24
	s_cbranch_execz .LBB104_19
.LBB104_15:                             ;   Parent Loop BB104_10 Depth=1
                                        ; =>  This Inner Loop Header: Depth=2
	global_load_b32 v0, v[20:21], off
	s_wait_loadcnt 0x0
	v_subrev_nc_u32_e32 v35, s20, v0
	s_delay_alu instid0(VALU_DEP_1) | instskip(NEXT) | instid1(VALU_DEP_1)
	v_sub_nc_u32_e32 v0, 0, v35
	v_max_i32_e32 v0, v35, v0
	s_delay_alu instid0(VALU_DEP_1) | instskip(NEXT) | instid1(VALU_DEP_1)
	v_mul_u64_e32 v[42:43], s[14:15], v[0:1]
	v_mul_lo_u32 v42, v43, s16
	s_delay_alu instid0(VALU_DEP_1) | instskip(NEXT) | instid1(VALU_DEP_1)
	v_dual_sub_nc_u32 v0, v0, v42 :: v_dual_add_nc_u32 v42, 1, v43
	v_cmp_le_u32_e32 vcc_lo, s16, v0
	s_delay_alu instid0(VALU_DEP_2) | instskip(SKIP_1) | instid1(VALU_DEP_1)
	v_dual_cndmask_b32 v42, v43, v42 :: v_dual_ashrrev_i32 v43, 31, v35
	v_subrev_nc_u32_e32 v44, s16, v0
	v_dual_cndmask_b32 v0, v0, v44, vcc_lo :: v_dual_add_nc_u32 v44, 1, v42
	s_delay_alu instid0(VALU_DEP_1) | instskip(NEXT) | instid1(VALU_DEP_2)
	v_cmp_le_u32_e32 vcc_lo, s16, v0
	v_dual_cndmask_b32 v0, v42, v44, vcc_lo :: v_dual_bitop2_b32 v43, s17, v43 bitop3:0x14
	s_delay_alu instid0(VALU_DEP_1) | instskip(NEXT) | instid1(VALU_DEP_1)
	v_xor_b32_e32 v0, v0, v43
	v_dual_sub_nc_u32 v42, v0, v43 :: v_dual_mov_b32 v0, v19
	s_delay_alu instid0(VALU_DEP_1) | instskip(SKIP_3) | instid1(SALU_CYCLE_1)
	v_cmp_ne_u32_e64 s0, v42, v41
	v_cmp_eq_u32_e32 vcc_lo, v42, v41
	s_wait_xcnt 0x0
	s_and_saveexec_b32 s25, s0
	s_xor_b32 s0, exec_lo, s25
; %bb.16:                               ;   in Loop: Header=BB104_15 Depth=2
	v_min_i32_e32 v40, v42, v40
                                        ; implicit-def: $vgpr35
                                        ; implicit-def: $vgpr0
; %bb.17:                               ;   in Loop: Header=BB104_15 Depth=2
	s_or_saveexec_b32 s0, s0
	v_mov_b32_e32 v19, v18
	s_xor_b32 exec_lo, exec_lo, s0
	s_cbranch_execz .LBB104_14
; %bb.18:                               ;   in Loop: Header=BB104_15 Depth=2
	global_load_b64 v[42:43], v[22:23], off
	v_sub_nc_u32_e32 v19, v35, v3
	s_delay_alu instid0(VALU_DEP_1)
	v_lshl_add_u32 v35, v19, 3, v27
	v_mov_b32_e32 v19, v0
	ds_store_b8 v24, v39 offset:8192
	s_wait_loadcnt 0x0
	ds_store_b64 v35, v[42:43]
	s_branch .LBB104_14
.LBB104_19:                             ;   in Loop: Header=BB104_10 Depth=1
	s_or_b32 exec_lo, exec_lo, s24
.LBB104_20:                             ;   in Loop: Header=BB104_10 Depth=1
	s_delay_alu instid0(SALU_CYCLE_1)
	s_or_b32 exec_lo, exec_lo, s23
	ds_bpermute_b32 v0, v28, v19
	s_wait_dscnt 0x0
	ds_load_u8 v18, v24 offset:8192
	v_min_i32_e32 v0, v0, v19
	ds_bpermute_b32 v3, v29, v0
	s_wait_dscnt 0x0
	v_min_i32_e32 v0, v3, v0
	ds_bpermute_b32 v35, v30, v0
	v_and_b32_e32 v0, 1, v18
	s_delay_alu instid0(VALU_DEP_1)
	v_cmp_eq_u32_e32 vcc_lo, 1, v0
	v_mov_b32_e32 v0, 0
	s_and_saveexec_b32 s0, vcc_lo
	s_cbranch_execz .LBB104_9
; %bb.21:                               ;   in Loop: Header=BB104_10 Depth=1
	v_dual_ashrrev_i32 v3, 31, v2 :: v_dual_add_nc_u32 v0, s21, v41
	s_delay_alu instid0(VALU_DEP_1) | instskip(SKIP_2) | instid1(VALU_DEP_1)
	v_mul_u64_e32 v[18:19], s[18:19], v[2:3]
	global_store_b32 v2, v0, s[8:9] scale_offset
	v_lshlrev_b64_e32 v[18:19], 3, v[18:19]
	v_add_nc_u64_e32 v[20:21], v[4:5], v[18:19]
	v_add_nc_u64_e32 v[18:19], v[6:7], v[18:19]
	s_wait_xcnt 0x0
	s_and_saveexec_b32 s23, s6
	s_cbranch_execz .LBB104_25
; %bb.22:                               ;   in Loop: Header=BB104_10 Depth=1
	ds_load_b64 v[22:23], v31
	s_and_b32 vcc_lo, exec_lo, s4
	s_cbranch_vccz .LBB104_36
; %bb.23:                               ;   in Loop: Header=BB104_10 Depth=1
	v_lshl_add_u64 v[42:43], v[8:9], 3, v[20:21]
	s_wait_dscnt 0x0
	global_store_b64 v[42:43], v[22:23], off
	s_cbranch_execnz .LBB104_25
.LBB104_24:                             ;   in Loop: Header=BB104_10 Depth=1
	s_wait_dscnt 0x0
	global_store_b64 v[18:19], v[22:23], off
.LBB104_25:                             ;   in Loop: Header=BB104_10 Depth=1
	s_wait_xcnt 0x0
	s_or_b32 exec_lo, exec_lo, s23
	s_and_saveexec_b32 s23, s1
	s_cbranch_execz .LBB104_29
; %bb.26:                               ;   in Loop: Header=BB104_10 Depth=1
	s_and_not1_b32 vcc_lo, exec_lo, s4
	s_cbranch_vccnz .LBB104_37
; %bb.27:                               ;   in Loop: Header=BB104_10 Depth=1
	s_wait_dscnt 0x0
	ds_load_b64 v[22:23], v31 offset:32
	v_lshl_add_u64 v[42:43], v[10:11], 3, v[20:21]
	s_wait_dscnt 0x0
	global_store_b64 v[42:43], v[22:23], off
	s_cbranch_execnz .LBB104_29
.LBB104_28:                             ;   in Loop: Header=BB104_10 Depth=1
	s_wait_dscnt 0x0
	s_wait_xcnt 0x0
	ds_load_b64 v[22:23], v31 offset:32
	s_wait_dscnt 0x0
	global_store_b64 v[18:19], v[22:23], off offset:32
.LBB104_29:                             ;   in Loop: Header=BB104_10 Depth=1
	s_wait_xcnt 0x0
	s_or_b32 exec_lo, exec_lo, s23
	s_and_saveexec_b32 s23, s2
	s_cbranch_execz .LBB104_33
; %bb.30:                               ;   in Loop: Header=BB104_10 Depth=1
	s_and_not1_b32 vcc_lo, exec_lo, s4
	s_cbranch_vccnz .LBB104_38
; %bb.31:                               ;   in Loop: Header=BB104_10 Depth=1
	s_wait_dscnt 0x0
	ds_load_b64 v[22:23], v31 offset:64
	v_lshl_add_u64 v[42:43], v[12:13], 3, v[20:21]
	s_wait_dscnt 0x0
	global_store_b64 v[42:43], v[22:23], off
	s_cbranch_execnz .LBB104_33
.LBB104_32:                             ;   in Loop: Header=BB104_10 Depth=1
	s_wait_dscnt 0x0
	s_wait_xcnt 0x0
	ds_load_b64 v[22:23], v31 offset:64
	s_wait_dscnt 0x0
	global_store_b64 v[18:19], v[22:23], off offset:64
.LBB104_33:                             ;   in Loop: Header=BB104_10 Depth=1
	s_wait_xcnt 0x0
	s_or_b32 exec_lo, exec_lo, s23
	s_and_saveexec_b32 s23, s3
	s_cbranch_execz .LBB104_8
; %bb.34:                               ;   in Loop: Header=BB104_10 Depth=1
	s_and_not1_b32 vcc_lo, exec_lo, s4
	s_cbranch_vccnz .LBB104_39
; %bb.35:                               ;   in Loop: Header=BB104_10 Depth=1
	s_wait_dscnt 0x0
	ds_load_b64 v[22:23], v31 offset:96
	v_lshl_add_u64 v[20:21], v[14:15], 3, v[20:21]
	s_wait_dscnt 0x0
	global_store_b64 v[20:21], v[22:23], off
	s_cbranch_execnz .LBB104_8
	s_branch .LBB104_40
.LBB104_36:                             ;   in Loop: Header=BB104_10 Depth=1
	s_branch .LBB104_24
.LBB104_37:                             ;   in Loop: Header=BB104_10 Depth=1
	s_branch .LBB104_28
.LBB104_38:                             ;   in Loop: Header=BB104_10 Depth=1
	s_branch .LBB104_32
.LBB104_39:                             ;   in Loop: Header=BB104_10 Depth=1
.LBB104_40:                             ;   in Loop: Header=BB104_10 Depth=1
	s_wait_xcnt 0x0
	ds_load_b64 v[20:21], v31 offset:96
	s_wait_dscnt 0x0
	global_store_b64 v[18:19], v[20:21], off offset:96
	s_branch .LBB104_8
.LBB104_41:
	s_endpgm
	.section	.rodata,"a",@progbits
	.p2align	6, 0x0
	.amdhsa_kernel _ZN9rocsparseL44csr2gebsr_wavefront_per_row_multipass_kernelILi256ELi16ELi16ELi64EdEEv20rocsparse_direction_iiiiii21rocsparse_index_base_PKT3_PKiS7_S2_PS3_PiS9_
		.amdhsa_group_segment_fixed_size 8200
		.amdhsa_private_segment_fixed_size 0
		.amdhsa_kernarg_size 88
		.amdhsa_user_sgpr_count 2
		.amdhsa_user_sgpr_dispatch_ptr 0
		.amdhsa_user_sgpr_queue_ptr 0
		.amdhsa_user_sgpr_kernarg_segment_ptr 1
		.amdhsa_user_sgpr_dispatch_id 0
		.amdhsa_user_sgpr_kernarg_preload_length 0
		.amdhsa_user_sgpr_kernarg_preload_offset 0
		.amdhsa_user_sgpr_private_segment_size 0
		.amdhsa_wavefront_size32 1
		.amdhsa_uses_dynamic_stack 0
		.amdhsa_enable_private_segment 0
		.amdhsa_system_sgpr_workgroup_id_x 1
		.amdhsa_system_sgpr_workgroup_id_y 0
		.amdhsa_system_sgpr_workgroup_id_z 0
		.amdhsa_system_sgpr_workgroup_info 0
		.amdhsa_system_vgpr_workitem_id 0
		.amdhsa_next_free_vgpr 45
		.amdhsa_next_free_sgpr 26
		.amdhsa_named_barrier_count 0
		.amdhsa_reserve_vcc 1
		.amdhsa_float_round_mode_32 0
		.amdhsa_float_round_mode_16_64 0
		.amdhsa_float_denorm_mode_32 3
		.amdhsa_float_denorm_mode_16_64 3
		.amdhsa_fp16_overflow 0
		.amdhsa_memory_ordered 1
		.amdhsa_forward_progress 1
		.amdhsa_inst_pref_size 16
		.amdhsa_round_robin_scheduling 0
		.amdhsa_exception_fp_ieee_invalid_op 0
		.amdhsa_exception_fp_denorm_src 0
		.amdhsa_exception_fp_ieee_div_zero 0
		.amdhsa_exception_fp_ieee_overflow 0
		.amdhsa_exception_fp_ieee_underflow 0
		.amdhsa_exception_fp_ieee_inexact 0
		.amdhsa_exception_int_div_zero 0
	.end_amdhsa_kernel
	.section	.text._ZN9rocsparseL44csr2gebsr_wavefront_per_row_multipass_kernelILi256ELi16ELi16ELi64EdEEv20rocsparse_direction_iiiiii21rocsparse_index_base_PKT3_PKiS7_S2_PS3_PiS9_,"axG",@progbits,_ZN9rocsparseL44csr2gebsr_wavefront_per_row_multipass_kernelILi256ELi16ELi16ELi64EdEEv20rocsparse_direction_iiiiii21rocsparse_index_base_PKT3_PKiS7_S2_PS3_PiS9_,comdat
.Lfunc_end104:
	.size	_ZN9rocsparseL44csr2gebsr_wavefront_per_row_multipass_kernelILi256ELi16ELi16ELi64EdEEv20rocsparse_direction_iiiiii21rocsparse_index_base_PKT3_PKiS7_S2_PS3_PiS9_, .Lfunc_end104-_ZN9rocsparseL44csr2gebsr_wavefront_per_row_multipass_kernelILi256ELi16ELi16ELi64EdEEv20rocsparse_direction_iiiiii21rocsparse_index_base_PKT3_PKiS7_S2_PS3_PiS9_
                                        ; -- End function
	.set _ZN9rocsparseL44csr2gebsr_wavefront_per_row_multipass_kernelILi256ELi16ELi16ELi64EdEEv20rocsparse_direction_iiiiii21rocsparse_index_base_PKT3_PKiS7_S2_PS3_PiS9_.num_vgpr, 45
	.set _ZN9rocsparseL44csr2gebsr_wavefront_per_row_multipass_kernelILi256ELi16ELi16ELi64EdEEv20rocsparse_direction_iiiiii21rocsparse_index_base_PKT3_PKiS7_S2_PS3_PiS9_.num_agpr, 0
	.set _ZN9rocsparseL44csr2gebsr_wavefront_per_row_multipass_kernelILi256ELi16ELi16ELi64EdEEv20rocsparse_direction_iiiiii21rocsparse_index_base_PKT3_PKiS7_S2_PS3_PiS9_.numbered_sgpr, 26
	.set _ZN9rocsparseL44csr2gebsr_wavefront_per_row_multipass_kernelILi256ELi16ELi16ELi64EdEEv20rocsparse_direction_iiiiii21rocsparse_index_base_PKT3_PKiS7_S2_PS3_PiS9_.num_named_barrier, 0
	.set _ZN9rocsparseL44csr2gebsr_wavefront_per_row_multipass_kernelILi256ELi16ELi16ELi64EdEEv20rocsparse_direction_iiiiii21rocsparse_index_base_PKT3_PKiS7_S2_PS3_PiS9_.private_seg_size, 0
	.set _ZN9rocsparseL44csr2gebsr_wavefront_per_row_multipass_kernelILi256ELi16ELi16ELi64EdEEv20rocsparse_direction_iiiiii21rocsparse_index_base_PKT3_PKiS7_S2_PS3_PiS9_.uses_vcc, 1
	.set _ZN9rocsparseL44csr2gebsr_wavefront_per_row_multipass_kernelILi256ELi16ELi16ELi64EdEEv20rocsparse_direction_iiiiii21rocsparse_index_base_PKT3_PKiS7_S2_PS3_PiS9_.uses_flat_scratch, 0
	.set _ZN9rocsparseL44csr2gebsr_wavefront_per_row_multipass_kernelILi256ELi16ELi16ELi64EdEEv20rocsparse_direction_iiiiii21rocsparse_index_base_PKT3_PKiS7_S2_PS3_PiS9_.has_dyn_sized_stack, 0
	.set _ZN9rocsparseL44csr2gebsr_wavefront_per_row_multipass_kernelILi256ELi16ELi16ELi64EdEEv20rocsparse_direction_iiiiii21rocsparse_index_base_PKT3_PKiS7_S2_PS3_PiS9_.has_recursion, 0
	.set _ZN9rocsparseL44csr2gebsr_wavefront_per_row_multipass_kernelILi256ELi16ELi16ELi64EdEEv20rocsparse_direction_iiiiii21rocsparse_index_base_PKT3_PKiS7_S2_PS3_PiS9_.has_indirect_call, 0
	.section	.AMDGPU.csdata,"",@progbits
; Kernel info:
; codeLenInByte = 1932
; TotalNumSgprs: 28
; NumVgprs: 45
; ScratchSize: 0
; MemoryBound: 0
; FloatMode: 240
; IeeeMode: 1
; LDSByteSize: 8200 bytes/workgroup (compile time only)
; SGPRBlocks: 0
; VGPRBlocks: 2
; NumSGPRsForWavesPerEU: 28
; NumVGPRsForWavesPerEU: 45
; NamedBarCnt: 0
; Occupancy: 16
; WaveLimiterHint : 0
; COMPUTE_PGM_RSRC2:SCRATCH_EN: 0
; COMPUTE_PGM_RSRC2:USER_SGPR: 2
; COMPUTE_PGM_RSRC2:TRAP_HANDLER: 0
; COMPUTE_PGM_RSRC2:TGID_X_EN: 1
; COMPUTE_PGM_RSRC2:TGID_Y_EN: 0
; COMPUTE_PGM_RSRC2:TGID_Z_EN: 0
; COMPUTE_PGM_RSRC2:TIDIG_COMP_CNT: 0
	.section	.text._ZN9rocsparseL44csr2gebsr_wavefront_per_row_multipass_kernelILi256ELi16ELi16ELi32EdEEv20rocsparse_direction_iiiiii21rocsparse_index_base_PKT3_PKiS7_S2_PS3_PiS9_,"axG",@progbits,_ZN9rocsparseL44csr2gebsr_wavefront_per_row_multipass_kernelILi256ELi16ELi16ELi32EdEEv20rocsparse_direction_iiiiii21rocsparse_index_base_PKT3_PKiS7_S2_PS3_PiS9_,comdat
	.globl	_ZN9rocsparseL44csr2gebsr_wavefront_per_row_multipass_kernelILi256ELi16ELi16ELi32EdEEv20rocsparse_direction_iiiiii21rocsparse_index_base_PKT3_PKiS7_S2_PS3_PiS9_ ; -- Begin function _ZN9rocsparseL44csr2gebsr_wavefront_per_row_multipass_kernelILi256ELi16ELi16ELi32EdEEv20rocsparse_direction_iiiiii21rocsparse_index_base_PKT3_PKiS7_S2_PS3_PiS9_
	.p2align	8
	.type	_ZN9rocsparseL44csr2gebsr_wavefront_per_row_multipass_kernelILi256ELi16ELi16ELi32EdEEv20rocsparse_direction_iiiiii21rocsparse_index_base_PKT3_PKiS7_S2_PS3_PiS9_,@function
_ZN9rocsparseL44csr2gebsr_wavefront_per_row_multipass_kernelILi256ELi16ELi16ELi32EdEEv20rocsparse_direction_iiiiii21rocsparse_index_base_PKT3_PKiS7_S2_PS3_PiS9_: ; @_ZN9rocsparseL44csr2gebsr_wavefront_per_row_multipass_kernelILi256ELi16ELi16ELi32EdEEv20rocsparse_direction_iiiiii21rocsparse_index_base_PKT3_PKiS7_S2_PS3_PiS9_
; %bb.0:
	s_clause 0x1
	s_load_b128 s[8:11], s[0:1], 0xc
	s_load_b64 s[4:5], s[0:1], 0x0
	s_bfe_u32 s2, ttmp6, 0x4000c
	s_and_b32 s3, ttmp6, 15
	s_add_co_i32 s2, s2, 1
	s_getreg_b32 s6, hwreg(HW_REG_IB_STS2, 6, 4)
	s_mul_i32 s2, ttmp9, s2
	v_dual_lshrrev_b32 v32, 5, v0 :: v_dual_mov_b32 v2, 0
	s_add_co_i32 s3, s3, s2
	s_cmp_eq_u32 s6, 0
	v_bfe_u32 v1, v0, 1, 4
	s_cselect_b32 s2, ttmp9, s3
	s_clause 0x1
	s_load_b32 s24, s[0:1], 0x1c
	s_load_b64 s[6:7], s[0:1], 0x28
	v_lshl_or_b32 v3, s2, 3, v32
	v_mov_b32_e32 v44, 0
	s_wait_kmcnt 0x0
	s_delay_alu instid0(VALU_DEP_2) | instskip(SKIP_1) | instid1(VALU_DEP_2)
	v_mad_u32 v4, v3, s10, v1
	v_cmp_gt_i32_e32 vcc_lo, s10, v1
	v_cmp_gt_i32_e64 s2, s5, v4
	s_and_b32 s2, vcc_lo, s2
	s_delay_alu instid0(SALU_CYCLE_1)
	s_and_saveexec_b32 s3, s2
	s_cbranch_execz .LBB105_2
; %bb.1:
	global_load_b32 v5, v4, s[6:7] scale_offset
	s_wait_loadcnt 0x0
	v_subrev_nc_u32_e32 v44, s24, v5
.LBB105_2:
	s_or_b32 exec_lo, exec_lo, s3
	v_mov_b32_e32 v33, 0
	s_and_saveexec_b32 s3, s2
	s_cbranch_execz .LBB105_4
; %bb.3:
	global_load_b32 v4, v4, s[6:7] offset:4 scale_offset
	s_wait_loadcnt 0x0
	v_subrev_nc_u32_e32 v33, s24, v4
.LBB105_4:
	s_or_b32 exec_lo, exec_lo, s3
	s_load_b32 s25, s[0:1], 0x38
	s_mov_b32 s3, exec_lo
	v_cmpx_gt_i32_e64 s8, v3
	s_cbranch_execz .LBB105_6
; %bb.5:
	s_load_b64 s[6:7], s[0:1], 0x48
	s_wait_kmcnt 0x0
	global_load_b32 v2, v3, s[6:7] scale_offset
	s_wait_loadcnt 0x0
	v_subrev_nc_u32_e32 v2, s25, v2
.LBB105_6:
	s_or_b32 exec_lo, exec_lo, s3
	s_cmp_lt_i32 s9, 1
	s_cbranch_scc1 .LBB105_61
; %bb.7:
	v_mbcnt_lo_u32_b32 v3, -1, 0
	s_clause 0x3
	s_load_b64 s[12:13], s[0:1], 0x50
	s_load_b64 s[2:3], s[0:1], 0x40
	;; [unrolled: 1-line block ×4, first 2 shown]
	v_and_b32_e32 v34, 1, v0
	v_mul_lo_u32 v6, s11, v1
	s_cmp_lg_u32 s4, 0
	v_dual_lshlrev_b32 v0, 7, v1 :: v_dual_bitop2_b32 v4, 1, v3 bitop3:0x14
	s_mov_b32 s19, 0
	s_cselect_b32 s8, -1, 0
	s_mov_b32 s18, s10
	s_wait_xcnt 0x0
	v_cmp_gt_i32_e64 s0, 32, v4
	v_lshl_or_b32 v35, v32, 11, v0
	v_lshlrev_b32_e32 v0, 3, v1
	s_ashr_i32 s21, s11, 31
	s_mov_b32 s20, s11
	v_dual_cndmask_b32 v4, v3, v4, s0 :: v_dual_lshlrev_b32 v8, 3, v34
	v_ashrrev_i32_e32 v7, 31, v6
	s_mul_u64 s[22:23], s[20:21], s[18:19]
	s_lshl_b32 s18, s10, 1
	s_delay_alu instid0(VALU_DEP_2)
	v_dual_lshlrev_b32 v37, 2, v4 :: v_dual_mov_b32 v1, 0
	v_or_b32_e32 v38, v35, v8
	s_wait_kmcnt 0x0
	v_lshl_add_u64 v[10:11], v[6:7], 3, s[2:3]
	v_lshl_or_b32 v36, v3, 2, 4
	v_mov_b64_e32 v[24:25], 0
	v_add_nc_u64_e32 v[4:5], s[2:3], v[0:1]
	v_dual_mov_b32 v9, v1 :: v_dual_bitop2_b32 v0, 16, v3 bitop3:0x14
	v_dual_mov_b32 v46, 1 :: v_dual_bitop2_b32 v45, -2, v34 bitop3:0x54
	v_mov_b32_e32 v48, 0
	s_delay_alu instid0(VALU_DEP_3) | instskip(SKIP_3) | instid1(VALU_DEP_4)
	v_cmp_gt_i32_e64 s0, 32, v0
	v_xor_b32_e32 v6, 8, v3
	v_add_nc_u64_e32 v[8:9], v[10:11], v[8:9]
	v_dual_mov_b32 v15, v1 :: v_dual_mov_b32 v11, v1
	v_cndmask_b32_e64 v0, v3, v0, s0
	s_delay_alu instid0(VALU_DEP_4) | instskip(SKIP_3) | instid1(VALU_DEP_4)
	v_cmp_gt_i32_e64 s0, 32, v6
	v_xor_b32_e32 v7, 4, v3
	v_xor_b32_e32 v12, 2, v3
	v_mov_b32_e32 v43, 0x7c
	v_dual_lshlrev_b32 v39, 2, v0 :: v_dual_cndmask_b32 v13, v3, v6, s0
	v_mul_lo_u32 v6, v34, s10
	v_cmp_gt_i32_e64 s0, 32, v7
	s_abs_i32 s10, s11
	v_or_b32_e32 v0, 2, v34
	s_cvt_f32_u32 s5, s10
	v_dual_mov_b32 v17, v1 :: v_dual_cndmask_b32 v7, v3, v7, s0
	v_cmp_gt_i32_e64 s0, 32, v12
	s_delay_alu instid0(SALU_CYCLE_1) | instskip(SKIP_1) | instid1(VALU_DEP_2)
	v_rcp_iflag_f32_e32 v22, s5
	v_dual_mov_b32 v19, v1 :: v_dual_mov_b32 v21, v1
	v_dual_add_nc_u32 v10, s18, v6 :: v_dual_cndmask_b32 v3, v3, v12, s0
	v_dual_lshlrev_b32 v40, 2, v13 :: v_dual_lshlrev_b32 v41, 2, v7
	s_delay_alu instid0(VALU_DEP_2) | instskip(NEXT) | instid1(VALU_DEP_3)
	v_dual_mov_b32 v13, v1 :: v_dual_add_nc_u32 v12, s18, v10
	v_dual_lshlrev_b32 v42, 2, v3 :: v_dual_bitop2_b32 v3, 4, v34 bitop3:0x54
	v_mov_b32_e32 v7, v1
	v_cmp_gt_u32_e64 s1, s11, v0
	s_delay_alu instid0(VALU_DEP_4) | instskip(SKIP_3) | instid1(VALU_DEP_4)
	v_dual_add_nc_u32 v14, s18, v12 :: v_dual_bitop2_b32 v0, 6, v34 bitop3:0x54
	v_cmp_gt_u32_e64 s0, s11, v34
	v_readfirstlane_b32 s26, v22
	v_cmp_gt_u32_e64 s2, s11, v3
	v_add_nc_u32_e32 v16, s18, v14
	v_cmp_gt_u32_e64 s3, s11, v0
	v_or_b32_e32 v0, 10, v34
	v_or_b32_e32 v3, 8, v34
	s_and_b32 s20, s0, vcc_lo
	v_add_nc_u32_e32 v18, s18, v16
	s_mul_f32 s0, s26, 0x4f7ffffe
	v_cmp_gt_u32_e64 s5, s11, v0
	v_cmp_gt_u32_e64 s4, s11, v3
	v_or_b32_e32 v3, 12, v34
	v_dual_mov_b32 v23, v1 :: v_dual_add_nc_u32 v20, s18, v18
	v_or_b32_e32 v0, 14, v34
	s_cvt_u32_f32 s0, s0
	s_delay_alu instid0(VALU_DEP_3) | instskip(NEXT) | instid1(VALU_DEP_3)
	v_cmp_gt_u32_e64 s6, s11, v3
	v_add_nc_u32_e32 v22, s18, v20
	s_sub_co_i32 s18, 0, s10
	v_cmp_gt_u32_e64 s7, s11, v0
	s_mul_i32 s18, s18, s0
	s_and_b32 s1, vcc_lo, s1
	s_mul_hi_u32 s18, s0, s18
	s_and_b32 s2, vcc_lo, s2
	s_and_b32 s3, vcc_lo, s3
	;; [unrolled: 1-line block ×6, first 2 shown]
	s_add_co_i32 s18, s0, s18
	s_mov_b32 s26, s19
	s_branch .LBB105_10
.LBB105_8:                              ;   in Loop: Header=BB105_10 Depth=1
	s_wait_xcnt 0x0
	s_or_b32 exec_lo, exec_lo, s27
	v_mov_b32_e32 v0, 1
.LBB105_9:                              ;   in Loop: Header=BB105_10 Depth=1
	s_or_b32 exec_lo, exec_lo, s0
	ds_bpermute_b32 v3, v39, v47
	s_wait_storecnt_dscnt 0x0
	v_dual_add_nc_u32 v2, v0, v2 :: v_dual_min_i32 v3, v3, v47
	ds_bpermute_b32 v26, v40, v3
	s_wait_dscnt 0x0
	v_min_i32_e32 v3, v26, v3
	ds_bpermute_b32 v26, v41, v3
	s_wait_dscnt 0x0
	v_min_i32_e32 v3, v26, v3
	;; [unrolled: 3-line block ×4, first 2 shown]
	ds_bpermute_b32 v48, v43, v3
	s_wait_dscnt 0x0
	v_cmp_le_i32_e32 vcc_lo, s9, v48
	s_or_b32 s26, vcc_lo, s26
	s_delay_alu instid0(SALU_CYCLE_1)
	s_and_not1_b32 exec_lo, exec_lo, s26
	s_cbranch_execz .LBB105_61
.LBB105_10:                             ; =>This Loop Header: Depth=1
                                        ;     Child Loop BB105_11 Depth 2
                                        ;     Child Loop BB105_15 Depth 2
	v_dual_mov_b32 v0, v38 :: v_dual_mov_b32 v3, v45
	s_mov_b32 s0, 0
	ds_store_b8 v32, v1 offset:16384
.LBB105_11:                             ;   Parent Loop BB105_10 Depth=1
                                        ; =>  This Inner Loop Header: Depth=2
	v_add_nc_u32_e32 v3, 2, v3
	ds_store_b64 v0, v[24:25]
	v_add_nc_u32_e32 v0, 16, v0
	v_cmp_lt_u32_e32 vcc_lo, 13, v3
	s_or_b32 s0, vcc_lo, s0
	s_delay_alu instid0(SALU_CYCLE_1)
	s_and_not1_b32 exec_lo, exec_lo, s0
	s_cbranch_execnz .LBB105_11
; %bb.12:                               ;   in Loop: Header=BB105_10 Depth=1
	s_or_b32 exec_lo, exec_lo, s0
	v_dual_mov_b32 v47, s9 :: v_dual_add_nc_u32 v26, v44, v34
	v_mov_b32_e32 v27, v33
	s_mov_b32 s27, exec_lo
	s_wait_dscnt 0x0
	s_delay_alu instid0(VALU_DEP_2)
	v_cmpx_lt_i32_e64 v26, v33
	s_cbranch_execz .LBB105_20
; %bb.13:                               ;   in Loop: Header=BB105_10 Depth=1
	v_mul_lo_u32 v3, v48, s11
	v_dual_ashrrev_i32 v27, 31, v26 :: v_dual_mov_b32 v47, s9
	s_mov_b32 s28, 0
	s_delay_alu instid0(VALU_DEP_1)
	v_lshl_add_u64 v[28:29], v[26:27], 2, s[16:17]
	v_lshl_add_u64 v[30:31], v[26:27], 3, s[14:15]
	v_mov_b32_e32 v27, v33
	s_branch .LBB105_15
.LBB105_14:                             ;   in Loop: Header=BB105_15 Depth=2
	s_wait_xcnt 0x0
	s_or_b32 exec_lo, exec_lo, s0
	v_add_nc_u32_e32 v26, 2, v26
	s_xor_b32 s29, vcc_lo, -1
	v_add_nc_u64_e32 v[28:29], 8, v[28:29]
	v_add_nc_u64_e32 v[30:31], 16, v[30:31]
	s_delay_alu instid0(VALU_DEP_3) | instskip(SKIP_1) | instid1(SALU_CYCLE_1)
	v_cmp_ge_i32_e64 s0, v26, v33
	s_or_b32 s0, s29, s0
	s_and_b32 s0, exec_lo, s0
	s_delay_alu instid0(SALU_CYCLE_1) | instskip(NEXT) | instid1(SALU_CYCLE_1)
	s_or_b32 s28, s0, s28
	s_and_not1_b32 exec_lo, exec_lo, s28
	s_cbranch_execz .LBB105_19
.LBB105_15:                             ;   Parent Loop BB105_10 Depth=1
                                        ; =>  This Inner Loop Header: Depth=2
	global_load_b32 v0, v[28:29], off
	s_wait_loadcnt 0x0
	v_subrev_nc_u32_e32 v44, s24, v0
	s_delay_alu instid0(VALU_DEP_1) | instskip(NEXT) | instid1(VALU_DEP_1)
	v_sub_nc_u32_e32 v0, 0, v44
	v_max_i32_e32 v0, v44, v0
	s_delay_alu instid0(VALU_DEP_1) | instskip(NEXT) | instid1(VALU_DEP_1)
	v_mul_u64_e32 v[50:51], s[18:19], v[0:1]
	v_mul_lo_u32 v49, v51, s10
	s_delay_alu instid0(VALU_DEP_1) | instskip(NEXT) | instid1(VALU_DEP_1)
	v_dual_sub_nc_u32 v0, v0, v49 :: v_dual_add_nc_u32 v49, 1, v51
	v_cmp_le_u32_e32 vcc_lo, s10, v0
	s_delay_alu instid0(VALU_DEP_2) | instskip(SKIP_1) | instid1(VALU_DEP_1)
	v_dual_cndmask_b32 v49, v51, v49, vcc_lo :: v_dual_ashrrev_i32 v51, 31, v44
	v_subrev_nc_u32_e32 v50, s10, v0
	v_dual_cndmask_b32 v0, v0, v50, vcc_lo :: v_dual_add_nc_u32 v50, 1, v49
	s_delay_alu instid0(VALU_DEP_1) | instskip(NEXT) | instid1(VALU_DEP_2)
	v_cmp_le_u32_e32 vcc_lo, s10, v0
	v_dual_cndmask_b32 v0, v49, v50, vcc_lo :: v_dual_bitop2_b32 v51, s21, v51 bitop3:0x14
	s_delay_alu instid0(VALU_DEP_1) | instskip(NEXT) | instid1(VALU_DEP_1)
	v_xor_b32_e32 v0, v0, v51
	v_dual_mov_b32 v0, v27 :: v_dual_sub_nc_u32 v49, v0, v51
	s_delay_alu instid0(VALU_DEP_1) | instskip(SKIP_3) | instid1(SALU_CYCLE_1)
	v_cmp_ne_u32_e64 s0, v49, v48
	v_cmp_eq_u32_e32 vcc_lo, v49, v48
	s_wait_xcnt 0x0
	s_and_saveexec_b32 s29, s0
	s_xor_b32 s0, exec_lo, s29
; %bb.16:                               ;   in Loop: Header=BB105_15 Depth=2
	v_min_i32_e32 v47, v49, v47
                                        ; implicit-def: $vgpr44
                                        ; implicit-def: $vgpr0
; %bb.17:                               ;   in Loop: Header=BB105_15 Depth=2
	s_or_saveexec_b32 s0, s0
	v_mov_b32_e32 v27, v26
	s_xor_b32 exec_lo, exec_lo, s0
	s_cbranch_execz .LBB105_14
; %bb.18:                               ;   in Loop: Header=BB105_15 Depth=2
	global_load_b64 v[50:51], v[30:31], off
	v_sub_nc_u32_e32 v27, v44, v3
	s_delay_alu instid0(VALU_DEP_1)
	v_lshl_add_u32 v44, v27, 3, v35
	v_mov_b32_e32 v27, v0
	ds_store_b8 v32, v46 offset:16384
	s_wait_loadcnt 0x0
	ds_store_b64 v44, v[50:51]
	s_branch .LBB105_14
.LBB105_19:                             ;   in Loop: Header=BB105_10 Depth=1
	s_or_b32 exec_lo, exec_lo, s28
.LBB105_20:                             ;   in Loop: Header=BB105_10 Depth=1
	s_delay_alu instid0(SALU_CYCLE_1)
	s_or_b32 exec_lo, exec_lo, s27
	ds_bpermute_b32 v0, v37, v27
	s_wait_dscnt 0x0
	ds_load_u8 v3, v32 offset:16384
	v_min_i32_e32 v0, v0, v27
	ds_bpermute_b32 v44, v36, v0
	s_wait_dscnt 0x1
	v_and_b32_e32 v0, 1, v3
	s_delay_alu instid0(VALU_DEP_1)
	v_cmp_eq_u32_e32 vcc_lo, 1, v0
	v_mov_b32_e32 v0, 0
	s_and_saveexec_b32 s0, vcc_lo
	s_cbranch_execz .LBB105_9
; %bb.21:                               ;   in Loop: Header=BB105_10 Depth=1
	v_dual_ashrrev_i32 v3, 31, v2 :: v_dual_add_nc_u32 v0, s25, v48
	s_delay_alu instid0(VALU_DEP_1) | instskip(SKIP_2) | instid1(VALU_DEP_1)
	v_mul_u64_e32 v[26:27], s[22:23], v[2:3]
	global_store_b32 v2, v0, s[12:13] scale_offset
	v_lshlrev_b64_e32 v[26:27], 3, v[26:27]
	v_add_nc_u64_e32 v[28:29], v[4:5], v[26:27]
	v_add_nc_u64_e32 v[26:27], v[8:9], v[26:27]
	s_wait_xcnt 0x0
	s_and_saveexec_b32 s27, s20
	s_cbranch_execz .LBB105_25
; %bb.22:                               ;   in Loop: Header=BB105_10 Depth=1
	ds_load_b64 v[30:31], v38
	s_and_b32 vcc_lo, exec_lo, s8
	s_cbranch_vccz .LBB105_52
; %bb.23:                               ;   in Loop: Header=BB105_10 Depth=1
	v_lshl_add_u64 v[48:49], v[6:7], 3, v[28:29]
	s_wait_dscnt 0x0
	global_store_b64 v[48:49], v[30:31], off
	s_cbranch_execnz .LBB105_25
.LBB105_24:                             ;   in Loop: Header=BB105_10 Depth=1
	s_wait_dscnt 0x0
	global_store_b64 v[26:27], v[30:31], off
.LBB105_25:                             ;   in Loop: Header=BB105_10 Depth=1
	s_wait_xcnt 0x0
	s_or_b32 exec_lo, exec_lo, s27
	s_and_saveexec_b32 s27, s1
	s_cbranch_execz .LBB105_29
; %bb.26:                               ;   in Loop: Header=BB105_10 Depth=1
	s_and_not1_b32 vcc_lo, exec_lo, s8
	s_cbranch_vccnz .LBB105_53
; %bb.27:                               ;   in Loop: Header=BB105_10 Depth=1
	s_wait_dscnt 0x0
	ds_load_b64 v[30:31], v38 offset:16
	v_lshl_add_u64 v[48:49], v[10:11], 3, v[28:29]
	s_wait_dscnt 0x0
	global_store_b64 v[48:49], v[30:31], off
	s_cbranch_execnz .LBB105_29
.LBB105_28:                             ;   in Loop: Header=BB105_10 Depth=1
	s_wait_dscnt 0x0
	s_wait_xcnt 0x0
	ds_load_b64 v[30:31], v38 offset:16
	s_wait_dscnt 0x0
	global_store_b64 v[26:27], v[30:31], off offset:16
.LBB105_29:                             ;   in Loop: Header=BB105_10 Depth=1
	s_wait_xcnt 0x0
	s_or_b32 exec_lo, exec_lo, s27
	s_and_saveexec_b32 s27, s2
	s_cbranch_execz .LBB105_33
; %bb.30:                               ;   in Loop: Header=BB105_10 Depth=1
	s_and_not1_b32 vcc_lo, exec_lo, s8
	s_cbranch_vccnz .LBB105_54
; %bb.31:                               ;   in Loop: Header=BB105_10 Depth=1
	s_wait_dscnt 0x0
	ds_load_b64 v[30:31], v38 offset:32
	v_lshl_add_u64 v[48:49], v[12:13], 3, v[28:29]
	s_wait_dscnt 0x0
	global_store_b64 v[48:49], v[30:31], off
	s_cbranch_execnz .LBB105_33
.LBB105_32:                             ;   in Loop: Header=BB105_10 Depth=1
	s_wait_dscnt 0x0
	s_wait_xcnt 0x0
	ds_load_b64 v[30:31], v38 offset:32
	s_wait_dscnt 0x0
	global_store_b64 v[26:27], v[30:31], off offset:32
.LBB105_33:                             ;   in Loop: Header=BB105_10 Depth=1
	s_wait_xcnt 0x0
	s_or_b32 exec_lo, exec_lo, s27
	s_and_saveexec_b32 s27, s3
	s_cbranch_execz .LBB105_37
; %bb.34:                               ;   in Loop: Header=BB105_10 Depth=1
	s_and_not1_b32 vcc_lo, exec_lo, s8
	s_cbranch_vccnz .LBB105_55
; %bb.35:                               ;   in Loop: Header=BB105_10 Depth=1
	s_wait_dscnt 0x0
	ds_load_b64 v[30:31], v38 offset:48
	v_lshl_add_u64 v[48:49], v[14:15], 3, v[28:29]
	s_wait_dscnt 0x0
	global_store_b64 v[48:49], v[30:31], off
	s_cbranch_execnz .LBB105_37
.LBB105_36:                             ;   in Loop: Header=BB105_10 Depth=1
	s_wait_dscnt 0x0
	s_wait_xcnt 0x0
	ds_load_b64 v[30:31], v38 offset:48
	s_wait_dscnt 0x0
	global_store_b64 v[26:27], v[30:31], off offset:48
.LBB105_37:                             ;   in Loop: Header=BB105_10 Depth=1
	s_wait_xcnt 0x0
	s_or_b32 exec_lo, exec_lo, s27
	s_and_saveexec_b32 s27, s4
	s_cbranch_execz .LBB105_41
; %bb.38:                               ;   in Loop: Header=BB105_10 Depth=1
	s_and_not1_b32 vcc_lo, exec_lo, s8
	s_cbranch_vccnz .LBB105_56
; %bb.39:                               ;   in Loop: Header=BB105_10 Depth=1
	s_wait_dscnt 0x0
	ds_load_b64 v[30:31], v38 offset:64
	v_lshl_add_u64 v[48:49], v[16:17], 3, v[28:29]
	s_wait_dscnt 0x0
	global_store_b64 v[48:49], v[30:31], off
	s_cbranch_execnz .LBB105_41
.LBB105_40:                             ;   in Loop: Header=BB105_10 Depth=1
	s_wait_dscnt 0x0
	s_wait_xcnt 0x0
	ds_load_b64 v[30:31], v38 offset:64
	s_wait_dscnt 0x0
	global_store_b64 v[26:27], v[30:31], off offset:64
.LBB105_41:                             ;   in Loop: Header=BB105_10 Depth=1
	s_wait_xcnt 0x0
	s_or_b32 exec_lo, exec_lo, s27
	s_and_saveexec_b32 s27, s5
	s_cbranch_execz .LBB105_45
; %bb.42:                               ;   in Loop: Header=BB105_10 Depth=1
	s_and_not1_b32 vcc_lo, exec_lo, s8
	s_cbranch_vccnz .LBB105_57
; %bb.43:                               ;   in Loop: Header=BB105_10 Depth=1
	s_wait_dscnt 0x0
	ds_load_b64 v[30:31], v38 offset:80
	v_lshl_add_u64 v[48:49], v[18:19], 3, v[28:29]
	s_wait_dscnt 0x0
	global_store_b64 v[48:49], v[30:31], off
	s_cbranch_execnz .LBB105_45
.LBB105_44:                             ;   in Loop: Header=BB105_10 Depth=1
	s_wait_dscnt 0x0
	s_wait_xcnt 0x0
	ds_load_b64 v[30:31], v38 offset:80
	s_wait_dscnt 0x0
	global_store_b64 v[26:27], v[30:31], off offset:80
.LBB105_45:                             ;   in Loop: Header=BB105_10 Depth=1
	s_wait_xcnt 0x0
	s_or_b32 exec_lo, exec_lo, s27
	s_and_saveexec_b32 s27, s6
	s_cbranch_execz .LBB105_49
; %bb.46:                               ;   in Loop: Header=BB105_10 Depth=1
	s_and_not1_b32 vcc_lo, exec_lo, s8
	s_cbranch_vccnz .LBB105_58
; %bb.47:                               ;   in Loop: Header=BB105_10 Depth=1
	s_wait_dscnt 0x0
	ds_load_b64 v[30:31], v38 offset:96
	v_lshl_add_u64 v[48:49], v[20:21], 3, v[28:29]
	s_wait_dscnt 0x0
	global_store_b64 v[48:49], v[30:31], off
	s_cbranch_execnz .LBB105_49
.LBB105_48:                             ;   in Loop: Header=BB105_10 Depth=1
	s_wait_dscnt 0x0
	s_wait_xcnt 0x0
	ds_load_b64 v[30:31], v38 offset:96
	s_wait_dscnt 0x0
	global_store_b64 v[26:27], v[30:31], off offset:96
.LBB105_49:                             ;   in Loop: Header=BB105_10 Depth=1
	s_wait_xcnt 0x0
	s_or_b32 exec_lo, exec_lo, s27
	s_and_saveexec_b32 s27, s7
	s_cbranch_execz .LBB105_8
; %bb.50:                               ;   in Loop: Header=BB105_10 Depth=1
	s_and_not1_b32 vcc_lo, exec_lo, s8
	s_cbranch_vccnz .LBB105_59
; %bb.51:                               ;   in Loop: Header=BB105_10 Depth=1
	s_wait_dscnt 0x0
	ds_load_b64 v[30:31], v38 offset:112
	v_lshl_add_u64 v[28:29], v[22:23], 3, v[28:29]
	s_wait_dscnt 0x0
	global_store_b64 v[28:29], v[30:31], off
	s_cbranch_execnz .LBB105_8
	s_branch .LBB105_60
.LBB105_52:                             ;   in Loop: Header=BB105_10 Depth=1
	s_branch .LBB105_24
.LBB105_53:                             ;   in Loop: Header=BB105_10 Depth=1
	s_branch .LBB105_28
.LBB105_54:                             ;   in Loop: Header=BB105_10 Depth=1
	s_branch .LBB105_32
.LBB105_55:                             ;   in Loop: Header=BB105_10 Depth=1
	s_branch .LBB105_36
.LBB105_56:                             ;   in Loop: Header=BB105_10 Depth=1
	s_branch .LBB105_40
.LBB105_57:                             ;   in Loop: Header=BB105_10 Depth=1
	s_branch .LBB105_44
.LBB105_58:                             ;   in Loop: Header=BB105_10 Depth=1
	s_branch .LBB105_48
.LBB105_59:                             ;   in Loop: Header=BB105_10 Depth=1
.LBB105_60:                             ;   in Loop: Header=BB105_10 Depth=1
	s_wait_xcnt 0x0
	ds_load_b64 v[28:29], v38 offset:112
	s_wait_dscnt 0x0
	global_store_b64 v[26:27], v[28:29], off offset:112
	s_branch .LBB105_8
.LBB105_61:
	s_endpgm
	.section	.rodata,"a",@progbits
	.p2align	6, 0x0
	.amdhsa_kernel _ZN9rocsparseL44csr2gebsr_wavefront_per_row_multipass_kernelILi256ELi16ELi16ELi32EdEEv20rocsparse_direction_iiiiii21rocsparse_index_base_PKT3_PKiS7_S2_PS3_PiS9_
		.amdhsa_group_segment_fixed_size 16392
		.amdhsa_private_segment_fixed_size 0
		.amdhsa_kernarg_size 88
		.amdhsa_user_sgpr_count 2
		.amdhsa_user_sgpr_dispatch_ptr 0
		.amdhsa_user_sgpr_queue_ptr 0
		.amdhsa_user_sgpr_kernarg_segment_ptr 1
		.amdhsa_user_sgpr_dispatch_id 0
		.amdhsa_user_sgpr_kernarg_preload_length 0
		.amdhsa_user_sgpr_kernarg_preload_offset 0
		.amdhsa_user_sgpr_private_segment_size 0
		.amdhsa_wavefront_size32 1
		.amdhsa_uses_dynamic_stack 0
		.amdhsa_enable_private_segment 0
		.amdhsa_system_sgpr_workgroup_id_x 1
		.amdhsa_system_sgpr_workgroup_id_y 0
		.amdhsa_system_sgpr_workgroup_id_z 0
		.amdhsa_system_sgpr_workgroup_info 0
		.amdhsa_system_vgpr_workitem_id 0
		.amdhsa_next_free_vgpr 52
		.amdhsa_next_free_sgpr 30
		.amdhsa_named_barrier_count 0
		.amdhsa_reserve_vcc 1
		.amdhsa_float_round_mode_32 0
		.amdhsa_float_round_mode_16_64 0
		.amdhsa_float_denorm_mode_32 3
		.amdhsa_float_denorm_mode_16_64 3
		.amdhsa_fp16_overflow 0
		.amdhsa_memory_ordered 1
		.amdhsa_forward_progress 1
		.amdhsa_inst_pref_size 19
		.amdhsa_round_robin_scheduling 0
		.amdhsa_exception_fp_ieee_invalid_op 0
		.amdhsa_exception_fp_denorm_src 0
		.amdhsa_exception_fp_ieee_div_zero 0
		.amdhsa_exception_fp_ieee_overflow 0
		.amdhsa_exception_fp_ieee_underflow 0
		.amdhsa_exception_fp_ieee_inexact 0
		.amdhsa_exception_int_div_zero 0
	.end_amdhsa_kernel
	.section	.text._ZN9rocsparseL44csr2gebsr_wavefront_per_row_multipass_kernelILi256ELi16ELi16ELi32EdEEv20rocsparse_direction_iiiiii21rocsparse_index_base_PKT3_PKiS7_S2_PS3_PiS9_,"axG",@progbits,_ZN9rocsparseL44csr2gebsr_wavefront_per_row_multipass_kernelILi256ELi16ELi16ELi32EdEEv20rocsparse_direction_iiiiii21rocsparse_index_base_PKT3_PKiS7_S2_PS3_PiS9_,comdat
.Lfunc_end105:
	.size	_ZN9rocsparseL44csr2gebsr_wavefront_per_row_multipass_kernelILi256ELi16ELi16ELi32EdEEv20rocsparse_direction_iiiiii21rocsparse_index_base_PKT3_PKiS7_S2_PS3_PiS9_, .Lfunc_end105-_ZN9rocsparseL44csr2gebsr_wavefront_per_row_multipass_kernelILi256ELi16ELi16ELi32EdEEv20rocsparse_direction_iiiiii21rocsparse_index_base_PKT3_PKiS7_S2_PS3_PiS9_
                                        ; -- End function
	.set _ZN9rocsparseL44csr2gebsr_wavefront_per_row_multipass_kernelILi256ELi16ELi16ELi32EdEEv20rocsparse_direction_iiiiii21rocsparse_index_base_PKT3_PKiS7_S2_PS3_PiS9_.num_vgpr, 52
	.set _ZN9rocsparseL44csr2gebsr_wavefront_per_row_multipass_kernelILi256ELi16ELi16ELi32EdEEv20rocsparse_direction_iiiiii21rocsparse_index_base_PKT3_PKiS7_S2_PS3_PiS9_.num_agpr, 0
	.set _ZN9rocsparseL44csr2gebsr_wavefront_per_row_multipass_kernelILi256ELi16ELi16ELi32EdEEv20rocsparse_direction_iiiiii21rocsparse_index_base_PKT3_PKiS7_S2_PS3_PiS9_.numbered_sgpr, 30
	.set _ZN9rocsparseL44csr2gebsr_wavefront_per_row_multipass_kernelILi256ELi16ELi16ELi32EdEEv20rocsparse_direction_iiiiii21rocsparse_index_base_PKT3_PKiS7_S2_PS3_PiS9_.num_named_barrier, 0
	.set _ZN9rocsparseL44csr2gebsr_wavefront_per_row_multipass_kernelILi256ELi16ELi16ELi32EdEEv20rocsparse_direction_iiiiii21rocsparse_index_base_PKT3_PKiS7_S2_PS3_PiS9_.private_seg_size, 0
	.set _ZN9rocsparseL44csr2gebsr_wavefront_per_row_multipass_kernelILi256ELi16ELi16ELi32EdEEv20rocsparse_direction_iiiiii21rocsparse_index_base_PKT3_PKiS7_S2_PS3_PiS9_.uses_vcc, 1
	.set _ZN9rocsparseL44csr2gebsr_wavefront_per_row_multipass_kernelILi256ELi16ELi16ELi32EdEEv20rocsparse_direction_iiiiii21rocsparse_index_base_PKT3_PKiS7_S2_PS3_PiS9_.uses_flat_scratch, 0
	.set _ZN9rocsparseL44csr2gebsr_wavefront_per_row_multipass_kernelILi256ELi16ELi16ELi32EdEEv20rocsparse_direction_iiiiii21rocsparse_index_base_PKT3_PKiS7_S2_PS3_PiS9_.has_dyn_sized_stack, 0
	.set _ZN9rocsparseL44csr2gebsr_wavefront_per_row_multipass_kernelILi256ELi16ELi16ELi32EdEEv20rocsparse_direction_iiiiii21rocsparse_index_base_PKT3_PKiS7_S2_PS3_PiS9_.has_recursion, 0
	.set _ZN9rocsparseL44csr2gebsr_wavefront_per_row_multipass_kernelILi256ELi16ELi16ELi32EdEEv20rocsparse_direction_iiiiii21rocsparse_index_base_PKT3_PKiS7_S2_PS3_PiS9_.has_indirect_call, 0
	.section	.AMDGPU.csdata,"",@progbits
; Kernel info:
; codeLenInByte = 2368
; TotalNumSgprs: 32
; NumVgprs: 52
; ScratchSize: 0
; MemoryBound: 0
; FloatMode: 240
; IeeeMode: 1
; LDSByteSize: 16392 bytes/workgroup (compile time only)
; SGPRBlocks: 0
; VGPRBlocks: 3
; NumSGPRsForWavesPerEU: 32
; NumVGPRsForWavesPerEU: 52
; NamedBarCnt: 0
; Occupancy: 16
; WaveLimiterHint : 0
; COMPUTE_PGM_RSRC2:SCRATCH_EN: 0
; COMPUTE_PGM_RSRC2:USER_SGPR: 2
; COMPUTE_PGM_RSRC2:TRAP_HANDLER: 0
; COMPUTE_PGM_RSRC2:TGID_X_EN: 1
; COMPUTE_PGM_RSRC2:TGID_Y_EN: 0
; COMPUTE_PGM_RSRC2:TGID_Z_EN: 0
; COMPUTE_PGM_RSRC2:TIDIG_COMP_CNT: 0
	.section	.text._ZN9rocsparseL40csr2gebsr_block_per_row_multipass_kernelILj128ELj16ELj32EdEEv20rocsparse_direction_iiiiii21rocsparse_index_base_PKT2_PKiS7_S2_PS3_PiS9_,"axG",@progbits,_ZN9rocsparseL40csr2gebsr_block_per_row_multipass_kernelILj128ELj16ELj32EdEEv20rocsparse_direction_iiiiii21rocsparse_index_base_PKT2_PKiS7_S2_PS3_PiS9_,comdat
	.globl	_ZN9rocsparseL40csr2gebsr_block_per_row_multipass_kernelILj128ELj16ELj32EdEEv20rocsparse_direction_iiiiii21rocsparse_index_base_PKT2_PKiS7_S2_PS3_PiS9_ ; -- Begin function _ZN9rocsparseL40csr2gebsr_block_per_row_multipass_kernelILj128ELj16ELj32EdEEv20rocsparse_direction_iiiiii21rocsparse_index_base_PKT2_PKiS7_S2_PS3_PiS9_
	.p2align	8
	.type	_ZN9rocsparseL40csr2gebsr_block_per_row_multipass_kernelILj128ELj16ELj32EdEEv20rocsparse_direction_iiiiii21rocsparse_index_base_PKT2_PKiS7_S2_PS3_PiS9_,@function
_ZN9rocsparseL40csr2gebsr_block_per_row_multipass_kernelILj128ELj16ELj32EdEEv20rocsparse_direction_iiiiii21rocsparse_index_base_PKT2_PKiS7_S2_PS3_PiS9_: ; @_ZN9rocsparseL40csr2gebsr_block_per_row_multipass_kernelILj128ELj16ELj32EdEEv20rocsparse_direction_iiiiii21rocsparse_index_base_PKT2_PKiS7_S2_PS3_PiS9_
; %bb.0:
	s_clause 0x1
	s_load_b128 s[12:15], s[0:1], 0x10
	s_load_b64 s[6:7], s[0:1], 0x0
	s_bfe_u32 s2, ttmp6, 0x4000c
	s_and_b32 s3, ttmp6, 15
	s_add_co_i32 s2, s2, 1
	s_getreg_b32 s4, hwreg(HW_REG_IB_STS2, 6, 4)
	s_mul_i32 s2, ttmp9, s2
	v_dual_mov_b32 v22, 0 :: v_dual_lshrrev_b32 v1, 3, v0
	s_add_co_i32 s3, s3, s2
	s_cmp_eq_u32 s4, 0
	s_load_b64 s[8:9], s[0:1], 0x28
	s_cselect_b32 s4, ttmp9, s3
	v_mov_b32_e32 v30, 0
	s_wait_kmcnt 0x0
	v_mad_u32 v2, s13, s4, v1
	v_cmp_gt_i32_e32 vcc_lo, s13, v1
	s_delay_alu instid0(VALU_DEP_2) | instskip(SKIP_1) | instid1(SALU_CYCLE_1)
	v_cmp_gt_i32_e64 s2, s7, v2
	s_and_b32 s2, vcc_lo, s2
	s_and_saveexec_b32 s3, s2
	s_cbranch_execnz .LBB106_3
; %bb.1:
	s_or_b32 exec_lo, exec_lo, s3
	s_and_saveexec_b32 s3, s2
	s_cbranch_execnz .LBB106_4
.LBB106_2:
	s_or_b32 exec_lo, exec_lo, s3
	s_cmp_lt_i32 s12, 1
	s_cbranch_scc0 .LBB106_5
	s_branch .LBB106_51
.LBB106_3:
	global_load_b32 v3, v2, s[8:9] scale_offset
	s_wait_loadcnt 0x0
	v_subrev_nc_u32_e32 v30, s15, v3
	s_or_b32 exec_lo, exec_lo, s3
	s_and_saveexec_b32 s3, s2
	s_cbranch_execz .LBB106_2
.LBB106_4:
	global_load_b32 v2, v2, s[8:9] offset:4 scale_offset
	s_wait_loadcnt 0x0
	v_subrev_nc_u32_e32 v22, s15, v2
	s_or_b32 exec_lo, exec_lo, s3
	s_cmp_lt_i32 s12, 1
	s_cbranch_scc1 .LBB106_51
.LBB106_5:
	s_clause 0x3
	s_load_b128 s[8:11], s[0:1], 0x40
	s_load_b64 s[20:21], s[0:1], 0x50
	s_load_b96 s[16:18], s[0:1], 0x30
	s_load_b64 s[22:23], s[0:1], 0x20
	v_mbcnt_lo_u32_b32 v5, -1, 0
	s_ashr_i32 s5, s4, 31
	v_dual_lshlrev_b32 v24, 8, v1 :: v_dual_bitop2_b32 v23, 7, v0 bitop3:0x40
	s_lshl_b64 s[4:5], s[4:5], 2
	v_dual_mov_b32 v3, 0 :: v_dual_lshlrev_b32 v2, 3, v1
	v_mul_lo_u32 v4, s14, v1
	v_xor_b32_e32 v1, 4, v5
	v_xor_b32_e32 v7, 1, v5
	s_delay_alu instid0(VALU_DEP_4)
	v_dual_mov_b32 v15, v3 :: v_dual_bitop2_b32 v6, 2, v5 bitop3:0x14
	v_lshl_or_b32 v26, v5, 2, 28
	v_mul_lo_u32 v8, v23, s13
	s_mov_b32 s24, s13
	v_dual_lshlrev_b32 v25, 2, v0 :: v_dual_lshlrev_b32 v14, 3, v23
	s_wait_kmcnt 0x0
	s_add_nc_u64 s[4:5], s[10:11], s[4:5]
	v_cmp_gt_u32_e64 s0, 64, v0
	s_load_b32 s10, s[4:5], 0x0
	s_wait_xcnt 0x0
	v_cmp_gt_i32_e64 s5, 32, v1
	v_cmp_gt_u32_e64 s1, 32, v0
	v_cmp_gt_u32_e64 s2, 16, v0
	v_cmp_gt_u32_e64 s3, 8, v0
	v_cmp_gt_u32_e64 s4, 4, v0
	v_cndmask_b32_e64 v1, v5, v1, s5
	v_cmp_gt_i32_e64 s5, 32, v6
	v_cmp_gt_u32_e64 s7, s14, v23
	s_mov_b32 s25, 0
	s_mov_b32 s26, s14
	v_dual_mov_b32 v13, v3 :: v_dual_add_nc_u32 v31, v14, v24
	v_cndmask_b32_e64 v6, v5, v6, s5
	v_cmp_gt_i32_e64 s5, 32, v7
	v_dual_mov_b32 v32, 1 :: v_dual_mov_b32 v18, 0
	s_delay_alu instid0(VALU_DEP_3) | instskip(NEXT) | instid1(VALU_DEP_3)
	v_dual_mov_b32 v9, v3 :: v_dual_lshlrev_b32 v28, 2, v6
	v_dual_cndmask_b32 v7, v5, v7, s5 :: v_dual_ashrrev_i32 v5, 31, v4
	s_wait_kmcnt 0x0
	s_sub_co_i32 s10, s10, s18
	s_cmp_lg_u32 s6, 0
	s_delay_alu instid0(VALU_DEP_1)
	v_dual_lshlrev_b32 v27, 2, v1 :: v_dual_lshlrev_b32 v29, 2, v7
	v_lshl_add_u64 v[6:7], v[4:5], 3, s[8:9]
	v_add_nc_u64_e32 v[4:5], s[8:9], v[2:3]
	s_cselect_b32 s9, -1, 0
	s_abs_i32 s19, s14
	v_or_b32_e32 v1, 8, v23
	s_cvt_f32_u32 s11, s19
	v_cmp_gt_u32_e64 s5, 2, v0
	v_cmp_eq_u32_e64 s6, 0, v0
	v_or_b32_e32 v2, 16, v23
	v_cmp_gt_u32_e64 s8, s14, v1
	v_rcp_iflag_f32_e32 v1, s11
	s_lshl_b32 s11, s13, 3
	s_ashr_i32 s27, s14, 31
	v_add_nc_u32_e32 v0, s11, v8
	s_mul_u64 s[28:29], s[26:27], s[24:25]
	s_and_b32 s26, vcc_lo, s7
	v_add_nc_u64_e32 v[6:7], v[6:7], v[14:15]
	v_readfirstlane_b32 s13, v1
	v_mov_b32_e32 v1, v3
	v_cmp_gt_u32_e64 s7, s14, v2
	v_dual_add_nc_u32 v10, s11, v0 :: v_dual_bitop2_b32 v2, 24, v23 bitop3:0x54
	s_mul_f32 s24, s13, 0x4f7ffffe
	v_mov_b32_e32 v11, v3
	s_and_b32 s13, vcc_lo, s7
	s_delay_alu instid0(VALU_DEP_2)
	v_cmp_gt_u32_e64 s7, s14, v2
	s_cvt_u32_f32 s24, s24
	v_add_nc_u32_e32 v12, s11, v10
	s_sub_co_i32 s11, 0, s19
	v_mov_b64_e32 v[14:15], 0
	s_mul_i32 s11, s11, s24
	s_and_b32 s8, vcc_lo, s8
	s_mul_hi_u32 s11, s24, s11
	s_and_b32 s30, vcc_lo, s7
	s_add_co_i32 s24, s24, s11
	s_branch .LBB106_7
.LBB106_6:                              ;   in Loop: Header=BB106_7 Depth=1
	s_or_b32 exec_lo, exec_lo, s11
	s_wait_dscnt 0x0
	s_barrier_signal -1
	s_barrier_wait -1
	ds_load_b32 v18, v3
	s_add_co_i32 s10, s7, s10
	s_wait_dscnt 0x0
	s_barrier_signal -1
	s_barrier_wait -1
	v_cmp_gt_i32_e32 vcc_lo, s12, v18
	s_cbranch_vccz .LBB106_51
.LBB106_7:                              ; =>This Loop Header: Depth=1
                                        ;     Child Loop BB106_10 Depth 2
	v_dual_mov_b32 v33, s12 :: v_dual_add_nc_u32 v16, v30, v23
	v_mov_b32_e32 v17, v22
	s_mov_b32 s11, exec_lo
	ds_store_b8 v3, v3 offset:4096
	ds_store_2addr_b64 v31, v[14:15], v[14:15] offset1:8
	ds_store_2addr_b64 v31, v[14:15], v[14:15] offset0:16 offset1:24
	s_wait_dscnt 0x0
	s_barrier_signal -1
	s_barrier_wait -1
	v_cmpx_lt_i32_e64 v16, v22
	s_cbranch_execz .LBB106_15
; %bb.8:                                ;   in Loop: Header=BB106_7 Depth=1
	v_mul_lo_u32 v19, v18, s14
	v_dual_mov_b32 v33, s12 :: v_dual_mov_b32 v17, v22
	s_mov_b32 s31, 0
	s_branch .LBB106_10
.LBB106_9:                              ;   in Loop: Header=BB106_10 Depth=2
	s_wait_xcnt 0x0
	s_or_b32 exec_lo, exec_lo, s7
	v_add_nc_u32_e32 v16, 8, v16
	s_xor_b32 s33, vcc_lo, -1
	s_delay_alu instid0(VALU_DEP_1) | instskip(SKIP_1) | instid1(SALU_CYCLE_1)
	v_cmp_ge_i32_e64 s7, v16, v22
	s_or_b32 s7, s33, s7
	s_and_b32 s7, exec_lo, s7
	s_delay_alu instid0(SALU_CYCLE_1) | instskip(NEXT) | instid1(SALU_CYCLE_1)
	s_or_b32 s31, s7, s31
	s_and_not1_b32 exec_lo, exec_lo, s31
	s_cbranch_execz .LBB106_14
.LBB106_10:                             ;   Parent Loop BB106_7 Depth=1
                                        ; =>  This Inner Loop Header: Depth=2
	global_load_b32 v2, v16, s[16:17] scale_offset
	s_wait_loadcnt 0x0
	v_subrev_nc_u32_e32 v20, s15, v2
	s_delay_alu instid0(VALU_DEP_1) | instskip(NEXT) | instid1(VALU_DEP_1)
	v_sub_nc_u32_e32 v2, 0, v20
	v_max_i32_e32 v2, v20, v2
	s_delay_alu instid0(VALU_DEP_1) | instskip(SKIP_1) | instid1(VALU_DEP_1)
	v_mul_u64_e32 v[34:35], s[24:25], v[2:3]
	v_ashrrev_i32_e32 v34, 31, v20
	v_xor_b32_e32 v34, s27, v34
	s_delay_alu instid0(VALU_DEP_3) | instskip(NEXT) | instid1(VALU_DEP_1)
	v_mul_lo_u32 v21, v35, s19
	v_dual_sub_nc_u32 v2, v2, v21 :: v_dual_add_nc_u32 v21, 1, v35
	s_delay_alu instid0(VALU_DEP_1) | instskip(SKIP_1) | instid1(VALU_DEP_2)
	v_subrev_nc_u32_e32 v30, s19, v2
	v_cmp_le_u32_e32 vcc_lo, s19, v2
	v_dual_cndmask_b32 v21, v35, v21 :: v_dual_cndmask_b32 v2, v2, v30
	s_delay_alu instid0(VALU_DEP_1) | instskip(NEXT) | instid1(VALU_DEP_2)
	v_add_nc_u32_e32 v30, 1, v21
	v_cmp_le_u32_e32 vcc_lo, s19, v2
	s_delay_alu instid0(VALU_DEP_2) | instskip(NEXT) | instid1(VALU_DEP_1)
	v_cndmask_b32_e32 v2, v21, v30, vcc_lo
	v_xor_b32_e32 v2, v2, v34
	s_delay_alu instid0(VALU_DEP_1) | instskip(NEXT) | instid1(VALU_DEP_1)
	v_dual_mov_b32 v2, v17 :: v_dual_sub_nc_u32 v21, v2, v34
	v_cmp_ne_u32_e64 s7, v21, v18
	v_cmp_eq_u32_e32 vcc_lo, v21, v18
	s_wait_xcnt 0x0
	s_and_saveexec_b32 s33, s7
	s_delay_alu instid0(SALU_CYCLE_1)
	s_xor_b32 s7, exec_lo, s33
; %bb.11:                               ;   in Loop: Header=BB106_10 Depth=2
	v_min_i32_e32 v33, v21, v33
                                        ; implicit-def: $vgpr20
                                        ; implicit-def: $vgpr2
; %bb.12:                               ;   in Loop: Header=BB106_10 Depth=2
	s_or_saveexec_b32 s7, s7
	v_mov_b32_e32 v17, v16
	s_xor_b32 exec_lo, exec_lo, s7
	s_cbranch_execz .LBB106_9
; %bb.13:                               ;   in Loop: Header=BB106_10 Depth=2
	v_ashrrev_i32_e32 v17, 31, v16
	s_delay_alu instid0(VALU_DEP_1)
	v_lshl_add_u64 v[34:35], v[16:17], 3, s[22:23]
	v_sub_nc_u32_e32 v17, v20, v19
	global_load_b64 v[34:35], v[34:35], off
	v_lshl_add_u32 v20, v17, 3, v24
	v_mov_b32_e32 v17, v2
	ds_store_b8 v3, v32 offset:4096
	s_wait_loadcnt 0x0
	ds_store_b64 v20, v[34:35]
	s_branch .LBB106_9
.LBB106_14:                             ;   in Loop: Header=BB106_7 Depth=1
	s_or_b32 exec_lo, exec_lo, s31
.LBB106_15:                             ;   in Loop: Header=BB106_7 Depth=1
	s_delay_alu instid0(SALU_CYCLE_1)
	s_or_b32 exec_lo, exec_lo, s11
	ds_bpermute_b32 v2, v27, v17
	s_wait_dscnt 0x0
	s_barrier_signal -1
	s_barrier_wait -1
	s_mov_b32 s7, 0
	v_min_i32_e32 v2, v2, v17
	ds_load_u8 v17, v3 offset:4096
	ds_bpermute_b32 v16, v28, v2
	s_wait_dscnt 0x0
	v_min_i32_e32 v2, v16, v2
	ds_bpermute_b32 v16, v29, v2
	s_wait_dscnt 0x0
	v_min_i32_e32 v2, v16, v2
	ds_bpermute_b32 v30, v26, v2
	v_and_b32_e32 v2, 1, v17
	s_delay_alu instid0(VALU_DEP_1)
	v_cmp_eq_u32_e32 vcc_lo, 0, v2
	s_cbranch_vccnz .LBB106_33
; %bb.16:                               ;   in Loop: Header=BB106_7 Depth=1
	s_ashr_i32 s11, s10, 31
	v_dual_add_nc_u32 v2, s18, v18 :: v_dual_mov_b32 v20, s10
	s_mul_u64 s[34:35], s[28:29], s[10:11]
	s_delay_alu instid0(SALU_CYCLE_1) | instskip(NEXT) | instid1(SALU_CYCLE_1)
	s_lshl_b64 s[34:35], s[34:35], 3
	v_add_nc_u64_e32 v[18:19], s[34:35], v[4:5]
	v_add_nc_u64_e32 v[16:17], s[34:35], v[6:7]
	global_store_b32 v20, v2, s[20:21] scale_offset
	s_wait_xcnt 0x0
	s_and_saveexec_b32 s7, s26
	s_cbranch_execz .LBB106_20
; %bb.17:                               ;   in Loop: Header=BB106_7 Depth=1
	ds_load_b64 v[20:21], v31
	s_and_b32 vcc_lo, exec_lo, s9
	s_cbranch_vccz .LBB106_47
; %bb.18:                               ;   in Loop: Header=BB106_7 Depth=1
	v_lshl_add_u64 v[34:35], v[8:9], 3, v[18:19]
	s_wait_dscnt 0x0
	global_store_b64 v[34:35], v[20:21], off
	s_cbranch_execnz .LBB106_20
.LBB106_19:                             ;   in Loop: Header=BB106_7 Depth=1
	s_wait_dscnt 0x0
	global_store_b64 v[16:17], v[20:21], off
.LBB106_20:                             ;   in Loop: Header=BB106_7 Depth=1
	s_wait_xcnt 0x0
	s_or_b32 exec_lo, exec_lo, s7
	s_and_saveexec_b32 s7, s8
	s_cbranch_execz .LBB106_24
; %bb.21:                               ;   in Loop: Header=BB106_7 Depth=1
	s_wait_dscnt 0x0
	ds_load_b64 v[20:21], v31 offset:64
	s_and_not1_b32 vcc_lo, exec_lo, s9
	s_cbranch_vccnz .LBB106_48
; %bb.22:                               ;   in Loop: Header=BB106_7 Depth=1
	v_lshl_add_u64 v[34:35], v[0:1], 3, v[18:19]
	s_wait_dscnt 0x0
	global_store_b64 v[34:35], v[20:21], off
	s_cbranch_execnz .LBB106_24
.LBB106_23:                             ;   in Loop: Header=BB106_7 Depth=1
	s_wait_dscnt 0x0
	global_store_b64 v[16:17], v[20:21], off offset:64
.LBB106_24:                             ;   in Loop: Header=BB106_7 Depth=1
	s_wait_xcnt 0x0
	s_or_b32 exec_lo, exec_lo, s7
	s_and_saveexec_b32 s7, s13
	s_cbranch_execz .LBB106_28
; %bb.25:                               ;   in Loop: Header=BB106_7 Depth=1
	s_wait_dscnt 0x0
	ds_load_b64 v[20:21], v31 offset:128
	s_and_not1_b32 vcc_lo, exec_lo, s9
	s_cbranch_vccnz .LBB106_49
; %bb.26:                               ;   in Loop: Header=BB106_7 Depth=1
	v_lshl_add_u64 v[34:35], v[10:11], 3, v[18:19]
	s_wait_dscnt 0x0
	global_store_b64 v[34:35], v[20:21], off
	s_cbranch_execnz .LBB106_28
.LBB106_27:                             ;   in Loop: Header=BB106_7 Depth=1
	s_wait_dscnt 0x0
	global_store_b64 v[16:17], v[20:21], off offset:128
.LBB106_28:                             ;   in Loop: Header=BB106_7 Depth=1
	s_wait_xcnt 0x0
	s_or_b32 exec_lo, exec_lo, s7
	s_and_saveexec_b32 s7, s30
	s_cbranch_execz .LBB106_32
; %bb.29:                               ;   in Loop: Header=BB106_7 Depth=1
	s_wait_dscnt 0x0
	ds_load_b64 v[20:21], v31 offset:192
	s_and_not1_b32 vcc_lo, exec_lo, s9
	s_cbranch_vccnz .LBB106_50
; %bb.30:                               ;   in Loop: Header=BB106_7 Depth=1
	v_lshl_add_u64 v[18:19], v[12:13], 3, v[18:19]
	s_wait_dscnt 0x0
	global_store_b64 v[18:19], v[20:21], off
	s_cbranch_execnz .LBB106_32
.LBB106_31:                             ;   in Loop: Header=BB106_7 Depth=1
	s_wait_dscnt 0x0
	global_store_b64 v[16:17], v[20:21], off offset:192
.LBB106_32:                             ;   in Loop: Header=BB106_7 Depth=1
	s_wait_xcnt 0x0
	s_or_b32 exec_lo, exec_lo, s7
	s_mov_b32 s7, 1
.LBB106_33:                             ;   in Loop: Header=BB106_7 Depth=1
	s_wait_storecnt_dscnt 0x0
	s_barrier_signal -1
	s_barrier_wait -1
	ds_store_b32 v25, v33
	s_wait_dscnt 0x0
	s_barrier_signal -1
	s_barrier_wait -1
	s_and_saveexec_b32 s11, s0
	s_cbranch_execz .LBB106_35
; %bb.34:                               ;   in Loop: Header=BB106_7 Depth=1
	ds_load_2addr_stride64_b32 v[16:17], v25 offset1:1
	s_wait_dscnt 0x0
	v_min_i32_e32 v2, v17, v16
	ds_store_b32 v25, v2
.LBB106_35:                             ;   in Loop: Header=BB106_7 Depth=1
	s_or_b32 exec_lo, exec_lo, s11
	s_wait_dscnt 0x0
	s_barrier_signal -1
	s_barrier_wait -1
	s_and_saveexec_b32 s11, s1
	s_cbranch_execz .LBB106_37
; %bb.36:                               ;   in Loop: Header=BB106_7 Depth=1
	ds_load_2addr_b32 v[16:17], v25 offset1:32
	s_wait_dscnt 0x0
	v_min_i32_e32 v2, v17, v16
	ds_store_b32 v25, v2
.LBB106_37:                             ;   in Loop: Header=BB106_7 Depth=1
	s_or_b32 exec_lo, exec_lo, s11
	s_wait_dscnt 0x0
	s_barrier_signal -1
	s_barrier_wait -1
	s_and_saveexec_b32 s11, s2
	s_cbranch_execz .LBB106_39
; %bb.38:                               ;   in Loop: Header=BB106_7 Depth=1
	ds_load_2addr_b32 v[16:17], v25 offset1:16
	s_wait_dscnt 0x0
	v_min_i32_e32 v2, v17, v16
	ds_store_b32 v25, v2
.LBB106_39:                             ;   in Loop: Header=BB106_7 Depth=1
	s_or_b32 exec_lo, exec_lo, s11
	s_wait_dscnt 0x0
	s_barrier_signal -1
	s_barrier_wait -1
	s_and_saveexec_b32 s11, s3
	s_cbranch_execz .LBB106_41
; %bb.40:                               ;   in Loop: Header=BB106_7 Depth=1
	ds_load_2addr_b32 v[16:17], v25 offset1:8
	s_wait_dscnt 0x0
	v_min_i32_e32 v2, v17, v16
	ds_store_b32 v25, v2
.LBB106_41:                             ;   in Loop: Header=BB106_7 Depth=1
	s_or_b32 exec_lo, exec_lo, s11
	s_wait_dscnt 0x0
	s_barrier_signal -1
	s_barrier_wait -1
	s_and_saveexec_b32 s11, s4
	s_cbranch_execz .LBB106_43
; %bb.42:                               ;   in Loop: Header=BB106_7 Depth=1
	ds_load_2addr_b32 v[16:17], v25 offset1:4
	s_wait_dscnt 0x0
	v_min_i32_e32 v2, v17, v16
	ds_store_b32 v25, v2
.LBB106_43:                             ;   in Loop: Header=BB106_7 Depth=1
	s_or_b32 exec_lo, exec_lo, s11
	s_wait_dscnt 0x0
	s_barrier_signal -1
	s_barrier_wait -1
	s_and_saveexec_b32 s11, s5
	s_cbranch_execz .LBB106_45
; %bb.44:                               ;   in Loop: Header=BB106_7 Depth=1
	ds_load_2addr_b32 v[16:17], v25 offset1:2
	s_wait_dscnt 0x0
	v_min_i32_e32 v2, v17, v16
	ds_store_b32 v25, v2
.LBB106_45:                             ;   in Loop: Header=BB106_7 Depth=1
	s_or_b32 exec_lo, exec_lo, s11
	s_wait_dscnt 0x0
	s_barrier_signal -1
	s_barrier_wait -1
	s_and_saveexec_b32 s11, s6
	s_cbranch_execz .LBB106_6
; %bb.46:                               ;   in Loop: Header=BB106_7 Depth=1
	ds_load_b64 v[16:17], v3
	s_wait_dscnt 0x0
	v_min_i32_e32 v2, v17, v16
	ds_store_b32 v3, v2
	s_branch .LBB106_6
.LBB106_47:                             ;   in Loop: Header=BB106_7 Depth=1
	s_branch .LBB106_19
.LBB106_48:                             ;   in Loop: Header=BB106_7 Depth=1
	s_branch .LBB106_23
.LBB106_49:                             ;   in Loop: Header=BB106_7 Depth=1
	s_branch .LBB106_27
.LBB106_50:                             ;   in Loop: Header=BB106_7 Depth=1
	s_branch .LBB106_31
.LBB106_51:
	s_endpgm
	.section	.rodata,"a",@progbits
	.p2align	6, 0x0
	.amdhsa_kernel _ZN9rocsparseL40csr2gebsr_block_per_row_multipass_kernelILj128ELj16ELj32EdEEv20rocsparse_direction_iiiiii21rocsparse_index_base_PKT2_PKiS7_S2_PS3_PiS9_
		.amdhsa_group_segment_fixed_size 4104
		.amdhsa_private_segment_fixed_size 0
		.amdhsa_kernarg_size 88
		.amdhsa_user_sgpr_count 2
		.amdhsa_user_sgpr_dispatch_ptr 0
		.amdhsa_user_sgpr_queue_ptr 0
		.amdhsa_user_sgpr_kernarg_segment_ptr 1
		.amdhsa_user_sgpr_dispatch_id 0
		.amdhsa_user_sgpr_kernarg_preload_length 0
		.amdhsa_user_sgpr_kernarg_preload_offset 0
		.amdhsa_user_sgpr_private_segment_size 0
		.amdhsa_wavefront_size32 1
		.amdhsa_uses_dynamic_stack 0
		.amdhsa_enable_private_segment 0
		.amdhsa_system_sgpr_workgroup_id_x 1
		.amdhsa_system_sgpr_workgroup_id_y 0
		.amdhsa_system_sgpr_workgroup_id_z 0
		.amdhsa_system_sgpr_workgroup_info 0
		.amdhsa_system_vgpr_workitem_id 0
		.amdhsa_next_free_vgpr 36
		.amdhsa_next_free_sgpr 36
		.amdhsa_named_barrier_count 0
		.amdhsa_reserve_vcc 1
		.amdhsa_float_round_mode_32 0
		.amdhsa_float_round_mode_16_64 0
		.amdhsa_float_denorm_mode_32 3
		.amdhsa_float_denorm_mode_16_64 3
		.amdhsa_fp16_overflow 0
		.amdhsa_memory_ordered 1
		.amdhsa_forward_progress 1
		.amdhsa_inst_pref_size 16
		.amdhsa_round_robin_scheduling 0
		.amdhsa_exception_fp_ieee_invalid_op 0
		.amdhsa_exception_fp_denorm_src 0
		.amdhsa_exception_fp_ieee_div_zero 0
		.amdhsa_exception_fp_ieee_overflow 0
		.amdhsa_exception_fp_ieee_underflow 0
		.amdhsa_exception_fp_ieee_inexact 0
		.amdhsa_exception_int_div_zero 0
	.end_amdhsa_kernel
	.section	.text._ZN9rocsparseL40csr2gebsr_block_per_row_multipass_kernelILj128ELj16ELj32EdEEv20rocsparse_direction_iiiiii21rocsparse_index_base_PKT2_PKiS7_S2_PS3_PiS9_,"axG",@progbits,_ZN9rocsparseL40csr2gebsr_block_per_row_multipass_kernelILj128ELj16ELj32EdEEv20rocsparse_direction_iiiiii21rocsparse_index_base_PKT2_PKiS7_S2_PS3_PiS9_,comdat
.Lfunc_end106:
	.size	_ZN9rocsparseL40csr2gebsr_block_per_row_multipass_kernelILj128ELj16ELj32EdEEv20rocsparse_direction_iiiiii21rocsparse_index_base_PKT2_PKiS7_S2_PS3_PiS9_, .Lfunc_end106-_ZN9rocsparseL40csr2gebsr_block_per_row_multipass_kernelILj128ELj16ELj32EdEEv20rocsparse_direction_iiiiii21rocsparse_index_base_PKT2_PKiS7_S2_PS3_PiS9_
                                        ; -- End function
	.set _ZN9rocsparseL40csr2gebsr_block_per_row_multipass_kernelILj128ELj16ELj32EdEEv20rocsparse_direction_iiiiii21rocsparse_index_base_PKT2_PKiS7_S2_PS3_PiS9_.num_vgpr, 36
	.set _ZN9rocsparseL40csr2gebsr_block_per_row_multipass_kernelILj128ELj16ELj32EdEEv20rocsparse_direction_iiiiii21rocsparse_index_base_PKT2_PKiS7_S2_PS3_PiS9_.num_agpr, 0
	.set _ZN9rocsparseL40csr2gebsr_block_per_row_multipass_kernelILj128ELj16ELj32EdEEv20rocsparse_direction_iiiiii21rocsparse_index_base_PKT2_PKiS7_S2_PS3_PiS9_.numbered_sgpr, 36
	.set _ZN9rocsparseL40csr2gebsr_block_per_row_multipass_kernelILj128ELj16ELj32EdEEv20rocsparse_direction_iiiiii21rocsparse_index_base_PKT2_PKiS7_S2_PS3_PiS9_.num_named_barrier, 0
	.set _ZN9rocsparseL40csr2gebsr_block_per_row_multipass_kernelILj128ELj16ELj32EdEEv20rocsparse_direction_iiiiii21rocsparse_index_base_PKT2_PKiS7_S2_PS3_PiS9_.private_seg_size, 0
	.set _ZN9rocsparseL40csr2gebsr_block_per_row_multipass_kernelILj128ELj16ELj32EdEEv20rocsparse_direction_iiiiii21rocsparse_index_base_PKT2_PKiS7_S2_PS3_PiS9_.uses_vcc, 1
	.set _ZN9rocsparseL40csr2gebsr_block_per_row_multipass_kernelILj128ELj16ELj32EdEEv20rocsparse_direction_iiiiii21rocsparse_index_base_PKT2_PKiS7_S2_PS3_PiS9_.uses_flat_scratch, 0
	.set _ZN9rocsparseL40csr2gebsr_block_per_row_multipass_kernelILj128ELj16ELj32EdEEv20rocsparse_direction_iiiiii21rocsparse_index_base_PKT2_PKiS7_S2_PS3_PiS9_.has_dyn_sized_stack, 0
	.set _ZN9rocsparseL40csr2gebsr_block_per_row_multipass_kernelILj128ELj16ELj32EdEEv20rocsparse_direction_iiiiii21rocsparse_index_base_PKT2_PKiS7_S2_PS3_PiS9_.has_recursion, 0
	.set _ZN9rocsparseL40csr2gebsr_block_per_row_multipass_kernelILj128ELj16ELj32EdEEv20rocsparse_direction_iiiiii21rocsparse_index_base_PKT2_PKiS7_S2_PS3_PiS9_.has_indirect_call, 0
	.section	.AMDGPU.csdata,"",@progbits
; Kernel info:
; codeLenInByte = 2004
; TotalNumSgprs: 38
; NumVgprs: 36
; ScratchSize: 0
; MemoryBound: 0
; FloatMode: 240
; IeeeMode: 1
; LDSByteSize: 4104 bytes/workgroup (compile time only)
; SGPRBlocks: 0
; VGPRBlocks: 2
; NumSGPRsForWavesPerEU: 38
; NumVGPRsForWavesPerEU: 36
; NamedBarCnt: 0
; Occupancy: 16
; WaveLimiterHint : 0
; COMPUTE_PGM_RSRC2:SCRATCH_EN: 0
; COMPUTE_PGM_RSRC2:USER_SGPR: 2
; COMPUTE_PGM_RSRC2:TRAP_HANDLER: 0
; COMPUTE_PGM_RSRC2:TGID_X_EN: 1
; COMPUTE_PGM_RSRC2:TGID_Y_EN: 0
; COMPUTE_PGM_RSRC2:TGID_Z_EN: 0
; COMPUTE_PGM_RSRC2:TIDIG_COMP_CNT: 0
	.section	.text._ZN9rocsparseL40csr2gebsr_block_per_row_multipass_kernelILj128ELj16ELj64EdEEv20rocsparse_direction_iiiiii21rocsparse_index_base_PKT2_PKiS7_S2_PS3_PiS9_,"axG",@progbits,_ZN9rocsparseL40csr2gebsr_block_per_row_multipass_kernelILj128ELj16ELj64EdEEv20rocsparse_direction_iiiiii21rocsparse_index_base_PKT2_PKiS7_S2_PS3_PiS9_,comdat
	.globl	_ZN9rocsparseL40csr2gebsr_block_per_row_multipass_kernelILj128ELj16ELj64EdEEv20rocsparse_direction_iiiiii21rocsparse_index_base_PKT2_PKiS7_S2_PS3_PiS9_ ; -- Begin function _ZN9rocsparseL40csr2gebsr_block_per_row_multipass_kernelILj128ELj16ELj64EdEEv20rocsparse_direction_iiiiii21rocsparse_index_base_PKT2_PKiS7_S2_PS3_PiS9_
	.p2align	8
	.type	_ZN9rocsparseL40csr2gebsr_block_per_row_multipass_kernelILj128ELj16ELj64EdEEv20rocsparse_direction_iiiiii21rocsparse_index_base_PKT2_PKiS7_S2_PS3_PiS9_,@function
_ZN9rocsparseL40csr2gebsr_block_per_row_multipass_kernelILj128ELj16ELj64EdEEv20rocsparse_direction_iiiiii21rocsparse_index_base_PKT2_PKiS7_S2_PS3_PiS9_: ; @_ZN9rocsparseL40csr2gebsr_block_per_row_multipass_kernelILj128ELj16ELj64EdEEv20rocsparse_direction_iiiiii21rocsparse_index_base_PKT2_PKiS7_S2_PS3_PiS9_
; %bb.0:
	s_clause 0x1
	s_load_b128 s[12:15], s[0:1], 0x10
	s_load_b64 s[6:7], s[0:1], 0x0
	s_bfe_u32 s2, ttmp6, 0x4000c
	s_and_b32 s3, ttmp6, 15
	s_add_co_i32 s2, s2, 1
	s_getreg_b32 s4, hwreg(HW_REG_IB_STS2, 6, 4)
	s_mul_i32 s2, ttmp9, s2
	v_dual_mov_b32 v30, 0 :: v_dual_lshrrev_b32 v1, 3, v0
	s_add_co_i32 s3, s3, s2
	s_cmp_eq_u32 s4, 0
	s_load_b64 s[8:9], s[0:1], 0x28
	s_cselect_b32 s4, ttmp9, s3
	v_mov_b32_e32 v38, 0
	s_wait_kmcnt 0x0
	v_mad_u32 v2, s13, s4, v1
	v_cmp_gt_i32_e32 vcc_lo, s13, v1
	s_delay_alu instid0(VALU_DEP_2) | instskip(SKIP_1) | instid1(SALU_CYCLE_1)
	v_cmp_gt_i32_e64 s2, s7, v2
	s_and_b32 s2, vcc_lo, s2
	s_and_saveexec_b32 s3, s2
	s_cbranch_execnz .LBB107_3
; %bb.1:
	s_or_b32 exec_lo, exec_lo, s3
	s_and_saveexec_b32 s3, s2
	s_cbranch_execnz .LBB107_4
.LBB107_2:
	s_or_b32 exec_lo, exec_lo, s3
	s_cmp_lt_i32 s12, 1
	s_cbranch_scc0 .LBB107_5
	s_branch .LBB107_71
.LBB107_3:
	global_load_b32 v3, v2, s[8:9] scale_offset
	s_wait_loadcnt 0x0
	v_subrev_nc_u32_e32 v38, s15, v3
	s_or_b32 exec_lo, exec_lo, s3
	s_and_saveexec_b32 s3, s2
	s_cbranch_execz .LBB107_2
.LBB107_4:
	global_load_b32 v2, v2, s[8:9] offset:4 scale_offset
	s_wait_loadcnt 0x0
	v_subrev_nc_u32_e32 v30, s15, v2
	s_or_b32 exec_lo, exec_lo, s3
	s_cmp_lt_i32 s12, 1
	s_cbranch_scc1 .LBB107_71
.LBB107_5:
	s_clause 0x3
	s_load_b128 s[8:11], s[0:1], 0x40
	s_load_b64 s[20:21], s[0:1], 0x50
	s_load_b96 s[16:18], s[0:1], 0x30
	s_load_b64 s[22:23], s[0:1], 0x20
	v_mbcnt_lo_u32_b32 v5, -1, 0
	s_ashr_i32 s5, s4, 31
	v_dual_lshlrev_b32 v32, 9, v1 :: v_dual_bitop2_b32 v31, 7, v0 bitop3:0x40
	s_lshl_b64 s[4:5], s[4:5], 2
	v_dual_mov_b32 v3, 0 :: v_dual_lshlrev_b32 v2, 3, v1
	v_mul_lo_u32 v4, s14, v1
	v_xor_b32_e32 v1, 4, v5
	v_xor_b32_e32 v7, 1, v5
	s_delay_alu instid0(VALU_DEP_4)
	v_dual_mov_b32 v23, v3 :: v_dual_bitop2_b32 v6, 2, v5 bitop3:0x14
	v_mul_lo_u32 v8, v31, s13
	v_lshl_or_b32 v34, v5, 2, 28
	v_dual_lshlrev_b32 v33, 2, v0 :: v_dual_lshlrev_b32 v22, 3, v31
	s_wait_kmcnt 0x0
	s_add_nc_u64 s[4:5], s[10:11], s[4:5]
	v_cmp_gt_u32_e64 s0, 64, v0
	s_load_b32 s10, s[4:5], 0x0
	s_wait_xcnt 0x0
	v_cmp_gt_i32_e64 s5, 32, v1
	v_cmp_gt_u32_e64 s1, 32, v0
	v_cmp_gt_u32_e64 s2, 16, v0
	;; [unrolled: 1-line block ×4, first 2 shown]
	v_cndmask_b32_e64 v1, v5, v1, s5
	v_cmp_gt_i32_e64 s5, 32, v6
	v_cmp_gt_u32_e64 s7, s14, v31
	s_mov_b32 s25, 0
	s_mov_b32 s24, s13
	;; [unrolled: 1-line block ×3, first 2 shown]
	v_cndmask_b32_e64 v6, v5, v6, s5
	v_cmp_gt_i32_e64 s5, 32, v7
	v_dual_mov_b32 v11, v3 :: v_dual_bitop2_b32 v17, 48, v31 bitop3:0x54
	s_delay_alu instid0(VALU_DEP_3) | instskip(NEXT) | instid1(VALU_DEP_3)
	v_dual_mov_b32 v15, v3 :: v_dual_lshlrev_b32 v36, 2, v6
	v_dual_cndmask_b32 v7, v5, v7, s5 :: v_dual_ashrrev_i32 v5, 31, v4
	s_wait_kmcnt 0x0
	s_sub_co_i32 s10, s10, s18
	s_cmp_lg_u32 s6, 0
	v_cmp_gt_u32_e64 s5, 2, v0
	v_cmp_eq_u32_e64 s6, 0, v0
	v_dual_lshlrev_b32 v35, 2, v1 :: v_dual_bitop2_b32 v0, 16, v31 bitop3:0x54
	v_dual_lshlrev_b32 v37, 2, v7 :: v_dual_mov_b32 v9, v3
	v_lshl_add_u64 v[6:7], v[4:5], 3, s[8:9]
	v_add_nc_u64_e32 v[4:5], s[8:9], v[2:3]
	s_cselect_b32 s9, -1, 0
	s_lshl_b32 s11, s13, 3
	v_or_b32_e32 v1, 8, v31
	v_cmp_gt_u32_e64 s8, s14, v0
	v_add_nc_u32_e32 v0, s11, v8
	s_and_b32 s19, vcc_lo, s7
	s_ashr_i32 s27, s14, 31
	v_cmp_gt_u32_e64 s7, s14, v1
	s_delay_alu instid0(VALU_DEP_2) | instskip(SKIP_3) | instid1(VALU_DEP_2)
	v_dual_add_nc_u32 v10, s11, v0 :: v_dual_bitop2_b32 v1, 24, v31 bitop3:0x54
	s_abs_i32 s31, s14
	v_or_b32_e32 v2, 32, v31
	s_and_b32 s13, vcc_lo, s7
	v_cmp_gt_u32_e64 s7, s14, v1
	s_mul_u64 s[28:29], s[26:27], s[24:25]
	s_cvt_f32_u32 s24, s31
	v_dual_add_nc_u32 v12, s11, v10 :: v_dual_bitop2_b32 v14, 40, v31 bitop3:0x54
	s_and_b32 s30, vcc_lo, s7
	v_cmp_gt_u32_e64 s7, s14, v2
	v_rcp_iflag_f32_e32 v2, s24
	s_and_b32 s26, vcc_lo, s8
	v_mov_b32_e32 v13, v3
	v_cmp_gt_u32_e64 s8, s14, v14
	v_add_nc_u32_e32 v14, s11, v12
	s_and_b32 s33, vcc_lo, s7
	v_cmp_gt_u32_e64 s7, s14, v17
	v_readfirstlane_b32 s24, v2
	s_delay_alu instid0(VALU_DEP_3)
	v_dual_mov_b32 v17, v3 :: v_dual_add_nc_u32 v16, s11, v14
	v_or_b32_e32 v2, 56, v31
	v_add_nc_u64_e32 v[6:7], v[6:7], v[22:23]
	s_mul_f32 s24, s24, 0x4f7ffffe
	s_and_b32 s34, vcc_lo, s7
	v_dual_mov_b32 v19, v3 :: v_dual_add_nc_u32 v18, s11, v16
	s_delay_alu instid0(SALU_CYCLE_1) | instskip(SKIP_2) | instid1(VALU_DEP_3)
	s_cvt_u32_f32 s24, s24
	v_cmp_gt_u32_e64 s7, s14, v2
	v_dual_mov_b32 v21, v3 :: v_dual_add_nc_u32 v39, v22, v32
	v_add_nc_u32_e32 v20, s11, v18
	s_sub_co_i32 s11, 0, s31
	v_mov_b64_e32 v[22:23], 0
	s_mul_i32 s11, s11, s24
	v_dual_mov_b32 v1, v3 :: v_dual_mov_b32 v40, 1
	v_mov_b32_e32 v26, 0
	s_mul_hi_u32 s11, s24, s11
	s_and_b32 s8, vcc_lo, s8
	s_and_b32 s35, vcc_lo, s7
	s_add_co_i32 s24, s24, s11
	s_branch .LBB107_7
.LBB107_6:                              ;   in Loop: Header=BB107_7 Depth=1
	s_or_b32 exec_lo, exec_lo, s11
	s_wait_dscnt 0x0
	s_barrier_signal -1
	s_barrier_wait -1
	ds_load_b32 v26, v3
	s_add_co_i32 s10, s7, s10
	s_wait_dscnt 0x0
	s_barrier_signal -1
	s_barrier_wait -1
	v_cmp_gt_i32_e32 vcc_lo, s12, v26
	s_cbranch_vccz .LBB107_71
.LBB107_7:                              ; =>This Loop Header: Depth=1
                                        ;     Child Loop BB107_10 Depth 2
	v_dual_mov_b32 v41, s12 :: v_dual_add_nc_u32 v24, v38, v31
	v_mov_b32_e32 v25, v30
	s_mov_b32 s11, exec_lo
	ds_store_b8 v3, v3 offset:8192
	ds_store_2addr_b64 v39, v[22:23], v[22:23] offset1:8
	ds_store_2addr_b64 v39, v[22:23], v[22:23] offset0:16 offset1:24
	ds_store_2addr_b64 v39, v[22:23], v[22:23] offset0:32 offset1:40
	;; [unrolled: 1-line block ×3, first 2 shown]
	s_wait_dscnt 0x0
	s_barrier_signal -1
	s_barrier_wait -1
	v_cmpx_lt_i32_e64 v24, v30
	s_cbranch_execz .LBB107_15
; %bb.8:                                ;   in Loop: Header=BB107_7 Depth=1
	v_mul_lo_u32 v27, v26, s14
	v_dual_mov_b32 v41, s12 :: v_dual_mov_b32 v25, v30
	s_mov_b32 s36, 0
	s_branch .LBB107_10
.LBB107_9:                              ;   in Loop: Header=BB107_10 Depth=2
	s_wait_xcnt 0x0
	s_or_b32 exec_lo, exec_lo, s7
	v_add_nc_u32_e32 v24, 8, v24
	s_xor_b32 s37, vcc_lo, -1
	s_delay_alu instid0(VALU_DEP_1) | instskip(SKIP_1) | instid1(SALU_CYCLE_1)
	v_cmp_ge_i32_e64 s7, v24, v30
	s_or_b32 s7, s37, s7
	s_and_b32 s7, exec_lo, s7
	s_delay_alu instid0(SALU_CYCLE_1) | instskip(NEXT) | instid1(SALU_CYCLE_1)
	s_or_b32 s36, s7, s36
	s_and_not1_b32 exec_lo, exec_lo, s36
	s_cbranch_execz .LBB107_14
.LBB107_10:                             ;   Parent Loop BB107_7 Depth=1
                                        ; =>  This Inner Loop Header: Depth=2
	global_load_b32 v2, v24, s[16:17] scale_offset
	s_wait_loadcnt 0x0
	v_subrev_nc_u32_e32 v28, s15, v2
	s_delay_alu instid0(VALU_DEP_1) | instskip(NEXT) | instid1(VALU_DEP_1)
	v_sub_nc_u32_e32 v2, 0, v28
	v_max_i32_e32 v2, v28, v2
	s_delay_alu instid0(VALU_DEP_1) | instskip(SKIP_1) | instid1(VALU_DEP_1)
	v_mul_u64_e32 v[42:43], s[24:25], v[2:3]
	v_ashrrev_i32_e32 v42, 31, v28
	v_xor_b32_e32 v42, s27, v42
	s_delay_alu instid0(VALU_DEP_3) | instskip(NEXT) | instid1(VALU_DEP_1)
	v_mul_lo_u32 v29, v43, s31
	v_dual_sub_nc_u32 v2, v2, v29 :: v_dual_add_nc_u32 v29, 1, v43
	s_delay_alu instid0(VALU_DEP_1) | instskip(SKIP_1) | instid1(VALU_DEP_2)
	v_subrev_nc_u32_e32 v38, s31, v2
	v_cmp_le_u32_e32 vcc_lo, s31, v2
	v_dual_cndmask_b32 v29, v43, v29 :: v_dual_cndmask_b32 v2, v2, v38
	s_delay_alu instid0(VALU_DEP_1) | instskip(NEXT) | instid1(VALU_DEP_2)
	v_add_nc_u32_e32 v38, 1, v29
	v_cmp_le_u32_e32 vcc_lo, s31, v2
	s_delay_alu instid0(VALU_DEP_2) | instskip(NEXT) | instid1(VALU_DEP_1)
	v_cndmask_b32_e32 v2, v29, v38, vcc_lo
	v_xor_b32_e32 v2, v2, v42
	s_delay_alu instid0(VALU_DEP_1) | instskip(NEXT) | instid1(VALU_DEP_1)
	v_dual_mov_b32 v2, v25 :: v_dual_sub_nc_u32 v29, v2, v42
	v_cmp_ne_u32_e64 s7, v29, v26
	v_cmp_eq_u32_e32 vcc_lo, v29, v26
	s_wait_xcnt 0x0
	s_and_saveexec_b32 s37, s7
	s_delay_alu instid0(SALU_CYCLE_1)
	s_xor_b32 s7, exec_lo, s37
; %bb.11:                               ;   in Loop: Header=BB107_10 Depth=2
	v_min_i32_e32 v41, v29, v41
                                        ; implicit-def: $vgpr28
                                        ; implicit-def: $vgpr2
; %bb.12:                               ;   in Loop: Header=BB107_10 Depth=2
	s_or_saveexec_b32 s7, s7
	v_mov_b32_e32 v25, v24
	s_xor_b32 exec_lo, exec_lo, s7
	s_cbranch_execz .LBB107_9
; %bb.13:                               ;   in Loop: Header=BB107_10 Depth=2
	v_ashrrev_i32_e32 v25, 31, v24
	s_delay_alu instid0(VALU_DEP_1)
	v_lshl_add_u64 v[42:43], v[24:25], 3, s[22:23]
	v_sub_nc_u32_e32 v25, v28, v27
	global_load_b64 v[42:43], v[42:43], off
	v_lshl_add_u32 v28, v25, 3, v32
	v_mov_b32_e32 v25, v2
	ds_store_b8 v3, v40 offset:8192
	s_wait_loadcnt 0x0
	ds_store_b64 v28, v[42:43]
	s_branch .LBB107_9
.LBB107_14:                             ;   in Loop: Header=BB107_7 Depth=1
	s_or_b32 exec_lo, exec_lo, s36
.LBB107_15:                             ;   in Loop: Header=BB107_7 Depth=1
	s_delay_alu instid0(SALU_CYCLE_1)
	s_or_b32 exec_lo, exec_lo, s11
	ds_bpermute_b32 v2, v35, v25
	s_wait_dscnt 0x0
	s_barrier_signal -1
	s_barrier_wait -1
	s_mov_b32 s7, 0
	v_min_i32_e32 v2, v2, v25
	ds_load_u8 v25, v3 offset:8192
	ds_bpermute_b32 v24, v36, v2
	s_wait_dscnt 0x0
	v_min_i32_e32 v2, v24, v2
	ds_bpermute_b32 v24, v37, v2
	s_wait_dscnt 0x0
	v_min_i32_e32 v2, v24, v2
	ds_bpermute_b32 v38, v34, v2
	v_and_b32_e32 v2, 1, v25
	s_delay_alu instid0(VALU_DEP_1)
	v_cmp_eq_u32_e32 vcc_lo, 0, v2
	s_cbranch_vccnz .LBB107_49
; %bb.16:                               ;   in Loop: Header=BB107_7 Depth=1
	s_ashr_i32 s11, s10, 31
	v_dual_add_nc_u32 v2, s18, v26 :: v_dual_mov_b32 v28, s10
	s_mul_u64 s[36:37], s[28:29], s[10:11]
	s_delay_alu instid0(SALU_CYCLE_1) | instskip(NEXT) | instid1(SALU_CYCLE_1)
	s_lshl_b64 s[36:37], s[36:37], 3
	v_add_nc_u64_e32 v[26:27], s[36:37], v[4:5]
	v_add_nc_u64_e32 v[24:25], s[36:37], v[6:7]
	global_store_b32 v28, v2, s[20:21] scale_offset
	s_wait_xcnt 0x0
	s_and_saveexec_b32 s7, s19
	s_cbranch_execz .LBB107_20
; %bb.17:                               ;   in Loop: Header=BB107_7 Depth=1
	ds_load_b64 v[28:29], v39
	s_and_b32 vcc_lo, exec_lo, s9
	s_cbranch_vccz .LBB107_63
; %bb.18:                               ;   in Loop: Header=BB107_7 Depth=1
	v_lshl_add_u64 v[42:43], v[8:9], 3, v[26:27]
	s_wait_dscnt 0x0
	global_store_b64 v[42:43], v[28:29], off
	s_cbranch_execnz .LBB107_20
.LBB107_19:                             ;   in Loop: Header=BB107_7 Depth=1
	s_wait_dscnt 0x0
	global_store_b64 v[24:25], v[28:29], off
.LBB107_20:                             ;   in Loop: Header=BB107_7 Depth=1
	s_wait_xcnt 0x0
	s_or_b32 exec_lo, exec_lo, s7
	s_and_saveexec_b32 s7, s13
	s_cbranch_execz .LBB107_24
; %bb.21:                               ;   in Loop: Header=BB107_7 Depth=1
	s_wait_dscnt 0x0
	ds_load_b64 v[28:29], v39 offset:64
	s_and_not1_b32 vcc_lo, exec_lo, s9
	s_cbranch_vccnz .LBB107_64
; %bb.22:                               ;   in Loop: Header=BB107_7 Depth=1
	v_lshl_add_u64 v[42:43], v[0:1], 3, v[26:27]
	s_wait_dscnt 0x0
	global_store_b64 v[42:43], v[28:29], off
	s_cbranch_execnz .LBB107_24
.LBB107_23:                             ;   in Loop: Header=BB107_7 Depth=1
	s_wait_dscnt 0x0
	global_store_b64 v[24:25], v[28:29], off offset:64
.LBB107_24:                             ;   in Loop: Header=BB107_7 Depth=1
	s_wait_xcnt 0x0
	s_or_b32 exec_lo, exec_lo, s7
	s_and_saveexec_b32 s7, s26
	s_cbranch_execz .LBB107_28
; %bb.25:                               ;   in Loop: Header=BB107_7 Depth=1
	s_wait_dscnt 0x0
	ds_load_b64 v[28:29], v39 offset:128
	s_and_not1_b32 vcc_lo, exec_lo, s9
	s_cbranch_vccnz .LBB107_65
; %bb.26:                               ;   in Loop: Header=BB107_7 Depth=1
	v_lshl_add_u64 v[42:43], v[10:11], 3, v[26:27]
	s_wait_dscnt 0x0
	global_store_b64 v[42:43], v[28:29], off
	s_cbranch_execnz .LBB107_28
.LBB107_27:                             ;   in Loop: Header=BB107_7 Depth=1
	s_wait_dscnt 0x0
	global_store_b64 v[24:25], v[28:29], off offset:128
.LBB107_28:                             ;   in Loop: Header=BB107_7 Depth=1
	s_wait_xcnt 0x0
	s_or_b32 exec_lo, exec_lo, s7
	s_and_saveexec_b32 s7, s30
	s_cbranch_execz .LBB107_32
; %bb.29:                               ;   in Loop: Header=BB107_7 Depth=1
	s_wait_dscnt 0x0
	ds_load_b64 v[28:29], v39 offset:192
	s_and_not1_b32 vcc_lo, exec_lo, s9
	s_cbranch_vccnz .LBB107_66
; %bb.30:                               ;   in Loop: Header=BB107_7 Depth=1
	v_lshl_add_u64 v[42:43], v[12:13], 3, v[26:27]
	s_wait_dscnt 0x0
	global_store_b64 v[42:43], v[28:29], off
	s_cbranch_execnz .LBB107_32
.LBB107_31:                             ;   in Loop: Header=BB107_7 Depth=1
	s_wait_dscnt 0x0
	global_store_b64 v[24:25], v[28:29], off offset:192
.LBB107_32:                             ;   in Loop: Header=BB107_7 Depth=1
	s_wait_xcnt 0x0
	s_or_b32 exec_lo, exec_lo, s7
	s_and_saveexec_b32 s7, s33
	s_cbranch_execz .LBB107_36
; %bb.33:                               ;   in Loop: Header=BB107_7 Depth=1
	s_wait_dscnt 0x0
	ds_load_b64 v[28:29], v39 offset:256
	s_and_not1_b32 vcc_lo, exec_lo, s9
	s_cbranch_vccnz .LBB107_67
; %bb.34:                               ;   in Loop: Header=BB107_7 Depth=1
	v_lshl_add_u64 v[42:43], v[14:15], 3, v[26:27]
	s_wait_dscnt 0x0
	global_store_b64 v[42:43], v[28:29], off
	s_cbranch_execnz .LBB107_36
.LBB107_35:                             ;   in Loop: Header=BB107_7 Depth=1
	s_wait_dscnt 0x0
	global_store_b64 v[24:25], v[28:29], off offset:256
.LBB107_36:                             ;   in Loop: Header=BB107_7 Depth=1
	s_wait_xcnt 0x0
	s_or_b32 exec_lo, exec_lo, s7
	s_and_saveexec_b32 s7, s8
	s_cbranch_execz .LBB107_40
; %bb.37:                               ;   in Loop: Header=BB107_7 Depth=1
	s_wait_dscnt 0x0
	ds_load_b64 v[28:29], v39 offset:320
	s_and_not1_b32 vcc_lo, exec_lo, s9
	s_cbranch_vccnz .LBB107_68
; %bb.38:                               ;   in Loop: Header=BB107_7 Depth=1
	v_lshl_add_u64 v[42:43], v[16:17], 3, v[26:27]
	s_wait_dscnt 0x0
	global_store_b64 v[42:43], v[28:29], off
	s_cbranch_execnz .LBB107_40
.LBB107_39:                             ;   in Loop: Header=BB107_7 Depth=1
	s_wait_dscnt 0x0
	global_store_b64 v[24:25], v[28:29], off offset:320
.LBB107_40:                             ;   in Loop: Header=BB107_7 Depth=1
	s_wait_xcnt 0x0
	s_or_b32 exec_lo, exec_lo, s7
	s_and_saveexec_b32 s7, s34
	s_cbranch_execz .LBB107_44
; %bb.41:                               ;   in Loop: Header=BB107_7 Depth=1
	s_wait_dscnt 0x0
	ds_load_b64 v[28:29], v39 offset:384
	s_and_not1_b32 vcc_lo, exec_lo, s9
	s_cbranch_vccnz .LBB107_69
; %bb.42:                               ;   in Loop: Header=BB107_7 Depth=1
	v_lshl_add_u64 v[42:43], v[18:19], 3, v[26:27]
	s_wait_dscnt 0x0
	global_store_b64 v[42:43], v[28:29], off
	s_cbranch_execnz .LBB107_44
.LBB107_43:                             ;   in Loop: Header=BB107_7 Depth=1
	s_wait_dscnt 0x0
	global_store_b64 v[24:25], v[28:29], off offset:384
.LBB107_44:                             ;   in Loop: Header=BB107_7 Depth=1
	s_wait_xcnt 0x0
	s_or_b32 exec_lo, exec_lo, s7
	s_and_saveexec_b32 s7, s35
	s_cbranch_execz .LBB107_48
; %bb.45:                               ;   in Loop: Header=BB107_7 Depth=1
	s_wait_dscnt 0x0
	ds_load_b64 v[28:29], v39 offset:448
	s_and_not1_b32 vcc_lo, exec_lo, s9
	s_cbranch_vccnz .LBB107_70
; %bb.46:                               ;   in Loop: Header=BB107_7 Depth=1
	v_lshl_add_u64 v[26:27], v[20:21], 3, v[26:27]
	s_wait_dscnt 0x0
	global_store_b64 v[26:27], v[28:29], off
	s_cbranch_execnz .LBB107_48
.LBB107_47:                             ;   in Loop: Header=BB107_7 Depth=1
	s_wait_dscnt 0x0
	global_store_b64 v[24:25], v[28:29], off offset:448
.LBB107_48:                             ;   in Loop: Header=BB107_7 Depth=1
	s_wait_xcnt 0x0
	s_or_b32 exec_lo, exec_lo, s7
	s_mov_b32 s7, 1
.LBB107_49:                             ;   in Loop: Header=BB107_7 Depth=1
	s_wait_storecnt_dscnt 0x0
	s_barrier_signal -1
	s_barrier_wait -1
	ds_store_b32 v33, v41
	s_wait_dscnt 0x0
	s_barrier_signal -1
	s_barrier_wait -1
	s_and_saveexec_b32 s11, s0
	s_cbranch_execz .LBB107_51
; %bb.50:                               ;   in Loop: Header=BB107_7 Depth=1
	ds_load_2addr_stride64_b32 v[24:25], v33 offset1:1
	s_wait_dscnt 0x0
	v_min_i32_e32 v2, v25, v24
	ds_store_b32 v33, v2
.LBB107_51:                             ;   in Loop: Header=BB107_7 Depth=1
	s_or_b32 exec_lo, exec_lo, s11
	s_wait_dscnt 0x0
	s_barrier_signal -1
	s_barrier_wait -1
	s_and_saveexec_b32 s11, s1
	s_cbranch_execz .LBB107_53
; %bb.52:                               ;   in Loop: Header=BB107_7 Depth=1
	ds_load_2addr_b32 v[24:25], v33 offset1:32
	s_wait_dscnt 0x0
	v_min_i32_e32 v2, v25, v24
	ds_store_b32 v33, v2
.LBB107_53:                             ;   in Loop: Header=BB107_7 Depth=1
	s_or_b32 exec_lo, exec_lo, s11
	s_wait_dscnt 0x0
	s_barrier_signal -1
	s_barrier_wait -1
	s_and_saveexec_b32 s11, s2
	s_cbranch_execz .LBB107_55
; %bb.54:                               ;   in Loop: Header=BB107_7 Depth=1
	ds_load_2addr_b32 v[24:25], v33 offset1:16
	s_wait_dscnt 0x0
	v_min_i32_e32 v2, v25, v24
	ds_store_b32 v33, v2
.LBB107_55:                             ;   in Loop: Header=BB107_7 Depth=1
	;; [unrolled: 12-line block ×5, first 2 shown]
	s_or_b32 exec_lo, exec_lo, s11
	s_wait_dscnt 0x0
	s_barrier_signal -1
	s_barrier_wait -1
	s_and_saveexec_b32 s11, s6
	s_cbranch_execz .LBB107_6
; %bb.62:                               ;   in Loop: Header=BB107_7 Depth=1
	ds_load_b64 v[24:25], v3
	s_wait_dscnt 0x0
	v_min_i32_e32 v2, v25, v24
	ds_store_b32 v3, v2
	s_branch .LBB107_6
.LBB107_63:                             ;   in Loop: Header=BB107_7 Depth=1
	s_branch .LBB107_19
.LBB107_64:                             ;   in Loop: Header=BB107_7 Depth=1
	s_branch .LBB107_23
.LBB107_65:                             ;   in Loop: Header=BB107_7 Depth=1
	s_branch .LBB107_27
.LBB107_66:                             ;   in Loop: Header=BB107_7 Depth=1
	s_branch .LBB107_31
.LBB107_67:                             ;   in Loop: Header=BB107_7 Depth=1
	s_branch .LBB107_35
.LBB107_68:                             ;   in Loop: Header=BB107_7 Depth=1
	s_branch .LBB107_39
.LBB107_69:                             ;   in Loop: Header=BB107_7 Depth=1
	s_branch .LBB107_43
.LBB107_70:                             ;   in Loop: Header=BB107_7 Depth=1
	s_branch .LBB107_47
.LBB107_71:
	s_endpgm
	.section	.rodata,"a",@progbits
	.p2align	6, 0x0
	.amdhsa_kernel _ZN9rocsparseL40csr2gebsr_block_per_row_multipass_kernelILj128ELj16ELj64EdEEv20rocsparse_direction_iiiiii21rocsparse_index_base_PKT2_PKiS7_S2_PS3_PiS9_
		.amdhsa_group_segment_fixed_size 8200
		.amdhsa_private_segment_fixed_size 0
		.amdhsa_kernarg_size 88
		.amdhsa_user_sgpr_count 2
		.amdhsa_user_sgpr_dispatch_ptr 0
		.amdhsa_user_sgpr_queue_ptr 0
		.amdhsa_user_sgpr_kernarg_segment_ptr 1
		.amdhsa_user_sgpr_dispatch_id 0
		.amdhsa_user_sgpr_kernarg_preload_length 0
		.amdhsa_user_sgpr_kernarg_preload_offset 0
		.amdhsa_user_sgpr_private_segment_size 0
		.amdhsa_wavefront_size32 1
		.amdhsa_uses_dynamic_stack 0
		.amdhsa_enable_private_segment 0
		.amdhsa_system_sgpr_workgroup_id_x 1
		.amdhsa_system_sgpr_workgroup_id_y 0
		.amdhsa_system_sgpr_workgroup_id_z 0
		.amdhsa_system_sgpr_workgroup_info 0
		.amdhsa_system_vgpr_workitem_id 0
		.amdhsa_next_free_vgpr 44
		.amdhsa_next_free_sgpr 38
		.amdhsa_named_barrier_count 0
		.amdhsa_reserve_vcc 1
		.amdhsa_float_round_mode_32 0
		.amdhsa_float_round_mode_16_64 0
		.amdhsa_float_denorm_mode_32 3
		.amdhsa_float_denorm_mode_16_64 3
		.amdhsa_fp16_overflow 0
		.amdhsa_memory_ordered 1
		.amdhsa_forward_progress 1
		.amdhsa_inst_pref_size 20
		.amdhsa_round_robin_scheduling 0
		.amdhsa_exception_fp_ieee_invalid_op 0
		.amdhsa_exception_fp_denorm_src 0
		.amdhsa_exception_fp_ieee_div_zero 0
		.amdhsa_exception_fp_ieee_overflow 0
		.amdhsa_exception_fp_ieee_underflow 0
		.amdhsa_exception_fp_ieee_inexact 0
		.amdhsa_exception_int_div_zero 0
	.end_amdhsa_kernel
	.section	.text._ZN9rocsparseL40csr2gebsr_block_per_row_multipass_kernelILj128ELj16ELj64EdEEv20rocsparse_direction_iiiiii21rocsparse_index_base_PKT2_PKiS7_S2_PS3_PiS9_,"axG",@progbits,_ZN9rocsparseL40csr2gebsr_block_per_row_multipass_kernelILj128ELj16ELj64EdEEv20rocsparse_direction_iiiiii21rocsparse_index_base_PKT2_PKiS7_S2_PS3_PiS9_,comdat
.Lfunc_end107:
	.size	_ZN9rocsparseL40csr2gebsr_block_per_row_multipass_kernelILj128ELj16ELj64EdEEv20rocsparse_direction_iiiiii21rocsparse_index_base_PKT2_PKiS7_S2_PS3_PiS9_, .Lfunc_end107-_ZN9rocsparseL40csr2gebsr_block_per_row_multipass_kernelILj128ELj16ELj64EdEEv20rocsparse_direction_iiiiii21rocsparse_index_base_PKT2_PKiS7_S2_PS3_PiS9_
                                        ; -- End function
	.set _ZN9rocsparseL40csr2gebsr_block_per_row_multipass_kernelILj128ELj16ELj64EdEEv20rocsparse_direction_iiiiii21rocsparse_index_base_PKT2_PKiS7_S2_PS3_PiS9_.num_vgpr, 44
	.set _ZN9rocsparseL40csr2gebsr_block_per_row_multipass_kernelILj128ELj16ELj64EdEEv20rocsparse_direction_iiiiii21rocsparse_index_base_PKT2_PKiS7_S2_PS3_PiS9_.num_agpr, 0
	.set _ZN9rocsparseL40csr2gebsr_block_per_row_multipass_kernelILj128ELj16ELj64EdEEv20rocsparse_direction_iiiiii21rocsparse_index_base_PKT2_PKiS7_S2_PS3_PiS9_.numbered_sgpr, 38
	.set _ZN9rocsparseL40csr2gebsr_block_per_row_multipass_kernelILj128ELj16ELj64EdEEv20rocsparse_direction_iiiiii21rocsparse_index_base_PKT2_PKiS7_S2_PS3_PiS9_.num_named_barrier, 0
	.set _ZN9rocsparseL40csr2gebsr_block_per_row_multipass_kernelILj128ELj16ELj64EdEEv20rocsparse_direction_iiiiii21rocsparse_index_base_PKT2_PKiS7_S2_PS3_PiS9_.private_seg_size, 0
	.set _ZN9rocsparseL40csr2gebsr_block_per_row_multipass_kernelILj128ELj16ELj64EdEEv20rocsparse_direction_iiiiii21rocsparse_index_base_PKT2_PKiS7_S2_PS3_PiS9_.uses_vcc, 1
	.set _ZN9rocsparseL40csr2gebsr_block_per_row_multipass_kernelILj128ELj16ELj64EdEEv20rocsparse_direction_iiiiii21rocsparse_index_base_PKT2_PKiS7_S2_PS3_PiS9_.uses_flat_scratch, 0
	.set _ZN9rocsparseL40csr2gebsr_block_per_row_multipass_kernelILj128ELj16ELj64EdEEv20rocsparse_direction_iiiiii21rocsparse_index_base_PKT2_PKiS7_S2_PS3_PiS9_.has_dyn_sized_stack, 0
	.set _ZN9rocsparseL40csr2gebsr_block_per_row_multipass_kernelILj128ELj16ELj64EdEEv20rocsparse_direction_iiiiii21rocsparse_index_base_PKT2_PKiS7_S2_PS3_PiS9_.has_recursion, 0
	.set _ZN9rocsparseL40csr2gebsr_block_per_row_multipass_kernelILj128ELj16ELj64EdEEv20rocsparse_direction_iiiiii21rocsparse_index_base_PKT2_PKiS7_S2_PS3_PiS9_.has_indirect_call, 0
	.section	.AMDGPU.csdata,"",@progbits
; Kernel info:
; codeLenInByte = 2464
; TotalNumSgprs: 40
; NumVgprs: 44
; ScratchSize: 0
; MemoryBound: 0
; FloatMode: 240
; IeeeMode: 1
; LDSByteSize: 8200 bytes/workgroup (compile time only)
; SGPRBlocks: 0
; VGPRBlocks: 2
; NumSGPRsForWavesPerEU: 40
; NumVGPRsForWavesPerEU: 44
; NamedBarCnt: 0
; Occupancy: 16
; WaveLimiterHint : 0
; COMPUTE_PGM_RSRC2:SCRATCH_EN: 0
; COMPUTE_PGM_RSRC2:USER_SGPR: 2
; COMPUTE_PGM_RSRC2:TRAP_HANDLER: 0
; COMPUTE_PGM_RSRC2:TGID_X_EN: 1
; COMPUTE_PGM_RSRC2:TGID_Y_EN: 0
; COMPUTE_PGM_RSRC2:TGID_Z_EN: 0
; COMPUTE_PGM_RSRC2:TIDIG_COMP_CNT: 0
	.section	.text._ZN9rocsparseL44csr2gebsr_wavefront_per_row_multipass_kernelILi256ELi32ELi2ELi64EdEEv20rocsparse_direction_iiiiii21rocsparse_index_base_PKT3_PKiS7_S2_PS3_PiS9_,"axG",@progbits,_ZN9rocsparseL44csr2gebsr_wavefront_per_row_multipass_kernelILi256ELi32ELi2ELi64EdEEv20rocsparse_direction_iiiiii21rocsparse_index_base_PKT3_PKiS7_S2_PS3_PiS9_,comdat
	.globl	_ZN9rocsparseL44csr2gebsr_wavefront_per_row_multipass_kernelILi256ELi32ELi2ELi64EdEEv20rocsparse_direction_iiiiii21rocsparse_index_base_PKT3_PKiS7_S2_PS3_PiS9_ ; -- Begin function _ZN9rocsparseL44csr2gebsr_wavefront_per_row_multipass_kernelILi256ELi32ELi2ELi64EdEEv20rocsparse_direction_iiiiii21rocsparse_index_base_PKT3_PKiS7_S2_PS3_PiS9_
	.p2align	8
	.type	_ZN9rocsparseL44csr2gebsr_wavefront_per_row_multipass_kernelILi256ELi32ELi2ELi64EdEEv20rocsparse_direction_iiiiii21rocsparse_index_base_PKT3_PKiS7_S2_PS3_PiS9_,@function
_ZN9rocsparseL44csr2gebsr_wavefront_per_row_multipass_kernelILi256ELi32ELi2ELi64EdEEv20rocsparse_direction_iiiiii21rocsparse_index_base_PKT3_PKiS7_S2_PS3_PiS9_: ; @_ZN9rocsparseL44csr2gebsr_wavefront_per_row_multipass_kernelILi256ELi32ELi2ELi64EdEEv20rocsparse_direction_iiiiii21rocsparse_index_base_PKT3_PKiS7_S2_PS3_PiS9_
; %bb.0:
	s_clause 0x1
	s_load_b128 s[4:7], s[0:1], 0xc
	s_load_b64 s[12:13], s[0:1], 0x0
	s_bfe_u32 s2, ttmp6, 0x4000c
	s_and_b32 s3, ttmp6, 15
	s_add_co_i32 s2, s2, 1
	s_getreg_b32 s8, hwreg(HW_REG_IB_STS2, 6, 4)
	s_mul_i32 s2, ttmp9, s2
	v_dual_lshrrev_b32 v18, 6, v0 :: v_dual_mov_b32 v2, 0
	s_add_co_i32 s3, s3, s2
	s_cmp_eq_u32 s8, 0
	v_bfe_u32 v3, v0, 1, 5
	s_cselect_b32 s2, ttmp9, s3
	s_clause 0x1
	s_load_b32 s16, s[0:1], 0x1c
	s_load_b64 s[8:9], s[0:1], 0x28
	v_lshl_or_b32 v1, s2, 2, v18
	v_mov_b32_e32 v8, 0
	s_wait_kmcnt 0x0
	s_delay_alu instid0(VALU_DEP_2) | instskip(SKIP_1) | instid1(VALU_DEP_2)
	v_mad_u32 v4, v1, s6, v3
	v_cmp_gt_i32_e32 vcc_lo, s6, v3
	v_cmp_gt_i32_e64 s2, s13, v4
	s_and_b32 s2, vcc_lo, s2
	s_delay_alu instid0(SALU_CYCLE_1)
	s_and_saveexec_b32 s3, s2
	s_cbranch_execz .LBB108_2
; %bb.1:
	global_load_b32 v5, v4, s[8:9] scale_offset
	s_wait_loadcnt 0x0
	v_subrev_nc_u32_e32 v8, s16, v5
.LBB108_2:
	s_or_b32 exec_lo, exec_lo, s3
	v_mov_b32_e32 v19, 0
	s_and_saveexec_b32 s3, s2
	s_cbranch_execz .LBB108_4
; %bb.3:
	global_load_b32 v4, v4, s[8:9] offset:4 scale_offset
	s_wait_loadcnt 0x0
	v_subrev_nc_u32_e32 v19, s16, v4
.LBB108_4:
	s_or_b32 exec_lo, exec_lo, s3
	s_load_b32 s17, s[0:1], 0x38
	s_mov_b32 s3, exec_lo
	v_cmpx_gt_i32_e64 s4, v1
	s_cbranch_execz .LBB108_6
; %bb.5:
	s_load_b64 s[8:9], s[0:1], 0x48
	s_wait_kmcnt 0x0
	global_load_b32 v1, v1, s[8:9] scale_offset
	s_wait_loadcnt 0x0
	v_subrev_nc_u32_e32 v2, s17, v1
.LBB108_6:
	s_or_b32 exec_lo, exec_lo, s3
	s_cmp_lt_i32 s5, 1
	s_cbranch_scc1 .LBB108_24
; %bb.7:
	v_mbcnt_lo_u32_b32 v9, -1, 0
	s_clause 0x3
	s_load_b64 s[2:3], s[0:1], 0x50
	s_load_b64 s[14:15], s[0:1], 0x40
	;; [unrolled: 1-line block ×4, first 2 shown]
	v_and_b32_e32 v5, 0xc0, v0
	v_mul_lo_u32 v10, s7, v3
	v_bfrev_b32_e32 v29, 0.5
	v_dual_lshlrev_b32 v6, 4, v3 :: v_dual_bitop2_b32 v1, 1, v9 bitop3:0x14
	v_lshl_or_b32 v22, v9, 2, 4
	s_mov_b32 s13, 0
	v_mov_b32_e32 v30, 1
	s_wait_xcnt 0x0
	v_cmp_gt_i32_e64 s0, 32, v1
	v_and_b32_e32 v4, 1, v0
	v_lshl_or_b32 v20, v5, 3, v6
	s_delay_alu instid0(VALU_DEP_3) | instskip(NEXT) | instid1(VALU_DEP_3)
	v_dual_ashrrev_i32 v11, 31, v10 :: v_dual_cndmask_b32 v1, v9, v1, s0
	v_mul_lo_u32 v0, s6, v4
	v_lshlrev_b32_e32 v12, 3, v4
	v_cmp_gt_u32_e64 s0, s7, v4
	s_wait_kmcnt 0x0
	v_lshl_add_u64 v[10:11], v[10:11], 3, s[14:15]
	v_dual_lshlrev_b32 v21, 2, v1 :: v_dual_mov_b32 v1, 0
	v_or_b32_e32 v23, v20, v12
	s_and_b32 s4, vcc_lo, s0
	s_cmp_lg_u32 s12, 0
	s_mov_b32 s12, s6
	v_mov_b32_e32 v5, v1
	v_lshl_add_u64 v[6:7], v[0:1], 3, s[14:15]
	v_dual_lshlrev_b32 v0, 3, v3 :: v_dual_bitop2_b32 v3, 16, v9 bitop3:0x14
	v_mov_b32_e32 v13, v1
	s_cselect_b32 s18, -1, 0
	s_abs_i32 s6, s7
	s_delay_alu instid0(VALU_DEP_2)
	v_add_nc_u64_e32 v[6:7], v[6:7], v[0:1]
	v_or_b32_e32 v0, 32, v9
	s_cvt_f32_u32 s14, s6
	v_add_nc_u64_e32 v[10:11], v[10:11], v[12:13]
	s_ashr_i32 s1, s7, 31
	s_mov_b32 s0, s7
	v_cmp_gt_i32_e32 vcc_lo, 32, v0
	v_rcp_iflag_f32_e32 v14, s14
	v_cndmask_b32_e32 v0, v9, v0, vcc_lo
	v_cmp_gt_i32_e32 vcc_lo, 32, v3
	s_delay_alu instid0(TRANS32_DEP_1) | instskip(NEXT) | instid1(VALU_DEP_3)
	v_readfirstlane_b32 s14, v14
	v_dual_cndmask_b32 v3, v9, v3 :: v_dual_lshlrev_b32 v24, 2, v0
	v_xor_b32_e32 v0, 8, v9
	s_mul_f32 s14, s14, 0x4f7ffffe
	s_delay_alu instid0(VALU_DEP_2) | instskip(NEXT) | instid1(VALU_DEP_2)
	v_dual_lshlrev_b32 v25, 2, v3 :: v_dual_bitop2_b32 v3, 4, v9 bitop3:0x14
	v_cmp_gt_i32_e32 vcc_lo, 32, v0
	v_xor_b32_e32 v12, 2, v9
	s_cvt_u32_f32 s19, s14
	s_sub_co_i32 s14, 0, s6
	v_cndmask_b32_e32 v0, v9, v0, vcc_lo
	v_cmp_gt_i32_e32 vcc_lo, 32, v3
	s_mul_i32 s14, s14, s19
	s_delay_alu instid0(SALU_CYCLE_1)
	s_mul_hi_u32 s20, s19, s14
	s_mul_u64 s[14:15], s[0:1], s[12:13]
	v_cndmask_b32_e32 v3, v9, v3, vcc_lo
	v_cmp_gt_i32_e32 vcc_lo, 32, v12
	s_add_co_i32 s12, s19, s20
	s_mov_b32 s19, s13
	v_cndmask_b32_e32 v9, v9, v12, vcc_lo
	v_mov_b64_e32 v[12:13], 0
	v_dual_lshlrev_b32 v26, 2, v0 :: v_dual_lshlrev_b32 v27, 2, v3
	s_delay_alu instid0(VALU_DEP_3)
	v_dual_mov_b32 v3, 0 :: v_dual_lshlrev_b32 v28, 2, v9
	s_branch .LBB108_10
.LBB108_8:                              ;   in Loop: Header=BB108_10 Depth=1
	s_wait_xcnt 0x0
	s_or_b32 exec_lo, exec_lo, s20
	v_mov_b32_e32 v0, 1
.LBB108_9:                              ;   in Loop: Header=BB108_10 Depth=1
	s_or_b32 exec_lo, exec_lo, s0
	ds_bpermute_b32 v3, v24, v31
	s_wait_storecnt_dscnt 0x0
	v_dual_add_nc_u32 v2, v0, v2 :: v_dual_min_i32 v3, v3, v31
	ds_bpermute_b32 v9, v25, v3
	s_wait_dscnt 0x0
	v_min_i32_e32 v3, v9, v3
	ds_bpermute_b32 v9, v26, v3
	s_wait_dscnt 0x0
	v_min_i32_e32 v3, v9, v3
	ds_bpermute_b32 v9, v27, v3
	s_wait_dscnt 0x0
	v_min_i32_e32 v3, v9, v3
	ds_bpermute_b32 v9, v28, v3
	s_wait_dscnt 0x0
	v_min_i32_e32 v3, v9, v3
	ds_bpermute_b32 v9, v21, v3
	s_wait_dscnt 0x0
	v_min_i32_e32 v3, v9, v3
	ds_bpermute_b32 v3, v29, v3
	s_wait_dscnt 0x0
	v_cmp_le_i32_e32 vcc_lo, s5, v3
	s_or_b32 s19, vcc_lo, s19
	s_delay_alu instid0(SALU_CYCLE_1)
	s_and_not1_b32 exec_lo, exec_lo, s19
	s_cbranch_execz .LBB108_24
.LBB108_10:                             ; =>This Loop Header: Depth=1
                                        ;     Child Loop BB108_13 Depth 2
	v_dual_mov_b32 v31, s5 :: v_dual_add_nc_u32 v16, v8, v4
	v_mov_b32_e32 v32, v19
	s_mov_b32 s20, exec_lo
	ds_store_b8 v18, v1 offset:2048
	ds_store_b64 v23, v[12:13]
	s_wait_dscnt 0x0
	v_cmpx_lt_i32_e64 v16, v19
	s_cbranch_execz .LBB108_18
; %bb.11:                               ;   in Loop: Header=BB108_10 Depth=1
	v_dual_ashrrev_i32 v9, 31, v8 :: v_dual_mov_b32 v31, s5
	v_mul_lo_u32 v17, v3, s7
	v_mov_b32_e32 v32, v19
	s_mov_b32 s21, 0
	s_delay_alu instid0(VALU_DEP_3) | instskip(NEXT) | instid1(VALU_DEP_1)
	v_add_nc_u64_e32 v[14:15], v[4:5], v[8:9]
	v_lshl_add_u64 v[8:9], v[14:15], 2, s[10:11]
	v_lshl_add_u64 v[14:15], v[14:15], 3, s[8:9]
	s_branch .LBB108_13
.LBB108_12:                             ;   in Loop: Header=BB108_13 Depth=2
	s_wait_xcnt 0x0
	s_or_b32 exec_lo, exec_lo, s0
	v_add_nc_u32_e32 v16, 2, v16
	s_xor_b32 s22, vcc_lo, -1
	v_add_nc_u64_e32 v[8:9], 8, v[8:9]
	v_add_nc_u64_e32 v[14:15], 16, v[14:15]
	s_delay_alu instid0(VALU_DEP_3) | instskip(SKIP_1) | instid1(SALU_CYCLE_1)
	v_cmp_ge_i32_e64 s0, v16, v19
	s_or_b32 s0, s22, s0
	s_and_b32 s0, exec_lo, s0
	s_delay_alu instid0(SALU_CYCLE_1) | instskip(NEXT) | instid1(SALU_CYCLE_1)
	s_or_b32 s21, s0, s21
	s_and_not1_b32 exec_lo, exec_lo, s21
	s_cbranch_execz .LBB108_17
.LBB108_13:                             ;   Parent Loop BB108_10 Depth=1
                                        ; =>  This Inner Loop Header: Depth=2
	global_load_b32 v0, v[8:9], off
	s_wait_loadcnt 0x0
	v_subrev_nc_u32_e32 v33, s16, v0
	s_delay_alu instid0(VALU_DEP_1) | instskip(NEXT) | instid1(VALU_DEP_1)
	v_sub_nc_u32_e32 v0, 0, v33
	v_max_i32_e32 v0, v33, v0
	s_delay_alu instid0(VALU_DEP_1) | instskip(NEXT) | instid1(VALU_DEP_1)
	v_mul_u64_e32 v[34:35], s[12:13], v[0:1]
	v_mul_lo_u32 v34, v35, s6
	s_delay_alu instid0(VALU_DEP_1) | instskip(NEXT) | instid1(VALU_DEP_1)
	v_dual_sub_nc_u32 v0, v0, v34 :: v_dual_add_nc_u32 v34, 1, v35
	v_cmp_le_u32_e32 vcc_lo, s6, v0
	s_delay_alu instid0(VALU_DEP_2) | instskip(SKIP_1) | instid1(VALU_DEP_1)
	v_dual_cndmask_b32 v34, v35, v34 :: v_dual_ashrrev_i32 v35, 31, v33
	v_subrev_nc_u32_e32 v36, s6, v0
	v_dual_cndmask_b32 v0, v0, v36, vcc_lo :: v_dual_add_nc_u32 v36, 1, v34
	s_delay_alu instid0(VALU_DEP_1) | instskip(NEXT) | instid1(VALU_DEP_2)
	v_cmp_le_u32_e32 vcc_lo, s6, v0
	v_dual_cndmask_b32 v0, v34, v36, vcc_lo :: v_dual_bitop2_b32 v35, s1, v35 bitop3:0x14
	s_delay_alu instid0(VALU_DEP_1) | instskip(NEXT) | instid1(VALU_DEP_1)
	v_xor_b32_e32 v0, v0, v35
	v_sub_nc_u32_e32 v34, v0, v35
	v_mov_b32_e32 v0, v32
	s_delay_alu instid0(VALU_DEP_2) | instskip(SKIP_3) | instid1(SALU_CYCLE_1)
	v_cmp_ne_u32_e64 s0, v34, v3
	v_cmp_eq_u32_e32 vcc_lo, v34, v3
	s_wait_xcnt 0x0
	s_and_saveexec_b32 s22, s0
	s_xor_b32 s0, exec_lo, s22
; %bb.14:                               ;   in Loop: Header=BB108_13 Depth=2
	v_min_i32_e32 v31, v34, v31
                                        ; implicit-def: $vgpr33
                                        ; implicit-def: $vgpr0
; %bb.15:                               ;   in Loop: Header=BB108_13 Depth=2
	s_or_saveexec_b32 s0, s0
	v_mov_b32_e32 v32, v16
	s_xor_b32 exec_lo, exec_lo, s0
	s_cbranch_execz .LBB108_12
; %bb.16:                               ;   in Loop: Header=BB108_13 Depth=2
	global_load_b64 v[34:35], v[14:15], off
	v_sub_nc_u32_e32 v32, v33, v17
	s_delay_alu instid0(VALU_DEP_1)
	v_lshl_add_u32 v33, v32, 3, v20
	v_mov_b32_e32 v32, v0
	ds_store_b8 v18, v30 offset:2048
	s_wait_loadcnt 0x0
	ds_store_b64 v33, v[34:35]
	s_branch .LBB108_12
.LBB108_17:                             ;   in Loop: Header=BB108_10 Depth=1
	s_or_b32 exec_lo, exec_lo, s21
.LBB108_18:                             ;   in Loop: Header=BB108_10 Depth=1
	s_delay_alu instid0(SALU_CYCLE_1)
	s_or_b32 exec_lo, exec_lo, s20
	ds_bpermute_b32 v0, v21, v32
	s_wait_dscnt 0x0
	ds_load_u8 v9, v18 offset:2048
	v_min_i32_e32 v0, v0, v32
	ds_bpermute_b32 v8, v22, v0
	s_wait_dscnt 0x1
	v_and_b32_e32 v0, 1, v9
	s_delay_alu instid0(VALU_DEP_1)
	v_cmp_eq_u32_e32 vcc_lo, 1, v0
	v_mov_b32_e32 v0, 0
	s_and_saveexec_b32 s0, vcc_lo
	s_cbranch_execz .LBB108_9
; %bb.19:                               ;   in Loop: Header=BB108_10 Depth=1
	v_add_nc_u32_e32 v0, s17, v3
	global_store_b32 v2, v0, s[2:3] scale_offset
	s_wait_xcnt 0x0
	s_and_saveexec_b32 s20, s4
	s_cbranch_execz .LBB108_8
; %bb.20:                               ;   in Loop: Header=BB108_10 Depth=1
	v_ashrrev_i32_e32 v3, 31, v2
	ds_load_b64 v[16:17], v23
	s_and_b32 vcc_lo, exec_lo, s18
	v_mul_u64_e32 v[14:15], s[14:15], v[2:3]
	s_cbranch_vccz .LBB108_22
; %bb.21:                               ;   in Loop: Header=BB108_10 Depth=1
	s_delay_alu instid0(VALU_DEP_1)
	v_lshl_add_u64 v[32:33], v[14:15], 3, v[6:7]
	s_wait_dscnt 0x0
	global_store_b64 v[32:33], v[16:17], off
	s_cbranch_execnz .LBB108_8
	s_branch .LBB108_23
.LBB108_22:                             ;   in Loop: Header=BB108_10 Depth=1
.LBB108_23:                             ;   in Loop: Header=BB108_10 Depth=1
	s_delay_alu instid0(VALU_DEP_1)
	v_lshl_add_u64 v[14:15], v[14:15], 3, v[10:11]
	s_wait_dscnt 0x0
	global_store_b64 v[14:15], v[16:17], off
	s_branch .LBB108_8
.LBB108_24:
	s_endpgm
	.section	.rodata,"a",@progbits
	.p2align	6, 0x0
	.amdhsa_kernel _ZN9rocsparseL44csr2gebsr_wavefront_per_row_multipass_kernelILi256ELi32ELi2ELi64EdEEv20rocsparse_direction_iiiiii21rocsparse_index_base_PKT3_PKiS7_S2_PS3_PiS9_
		.amdhsa_group_segment_fixed_size 2056
		.amdhsa_private_segment_fixed_size 0
		.amdhsa_kernarg_size 88
		.amdhsa_user_sgpr_count 2
		.amdhsa_user_sgpr_dispatch_ptr 0
		.amdhsa_user_sgpr_queue_ptr 0
		.amdhsa_user_sgpr_kernarg_segment_ptr 1
		.amdhsa_user_sgpr_dispatch_id 0
		.amdhsa_user_sgpr_kernarg_preload_length 0
		.amdhsa_user_sgpr_kernarg_preload_offset 0
		.amdhsa_user_sgpr_private_segment_size 0
		.amdhsa_wavefront_size32 1
		.amdhsa_uses_dynamic_stack 0
		.amdhsa_enable_private_segment 0
		.amdhsa_system_sgpr_workgroup_id_x 1
		.amdhsa_system_sgpr_workgroup_id_y 0
		.amdhsa_system_sgpr_workgroup_id_z 0
		.amdhsa_system_sgpr_workgroup_info 0
		.amdhsa_system_vgpr_workitem_id 0
		.amdhsa_next_free_vgpr 37
		.amdhsa_next_free_sgpr 23
		.amdhsa_named_barrier_count 0
		.amdhsa_reserve_vcc 1
		.amdhsa_float_round_mode_32 0
		.amdhsa_float_round_mode_16_64 0
		.amdhsa_float_denorm_mode_32 3
		.amdhsa_float_denorm_mode_16_64 3
		.amdhsa_fp16_overflow 0
		.amdhsa_memory_ordered 1
		.amdhsa_forward_progress 1
		.amdhsa_inst_pref_size 12
		.amdhsa_round_robin_scheduling 0
		.amdhsa_exception_fp_ieee_invalid_op 0
		.amdhsa_exception_fp_denorm_src 0
		.amdhsa_exception_fp_ieee_div_zero 0
		.amdhsa_exception_fp_ieee_overflow 0
		.amdhsa_exception_fp_ieee_underflow 0
		.amdhsa_exception_fp_ieee_inexact 0
		.amdhsa_exception_int_div_zero 0
	.end_amdhsa_kernel
	.section	.text._ZN9rocsparseL44csr2gebsr_wavefront_per_row_multipass_kernelILi256ELi32ELi2ELi64EdEEv20rocsparse_direction_iiiiii21rocsparse_index_base_PKT3_PKiS7_S2_PS3_PiS9_,"axG",@progbits,_ZN9rocsparseL44csr2gebsr_wavefront_per_row_multipass_kernelILi256ELi32ELi2ELi64EdEEv20rocsparse_direction_iiiiii21rocsparse_index_base_PKT3_PKiS7_S2_PS3_PiS9_,comdat
.Lfunc_end108:
	.size	_ZN9rocsparseL44csr2gebsr_wavefront_per_row_multipass_kernelILi256ELi32ELi2ELi64EdEEv20rocsparse_direction_iiiiii21rocsparse_index_base_PKT3_PKiS7_S2_PS3_PiS9_, .Lfunc_end108-_ZN9rocsparseL44csr2gebsr_wavefront_per_row_multipass_kernelILi256ELi32ELi2ELi64EdEEv20rocsparse_direction_iiiiii21rocsparse_index_base_PKT3_PKiS7_S2_PS3_PiS9_
                                        ; -- End function
	.set _ZN9rocsparseL44csr2gebsr_wavefront_per_row_multipass_kernelILi256ELi32ELi2ELi64EdEEv20rocsparse_direction_iiiiii21rocsparse_index_base_PKT3_PKiS7_S2_PS3_PiS9_.num_vgpr, 37
	.set _ZN9rocsparseL44csr2gebsr_wavefront_per_row_multipass_kernelILi256ELi32ELi2ELi64EdEEv20rocsparse_direction_iiiiii21rocsparse_index_base_PKT3_PKiS7_S2_PS3_PiS9_.num_agpr, 0
	.set _ZN9rocsparseL44csr2gebsr_wavefront_per_row_multipass_kernelILi256ELi32ELi2ELi64EdEEv20rocsparse_direction_iiiiii21rocsparse_index_base_PKT3_PKiS7_S2_PS3_PiS9_.numbered_sgpr, 23
	.set _ZN9rocsparseL44csr2gebsr_wavefront_per_row_multipass_kernelILi256ELi32ELi2ELi64EdEEv20rocsparse_direction_iiiiii21rocsparse_index_base_PKT3_PKiS7_S2_PS3_PiS9_.num_named_barrier, 0
	.set _ZN9rocsparseL44csr2gebsr_wavefront_per_row_multipass_kernelILi256ELi32ELi2ELi64EdEEv20rocsparse_direction_iiiiii21rocsparse_index_base_PKT3_PKiS7_S2_PS3_PiS9_.private_seg_size, 0
	.set _ZN9rocsparseL44csr2gebsr_wavefront_per_row_multipass_kernelILi256ELi32ELi2ELi64EdEEv20rocsparse_direction_iiiiii21rocsparse_index_base_PKT3_PKiS7_S2_PS3_PiS9_.uses_vcc, 1
	.set _ZN9rocsparseL44csr2gebsr_wavefront_per_row_multipass_kernelILi256ELi32ELi2ELi64EdEEv20rocsparse_direction_iiiiii21rocsparse_index_base_PKT3_PKiS7_S2_PS3_PiS9_.uses_flat_scratch, 0
	.set _ZN9rocsparseL44csr2gebsr_wavefront_per_row_multipass_kernelILi256ELi32ELi2ELi64EdEEv20rocsparse_direction_iiiiii21rocsparse_index_base_PKT3_PKiS7_S2_PS3_PiS9_.has_dyn_sized_stack, 0
	.set _ZN9rocsparseL44csr2gebsr_wavefront_per_row_multipass_kernelILi256ELi32ELi2ELi64EdEEv20rocsparse_direction_iiiiii21rocsparse_index_base_PKT3_PKiS7_S2_PS3_PiS9_.has_recursion, 0
	.set _ZN9rocsparseL44csr2gebsr_wavefront_per_row_multipass_kernelILi256ELi32ELi2ELi64EdEEv20rocsparse_direction_iiiiii21rocsparse_index_base_PKT3_PKiS7_S2_PS3_PiS9_.has_indirect_call, 0
	.section	.AMDGPU.csdata,"",@progbits
; Kernel info:
; codeLenInByte = 1436
; TotalNumSgprs: 25
; NumVgprs: 37
; ScratchSize: 0
; MemoryBound: 0
; FloatMode: 240
; IeeeMode: 1
; LDSByteSize: 2056 bytes/workgroup (compile time only)
; SGPRBlocks: 0
; VGPRBlocks: 2
; NumSGPRsForWavesPerEU: 25
; NumVGPRsForWavesPerEU: 37
; NamedBarCnt: 0
; Occupancy: 16
; WaveLimiterHint : 0
; COMPUTE_PGM_RSRC2:SCRATCH_EN: 0
; COMPUTE_PGM_RSRC2:USER_SGPR: 2
; COMPUTE_PGM_RSRC2:TRAP_HANDLER: 0
; COMPUTE_PGM_RSRC2:TGID_X_EN: 1
; COMPUTE_PGM_RSRC2:TGID_Y_EN: 0
; COMPUTE_PGM_RSRC2:TGID_Z_EN: 0
; COMPUTE_PGM_RSRC2:TIDIG_COMP_CNT: 0
	.section	.text._ZN9rocsparseL44csr2gebsr_wavefront_per_row_multipass_kernelILi256ELi32ELi2ELi32EdEEv20rocsparse_direction_iiiiii21rocsparse_index_base_PKT3_PKiS7_S2_PS3_PiS9_,"axG",@progbits,_ZN9rocsparseL44csr2gebsr_wavefront_per_row_multipass_kernelILi256ELi32ELi2ELi32EdEEv20rocsparse_direction_iiiiii21rocsparse_index_base_PKT3_PKiS7_S2_PS3_PiS9_,comdat
	.globl	_ZN9rocsparseL44csr2gebsr_wavefront_per_row_multipass_kernelILi256ELi32ELi2ELi32EdEEv20rocsparse_direction_iiiiii21rocsparse_index_base_PKT3_PKiS7_S2_PS3_PiS9_ ; -- Begin function _ZN9rocsparseL44csr2gebsr_wavefront_per_row_multipass_kernelILi256ELi32ELi2ELi32EdEEv20rocsparse_direction_iiiiii21rocsparse_index_base_PKT3_PKiS7_S2_PS3_PiS9_
	.p2align	8
	.type	_ZN9rocsparseL44csr2gebsr_wavefront_per_row_multipass_kernelILi256ELi32ELi2ELi32EdEEv20rocsparse_direction_iiiiii21rocsparse_index_base_PKT3_PKiS7_S2_PS3_PiS9_,@function
_ZN9rocsparseL44csr2gebsr_wavefront_per_row_multipass_kernelILi256ELi32ELi2ELi32EdEEv20rocsparse_direction_iiiiii21rocsparse_index_base_PKT3_PKiS7_S2_PS3_PiS9_: ; @_ZN9rocsparseL44csr2gebsr_wavefront_per_row_multipass_kernelILi256ELi32ELi2ELi32EdEEv20rocsparse_direction_iiiiii21rocsparse_index_base_PKT3_PKiS7_S2_PS3_PiS9_
; %bb.0:
	s_clause 0x1
	s_load_b128 s[4:7], s[0:1], 0xc
	s_load_b64 s[12:13], s[0:1], 0x0
	s_bfe_u32 s2, ttmp6, 0x4000c
	s_and_b32 s3, ttmp6, 15
	s_add_co_i32 s2, s2, 1
	s_getreg_b32 s8, hwreg(HW_REG_IB_STS2, 6, 4)
	s_mul_i32 s2, ttmp9, s2
	v_dual_lshrrev_b32 v20, 5, v0 :: v_dual_bitop2_b32 v1, 31, v0 bitop3:0x40
	s_add_co_i32 s3, s3, s2
	s_cmp_eq_u32 s8, 0
	s_clause 0x1
	s_load_b32 s18, s[0:1], 0x1c
	s_load_b64 s[8:9], s[0:1], 0x28
	s_cselect_b32 s2, ttmp9, s3
	v_dual_mov_b32 v4, 0 :: v_dual_mov_b32 v6, 0
	v_lshl_or_b32 v2, s2, 3, v20
	s_wait_kmcnt 0x0
	s_delay_alu instid0(VALU_DEP_1) | instskip(SKIP_1) | instid1(VALU_DEP_2)
	v_mad_u32 v3, v2, s6, v1
	v_cmp_gt_i32_e32 vcc_lo, s6, v1
	v_cmp_gt_i32_e64 s2, s13, v3
	s_and_b32 s2, vcc_lo, s2
	s_delay_alu instid0(SALU_CYCLE_1)
	s_and_saveexec_b32 s3, s2
	s_cbranch_execz .LBB109_2
; %bb.1:
	global_load_b32 v5, v3, s[8:9] scale_offset
	s_wait_loadcnt 0x0
	v_subrev_nc_u32_e32 v6, s18, v5
.LBB109_2:
	s_or_b32 exec_lo, exec_lo, s3
	v_mov_b32_e32 v21, 0
	s_and_saveexec_b32 s3, s2
	s_cbranch_execz .LBB109_4
; %bb.3:
	global_load_b32 v3, v3, s[8:9] offset:4 scale_offset
	s_wait_loadcnt 0x0
	v_subrev_nc_u32_e32 v21, s18, v3
.LBB109_4:
	s_or_b32 exec_lo, exec_lo, s3
	s_load_b32 s19, s[0:1], 0x38
	s_mov_b32 s3, exec_lo
	v_cmpx_gt_i32_e64 s4, v2
	s_cbranch_execz .LBB109_6
; %bb.5:
	s_load_b64 s[8:9], s[0:1], 0x48
	s_wait_kmcnt 0x0
	global_load_b32 v2, v2, s[8:9] scale_offset
	s_wait_loadcnt 0x0
	v_subrev_nc_u32_e32 v4, s19, v2
.LBB109_6:
	s_or_b32 exec_lo, exec_lo, s3
	s_cmp_lt_i32 s5, 1
	s_cbranch_scc1 .LBB109_29
; %bb.7:
	v_dual_lshlrev_b32 v22, 4, v0 :: v_dual_lshlrev_b32 v8, 3, v1
	v_mul_lo_u32 v0, s7, v1
	v_mbcnt_lo_u32_b32 v2, -1, 0
	s_clause 0x3
	s_load_b64 s[16:17], s[0:1], 0x40
	s_load_b64 s[2:3], s[0:1], 0x50
	;; [unrolled: 1-line block ×4, first 2 shown]
	s_cmp_lg_u32 s12, 0
	s_mov_b32 s13, 0
	s_cselect_b32 s4, -1, 0
	s_wait_xcnt 0x0
	s_ashr_i32 s1, s7, 31
	v_xor_b32_e32 v3, 16, v2
	s_mov_b32 s12, s6
	s_mov_b32 s0, s7
	s_cmp_lg_u32 s7, 0
	s_mul_u64 s[14:15], s[0:1], s[12:13]
	s_cselect_b32 s0, -1, 0
	v_ashrrev_i32_e32 v1, 31, v0
	s_and_b32 s6, vcc_lo, s0
	v_cmp_gt_i32_e64 s0, 32, v3
	s_cmp_gt_u32 s7, 1
	v_xor_b32_e32 v5, 8, v2
	s_cselect_b32 s21, -1, 0
	s_abs_i32 s20, s7
	v_cndmask_b32_e64 v3, v2, v3, s0
	s_cvt_f32_u32 s0, s20
	s_wait_kmcnt 0x0
	v_lshl_add_u64 v[12:13], v[0:1], 3, s[16:17]
	v_dual_mov_b32 v9, 0 :: v_dual_bitop2_b32 v0, 4, v2 bitop3:0x14
	v_dual_lshlrev_b32 v23, 2, v2 :: v_dual_lshlrev_b32 v24, 2, v3
	v_rcp_iflag_f32_e32 v1, s0
	v_cmp_gt_i32_e64 s0, 32, v5
	s_delay_alu instid0(VALU_DEP_3) | instskip(SKIP_1) | instid1(VALU_DEP_3)
	v_add_nc_u64_e32 v[10:11], s[16:17], v[8:9]
	v_dual_mov_b32 v29, 0x7c :: v_dual_mov_b32 v30, 1
	v_dual_mov_b32 v18, 0 :: v_dual_cndmask_b32 v3, v2, v5, s0
	v_xor_b32_e32 v5, 2, v2
	v_cmp_gt_i32_e64 s0, 32, v0
	v_xor_b32_e32 v7, 1, v2
	v_readfirstlane_b32 s16, v1
	s_and_b32 s21, vcc_lo, s21
	s_mov_b32 s17, s13
	v_cndmask_b32_e64 v0, v2, v0, s0
	v_cmp_gt_i32_e64 s0, 32, v5
	v_dual_lshlrev_b32 v25, 2, v3 :: v_dual_mov_b32 v3, v9
	s_mov_b32 s22, s13
	v_dual_lshlrev_b32 v26, 2, v0 :: v_dual_cndmask_b32 v1, v2, v5, s0
	v_cmp_gt_i32_e64 s0, 32, v7
	s_delay_alu instid0(VALU_DEP_1) | instskip(SKIP_3) | instid1(SALU_CYCLE_1)
	v_dual_mov_b32 v0, v9 :: v_dual_cndmask_b32 v2, v2, v7, s0
	s_mul_f32 s0, s16, 0x4f7ffffe
	s_sub_co_i32 s16, 0, s20
	v_dual_lshlrev_b32 v27, 2, v1 :: v_dual_mov_b32 v1, v9
	s_cvt_u32_f32 s0, s0
	v_dual_lshlrev_b32 v28, 2, v2 :: v_dual_mov_b32 v2, v9
	s_delay_alu instid0(SALU_CYCLE_2) | instskip(NEXT) | instid1(SALU_CYCLE_1)
	s_mul_i32 s16, s16, s0
	s_mul_hi_u32 s16, s0, s16
	s_delay_alu instid0(SALU_CYCLE_1)
	s_add_co_i32 s16, s0, s16
	s_branch .LBB109_10
.LBB109_8:                              ;   in Loop: Header=BB109_10 Depth=1
	s_wait_xcnt 0x0
	s_or_b32 exec_lo, exec_lo, s23
	v_mov_b32_e32 v5, 1
.LBB109_9:                              ;   in Loop: Header=BB109_10 Depth=1
	s_or_b32 exec_lo, exec_lo, s0
	ds_bpermute_b32 v8, v24, v7
	s_wait_storecnt_dscnt 0x0
	v_dual_add_nc_u32 v4, v5, v4 :: v_dual_min_i32 v7, v8, v7
	ds_bpermute_b32 v8, v25, v7
	s_wait_dscnt 0x0
	v_min_i32_e32 v7, v8, v7
	ds_bpermute_b32 v8, v26, v7
	s_wait_dscnt 0x0
	v_min_i32_e32 v7, v8, v7
	;; [unrolled: 3-line block ×4, first 2 shown]
	ds_bpermute_b32 v18, v29, v7
	s_wait_dscnt 0x0
	v_cmp_le_i32_e32 vcc_lo, s5, v18
	s_or_b32 s22, vcc_lo, s22
	s_delay_alu instid0(SALU_CYCLE_1)
	s_and_not1_b32 exec_lo, exec_lo, s22
	s_cbranch_execz .LBB109_29
.LBB109_10:                             ; =>This Loop Header: Depth=1
                                        ;     Child Loop BB109_13 Depth 2
	v_dual_mov_b32 v7, s5 :: v_dual_mov_b32 v19, v21
	s_mov_b32 s23, exec_lo
	ds_store_b8 v20, v9 offset:4096
	ds_store_b128 v22, v[0:3]
	s_wait_dscnt 0x0
	v_cmpx_lt_i32_e64 v6, v21
	s_cbranch_execz .LBB109_18
; %bb.11:                               ;   in Loop: Header=BB109_10 Depth=1
	v_mul_lo_u32 v5, v18, s7
	v_dual_ashrrev_i32 v7, 31, v6 :: v_dual_mov_b32 v19, v21
	s_mov_b32 s24, 0
	s_delay_alu instid0(VALU_DEP_1)
	v_lshl_add_u64 v[14:15], v[6:7], 2, s[10:11]
	v_lshl_add_u64 v[16:17], v[6:7], 3, s[8:9]
	v_mov_b32_e32 v7, s5
	s_branch .LBB109_13
.LBB109_12:                             ;   in Loop: Header=BB109_13 Depth=2
	s_wait_xcnt 0x0
	s_or_b32 exec_lo, exec_lo, s0
	v_add_nc_u32_e32 v6, 1, v6
	s_xor_b32 s25, vcc_lo, -1
	v_add_nc_u64_e32 v[14:15], 4, v[14:15]
	v_add_nc_u64_e32 v[16:17], 8, v[16:17]
	s_delay_alu instid0(VALU_DEP_3) | instskip(SKIP_1) | instid1(SALU_CYCLE_1)
	v_cmp_ge_i32_e64 s0, v6, v21
	s_or_b32 s0, s25, s0
	s_and_b32 s0, exec_lo, s0
	s_delay_alu instid0(SALU_CYCLE_1) | instskip(NEXT) | instid1(SALU_CYCLE_1)
	s_or_b32 s24, s0, s24
	s_and_not1_b32 exec_lo, exec_lo, s24
	s_cbranch_execz .LBB109_17
.LBB109_13:                             ;   Parent Loop BB109_10 Depth=1
                                        ; =>  This Inner Loop Header: Depth=2
	global_load_b32 v8, v[14:15], off
	s_wait_loadcnt 0x0
	v_subrev_nc_u32_e32 v31, s18, v8
	s_delay_alu instid0(VALU_DEP_1) | instskip(NEXT) | instid1(VALU_DEP_1)
	v_sub_nc_u32_e32 v8, 0, v31
	v_max_i32_e32 v8, v31, v8
	s_delay_alu instid0(VALU_DEP_1) | instskip(NEXT) | instid1(VALU_DEP_1)
	v_mul_u64_e32 v[32:33], s[16:17], v[8:9]
	v_mul_lo_u32 v32, v33, s20
	s_delay_alu instid0(VALU_DEP_1) | instskip(NEXT) | instid1(VALU_DEP_1)
	v_dual_sub_nc_u32 v8, v8, v32 :: v_dual_add_nc_u32 v32, 1, v33
	v_cmp_le_u32_e32 vcc_lo, s20, v8
	s_delay_alu instid0(VALU_DEP_2) | instskip(SKIP_1) | instid1(VALU_DEP_1)
	v_cndmask_b32_e32 v32, v33, v32, vcc_lo
	v_subrev_nc_u32_e32 v34, s20, v8
	v_dual_cndmask_b32 v8, v8, v34 :: v_dual_ashrrev_i32 v33, 31, v31
	s_delay_alu instid0(VALU_DEP_3) | instskip(NEXT) | instid1(VALU_DEP_2)
	v_add_nc_u32_e32 v34, 1, v32
	v_cmp_le_u32_e32 vcc_lo, s20, v8
	s_delay_alu instid0(VALU_DEP_2) | instskip(NEXT) | instid1(VALU_DEP_1)
	v_dual_cndmask_b32 v8, v32, v34, vcc_lo :: v_dual_bitop2_b32 v33, s1, v33 bitop3:0x14
	v_xor_b32_e32 v8, v8, v33
	s_delay_alu instid0(VALU_DEP_1) | instskip(NEXT) | instid1(VALU_DEP_1)
	v_dual_sub_nc_u32 v32, v8, v33 :: v_dual_mov_b32 v8, v19
	v_cmp_ne_u32_e64 s0, v32, v18
	v_cmp_eq_u32_e32 vcc_lo, v32, v18
	s_wait_xcnt 0x0
	s_and_saveexec_b32 s25, s0
	s_delay_alu instid0(SALU_CYCLE_1)
	s_xor_b32 s0, exec_lo, s25
; %bb.14:                               ;   in Loop: Header=BB109_13 Depth=2
	v_min_i32_e32 v7, v32, v7
                                        ; implicit-def: $vgpr31
                                        ; implicit-def: $vgpr8
; %bb.15:                               ;   in Loop: Header=BB109_13 Depth=2
	s_or_saveexec_b32 s0, s0
	v_mov_b32_e32 v19, v6
	s_xor_b32 exec_lo, exec_lo, s0
	s_cbranch_execz .LBB109_12
; %bb.16:                               ;   in Loop: Header=BB109_13 Depth=2
	global_load_b64 v[32:33], v[16:17], off
	v_sub_nc_u32_e32 v19, v31, v5
	s_delay_alu instid0(VALU_DEP_1)
	v_lshl_add_u32 v31, v19, 3, v22
	v_mov_b32_e32 v19, v8
	ds_store_b8 v20, v30 offset:4096
	s_wait_loadcnt 0x0
	ds_store_b64 v31, v[32:33]
	s_branch .LBB109_12
.LBB109_17:                             ;   in Loop: Header=BB109_10 Depth=1
	s_or_b32 exec_lo, exec_lo, s24
.LBB109_18:                             ;   in Loop: Header=BB109_10 Depth=1
	s_delay_alu instid0(SALU_CYCLE_1)
	s_or_b32 exec_lo, exec_lo, s23
	s_wait_dscnt 0x0
	ds_load_u8 v5, v20 offset:4096
	ds_bpermute_b32 v6, v23, v19
	s_wait_dscnt 0x1
	v_and_b32_e32 v5, 1, v5
	s_delay_alu instid0(VALU_DEP_1)
	v_cmp_eq_u32_e32 vcc_lo, 1, v5
	v_mov_b32_e32 v5, 0
	s_and_saveexec_b32 s0, vcc_lo
	s_cbranch_execz .LBB109_9
; %bb.19:                               ;   in Loop: Header=BB109_10 Depth=1
	v_ashrrev_i32_e32 v5, 31, v4
	s_delay_alu instid0(VALU_DEP_1) | instskip(SKIP_3) | instid1(VALU_DEP_1)
	v_mul_u64_e32 v[14:15], s[14:15], v[4:5]
	v_add_nc_u32_e32 v5, s19, v18
	global_store_b32 v4, v5, s[2:3] scale_offset
	v_lshlrev_b64_e32 v[14:15], 3, v[14:15]
	v_add_nc_u64_e32 v[16:17], v[10:11], v[14:15]
	v_add_nc_u64_e32 v[14:15], v[12:13], v[14:15]
	s_wait_xcnt 0x0
	s_and_saveexec_b32 s23, s6
	s_cbranch_execz .LBB109_23
; %bb.20:                               ;   in Loop: Header=BB109_10 Depth=1
	ds_load_b64 v[18:19], v22
	s_and_b32 vcc_lo, exec_lo, s4
	s_cbranch_vccz .LBB109_26
; %bb.21:                               ;   in Loop: Header=BB109_10 Depth=1
	s_wait_dscnt 0x0
	global_store_b64 v[16:17], v[18:19], off
	s_cbranch_execnz .LBB109_23
.LBB109_22:                             ;   in Loop: Header=BB109_10 Depth=1
	s_wait_dscnt 0x0
	global_store_b64 v[14:15], v[18:19], off
.LBB109_23:                             ;   in Loop: Header=BB109_10 Depth=1
	s_wait_xcnt 0x0
	s_or_b32 exec_lo, exec_lo, s23
	s_and_saveexec_b32 s23, s21
	s_cbranch_execz .LBB109_8
; %bb.24:                               ;   in Loop: Header=BB109_10 Depth=1
	s_wait_dscnt 0x0
	ds_load_b64 v[18:19], v22 offset:8
	s_and_not1_b32 vcc_lo, exec_lo, s4
	s_cbranch_vccnz .LBB109_27
; %bb.25:                               ;   in Loop: Header=BB109_10 Depth=1
	v_lshl_add_u64 v[16:17], s[12:13], 3, v[16:17]
	s_wait_dscnt 0x0
	global_store_b64 v[16:17], v[18:19], off
	s_cbranch_execnz .LBB109_8
	s_branch .LBB109_28
.LBB109_26:                             ;   in Loop: Header=BB109_10 Depth=1
	s_branch .LBB109_22
.LBB109_27:                             ;   in Loop: Header=BB109_10 Depth=1
.LBB109_28:                             ;   in Loop: Header=BB109_10 Depth=1
	s_wait_dscnt 0x0
	global_store_b64 v[14:15], v[18:19], off offset:8
	s_branch .LBB109_8
.LBB109_29:
	s_endpgm
	.section	.rodata,"a",@progbits
	.p2align	6, 0x0
	.amdhsa_kernel _ZN9rocsparseL44csr2gebsr_wavefront_per_row_multipass_kernelILi256ELi32ELi2ELi32EdEEv20rocsparse_direction_iiiiii21rocsparse_index_base_PKT3_PKiS7_S2_PS3_PiS9_
		.amdhsa_group_segment_fixed_size 4104
		.amdhsa_private_segment_fixed_size 0
		.amdhsa_kernarg_size 88
		.amdhsa_user_sgpr_count 2
		.amdhsa_user_sgpr_dispatch_ptr 0
		.amdhsa_user_sgpr_queue_ptr 0
		.amdhsa_user_sgpr_kernarg_segment_ptr 1
		.amdhsa_user_sgpr_dispatch_id 0
		.amdhsa_user_sgpr_kernarg_preload_length 0
		.amdhsa_user_sgpr_kernarg_preload_offset 0
		.amdhsa_user_sgpr_private_segment_size 0
		.amdhsa_wavefront_size32 1
		.amdhsa_uses_dynamic_stack 0
		.amdhsa_enable_private_segment 0
		.amdhsa_system_sgpr_workgroup_id_x 1
		.amdhsa_system_sgpr_workgroup_id_y 0
		.amdhsa_system_sgpr_workgroup_id_z 0
		.amdhsa_system_sgpr_workgroup_info 0
		.amdhsa_system_vgpr_workitem_id 0
		.amdhsa_next_free_vgpr 35
		.amdhsa_next_free_sgpr 26
		.amdhsa_named_barrier_count 0
		.amdhsa_reserve_vcc 1
		.amdhsa_float_round_mode_32 0
		.amdhsa_float_round_mode_16_64 0
		.amdhsa_float_denorm_mode_32 3
		.amdhsa_float_denorm_mode_16_64 3
		.amdhsa_fp16_overflow 0
		.amdhsa_memory_ordered 1
		.amdhsa_forward_progress 1
		.amdhsa_inst_pref_size 12
		.amdhsa_round_robin_scheduling 0
		.amdhsa_exception_fp_ieee_invalid_op 0
		.amdhsa_exception_fp_denorm_src 0
		.amdhsa_exception_fp_ieee_div_zero 0
		.amdhsa_exception_fp_ieee_overflow 0
		.amdhsa_exception_fp_ieee_underflow 0
		.amdhsa_exception_fp_ieee_inexact 0
		.amdhsa_exception_int_div_zero 0
	.end_amdhsa_kernel
	.section	.text._ZN9rocsparseL44csr2gebsr_wavefront_per_row_multipass_kernelILi256ELi32ELi2ELi32EdEEv20rocsparse_direction_iiiiii21rocsparse_index_base_PKT3_PKiS7_S2_PS3_PiS9_,"axG",@progbits,_ZN9rocsparseL44csr2gebsr_wavefront_per_row_multipass_kernelILi256ELi32ELi2ELi32EdEEv20rocsparse_direction_iiiiii21rocsparse_index_base_PKT3_PKiS7_S2_PS3_PiS9_,comdat
.Lfunc_end109:
	.size	_ZN9rocsparseL44csr2gebsr_wavefront_per_row_multipass_kernelILi256ELi32ELi2ELi32EdEEv20rocsparse_direction_iiiiii21rocsparse_index_base_PKT3_PKiS7_S2_PS3_PiS9_, .Lfunc_end109-_ZN9rocsparseL44csr2gebsr_wavefront_per_row_multipass_kernelILi256ELi32ELi2ELi32EdEEv20rocsparse_direction_iiiiii21rocsparse_index_base_PKT3_PKiS7_S2_PS3_PiS9_
                                        ; -- End function
	.set _ZN9rocsparseL44csr2gebsr_wavefront_per_row_multipass_kernelILi256ELi32ELi2ELi32EdEEv20rocsparse_direction_iiiiii21rocsparse_index_base_PKT3_PKiS7_S2_PS3_PiS9_.num_vgpr, 35
	.set _ZN9rocsparseL44csr2gebsr_wavefront_per_row_multipass_kernelILi256ELi32ELi2ELi32EdEEv20rocsparse_direction_iiiiii21rocsparse_index_base_PKT3_PKiS7_S2_PS3_PiS9_.num_agpr, 0
	.set _ZN9rocsparseL44csr2gebsr_wavefront_per_row_multipass_kernelILi256ELi32ELi2ELi32EdEEv20rocsparse_direction_iiiiii21rocsparse_index_base_PKT3_PKiS7_S2_PS3_PiS9_.numbered_sgpr, 26
	.set _ZN9rocsparseL44csr2gebsr_wavefront_per_row_multipass_kernelILi256ELi32ELi2ELi32EdEEv20rocsparse_direction_iiiiii21rocsparse_index_base_PKT3_PKiS7_S2_PS3_PiS9_.num_named_barrier, 0
	.set _ZN9rocsparseL44csr2gebsr_wavefront_per_row_multipass_kernelILi256ELi32ELi2ELi32EdEEv20rocsparse_direction_iiiiii21rocsparse_index_base_PKT3_PKiS7_S2_PS3_PiS9_.private_seg_size, 0
	.set _ZN9rocsparseL44csr2gebsr_wavefront_per_row_multipass_kernelILi256ELi32ELi2ELi32EdEEv20rocsparse_direction_iiiiii21rocsparse_index_base_PKT3_PKiS7_S2_PS3_PiS9_.uses_vcc, 1
	.set _ZN9rocsparseL44csr2gebsr_wavefront_per_row_multipass_kernelILi256ELi32ELi2ELi32EdEEv20rocsparse_direction_iiiiii21rocsparse_index_base_PKT3_PKiS7_S2_PS3_PiS9_.uses_flat_scratch, 0
	.set _ZN9rocsparseL44csr2gebsr_wavefront_per_row_multipass_kernelILi256ELi32ELi2ELi32EdEEv20rocsparse_direction_iiiiii21rocsparse_index_base_PKT3_PKiS7_S2_PS3_PiS9_.has_dyn_sized_stack, 0
	.set _ZN9rocsparseL44csr2gebsr_wavefront_per_row_multipass_kernelILi256ELi32ELi2ELi32EdEEv20rocsparse_direction_iiiiii21rocsparse_index_base_PKT3_PKiS7_S2_PS3_PiS9_.has_recursion, 0
	.set _ZN9rocsparseL44csr2gebsr_wavefront_per_row_multipass_kernelILi256ELi32ELi2ELi32EdEEv20rocsparse_direction_iiiiii21rocsparse_index_base_PKT3_PKiS7_S2_PS3_PiS9_.has_indirect_call, 0
	.section	.AMDGPU.csdata,"",@progbits
; Kernel info:
; codeLenInByte = 1468
; TotalNumSgprs: 28
; NumVgprs: 35
; ScratchSize: 0
; MemoryBound: 0
; FloatMode: 240
; IeeeMode: 1
; LDSByteSize: 4104 bytes/workgroup (compile time only)
; SGPRBlocks: 0
; VGPRBlocks: 2
; NumSGPRsForWavesPerEU: 28
; NumVGPRsForWavesPerEU: 35
; NamedBarCnt: 0
; Occupancy: 16
; WaveLimiterHint : 0
; COMPUTE_PGM_RSRC2:SCRATCH_EN: 0
; COMPUTE_PGM_RSRC2:USER_SGPR: 2
; COMPUTE_PGM_RSRC2:TRAP_HANDLER: 0
; COMPUTE_PGM_RSRC2:TGID_X_EN: 1
; COMPUTE_PGM_RSRC2:TGID_Y_EN: 0
; COMPUTE_PGM_RSRC2:TGID_Z_EN: 0
; COMPUTE_PGM_RSRC2:TIDIG_COMP_CNT: 0
	.section	.text._ZN9rocsparseL44csr2gebsr_wavefront_per_row_multipass_kernelILi256ELi32ELi4ELi64EdEEv20rocsparse_direction_iiiiii21rocsparse_index_base_PKT3_PKiS7_S2_PS3_PiS9_,"axG",@progbits,_ZN9rocsparseL44csr2gebsr_wavefront_per_row_multipass_kernelILi256ELi32ELi4ELi64EdEEv20rocsparse_direction_iiiiii21rocsparse_index_base_PKT3_PKiS7_S2_PS3_PiS9_,comdat
	.globl	_ZN9rocsparseL44csr2gebsr_wavefront_per_row_multipass_kernelILi256ELi32ELi4ELi64EdEEv20rocsparse_direction_iiiiii21rocsparse_index_base_PKT3_PKiS7_S2_PS3_PiS9_ ; -- Begin function _ZN9rocsparseL44csr2gebsr_wavefront_per_row_multipass_kernelILi256ELi32ELi4ELi64EdEEv20rocsparse_direction_iiiiii21rocsparse_index_base_PKT3_PKiS7_S2_PS3_PiS9_
	.p2align	8
	.type	_ZN9rocsparseL44csr2gebsr_wavefront_per_row_multipass_kernelILi256ELi32ELi4ELi64EdEEv20rocsparse_direction_iiiiii21rocsparse_index_base_PKT3_PKiS7_S2_PS3_PiS9_,@function
_ZN9rocsparseL44csr2gebsr_wavefront_per_row_multipass_kernelILi256ELi32ELi4ELi64EdEEv20rocsparse_direction_iiiiii21rocsparse_index_base_PKT3_PKiS7_S2_PS3_PiS9_: ; @_ZN9rocsparseL44csr2gebsr_wavefront_per_row_multipass_kernelILi256ELi32ELi4ELi64EdEEv20rocsparse_direction_iiiiii21rocsparse_index_base_PKT3_PKiS7_S2_PS3_PiS9_
; %bb.0:
	s_clause 0x1
	s_load_b128 s[4:7], s[0:1], 0xc
	s_load_b64 s[12:13], s[0:1], 0x0
	s_bfe_u32 s2, ttmp6, 0x4000c
	s_and_b32 s3, ttmp6, 15
	s_add_co_i32 s2, s2, 1
	s_getreg_b32 s8, hwreg(HW_REG_IB_STS2, 6, 4)
	s_mul_i32 s2, ttmp9, s2
	v_dual_lshrrev_b32 v20, 6, v0 :: v_dual_mov_b32 v2, 0
	s_add_co_i32 s3, s3, s2
	s_cmp_eq_u32 s8, 0
	v_bfe_u32 v3, v0, 1, 5
	s_cselect_b32 s2, ttmp9, s3
	s_clause 0x1
	s_load_b32 s18, s[0:1], 0x1c
	s_load_b64 s[8:9], s[0:1], 0x28
	v_lshl_or_b32 v1, s2, 2, v20
	v_mov_b32_e32 v29, 0
	s_wait_kmcnt 0x0
	s_delay_alu instid0(VALU_DEP_2) | instskip(SKIP_1) | instid1(VALU_DEP_2)
	v_mad_u32 v4, v1, s6, v3
	v_cmp_gt_i32_e32 vcc_lo, s6, v3
	v_cmp_gt_i32_e64 s2, s13, v4
	s_and_b32 s2, vcc_lo, s2
	s_delay_alu instid0(SALU_CYCLE_1)
	s_and_saveexec_b32 s3, s2
	s_cbranch_execz .LBB110_2
; %bb.1:
	global_load_b32 v5, v4, s[8:9] scale_offset
	s_wait_loadcnt 0x0
	v_subrev_nc_u32_e32 v29, s18, v5
.LBB110_2:
	s_or_b32 exec_lo, exec_lo, s3
	v_mov_b32_e32 v21, 0
	s_and_saveexec_b32 s3, s2
	s_cbranch_execz .LBB110_4
; %bb.3:
	global_load_b32 v4, v4, s[8:9] offset:4 scale_offset
	s_wait_loadcnt 0x0
	v_subrev_nc_u32_e32 v21, s18, v4
.LBB110_4:
	s_or_b32 exec_lo, exec_lo, s3
	s_load_b32 s19, s[0:1], 0x38
	s_mov_b32 s3, exec_lo
	v_cmpx_gt_i32_e64 s4, v1
	s_cbranch_execz .LBB110_6
; %bb.5:
	s_load_b64 s[8:9], s[0:1], 0x48
	s_wait_kmcnt 0x0
	global_load_b32 v1, v1, s[8:9] scale_offset
	s_wait_loadcnt 0x0
	v_subrev_nc_u32_e32 v2, s19, v1
.LBB110_6:
	s_or_b32 exec_lo, exec_lo, s3
	s_cmp_lt_i32 s5, 1
	s_cbranch_scc1 .LBB110_31
; %bb.7:
	v_mbcnt_lo_u32_b32 v10, -1, 0
	s_clause 0x3
	s_load_b64 s[2:3], s[0:1], 0x50
	s_load_b64 s[20:21], s[0:1], 0x40
	;; [unrolled: 1-line block ×4, first 2 shown]
	v_mul_lo_u32 v4, s7, v3
	s_cmp_lg_u32 s12, 0
	s_mov_b32 s13, 0
	v_xor_b32_e32 v1, 1, v10
	v_dual_lshlrev_b32 v0, 5, v3 :: v_dual_bitop2_b32 v22, 1, v0 bitop3:0x40
	s_cselect_b32 s4, -1, 0
	s_mov_b32 s12, s6
	s_wait_xcnt 0x0
	v_cmp_gt_i32_e64 s0, 32, v1
	s_ashr_i32 s15, s7, 31
	v_lshl_or_b32 v23, v20, 10, v0
	v_dual_lshlrev_b32 v0, 3, v3 :: v_dual_bitop2_b32 v3, 16, v10 bitop3:0x14
	v_dual_cndmask_b32 v1, v10, v1, s0 :: v_dual_lshlrev_b32 v6, 3, v22
	s_mov_b32 s14, s7
	v_lshl_or_b32 v25, v10, 2, 4
	s_mul_u64 s[16:17], s[14:15], s[12:13]
	s_delay_alu instid0(VALU_DEP_2) | instskip(SKIP_4) | instid1(VALU_DEP_3)
	v_dual_mov_b32 v1, 0 :: v_dual_lshlrev_b32 v24, 2, v1
	v_or_b32_e32 v11, 32, v10
	v_dual_ashrrev_i32 v5, 31, v4 :: v_dual_bitop2_b32 v26, v23, v6 bitop3:0x54
	s_abs_i32 s14, s7
	v_mov_b64_e32 v[12:13], 0
	v_cmp_gt_i32_e64 s0, 32, v11
	v_mov_b32_e32 v7, v1
	s_wait_kmcnt 0x0
	v_lshl_add_u64 v[8:9], v[4:5], 3, s[20:21]
	v_add_nc_u64_e32 v[4:5], s[20:21], v[0:1]
	s_cvt_f32_u32 s1, s14
	v_cndmask_b32_e64 v11, v10, v11, s0
	v_cmp_gt_i32_e64 s0, 32, v3
	v_add_nc_u64_e32 v[6:7], v[8:9], v[6:7]
	v_xor_b32_e32 v0, 8, v10
	v_rcp_iflag_f32_e32 v9, s1
	v_lshlrev_b32_e32 v27, 2, v11
	v_cndmask_b32_e64 v3, v10, v3, s0
	v_bfrev_b32_e32 v33, 0.5
	v_cmp_gt_i32_e64 s0, 32, v0
	v_dual_mov_b32 v11, v1 :: v_dual_bitop2_b32 v8, 2, v10 bitop3:0x14
	s_delay_alu instid0(VALU_DEP_4) | instskip(NEXT) | instid1(VALU_DEP_3)
	v_dual_lshlrev_b32 v28, 2, v3 :: v_dual_bitop2_b32 v34, -2, v22 bitop3:0x54
	v_dual_cndmask_b32 v0, v10, v0, s0 :: v_dual_bitop2_b32 v3, 4, v10 bitop3:0x14
	v_dual_mov_b32 v35, 1 :: v_dual_mov_b32 v37, 0
	s_delay_alu instid0(VALU_DEP_2) | instskip(NEXT) | instid1(VALU_DEP_1)
	v_cmp_gt_i32_e64 s0, 32, v3
	v_cndmask_b32_e64 v3, v10, v3, s0
	v_cmp_gt_i32_e64 s0, 32, v8
	s_delay_alu instid0(VALU_DEP_1) | instskip(SKIP_3) | instid1(VALU_DEP_4)
	v_dual_lshlrev_b32 v31, 2, v3 :: v_dual_cndmask_b32 v10, v10, v8, s0
	v_mul_lo_u32 v8, v22, s6
	v_readfirstlane_b32 s0, v9
	v_dual_lshlrev_b32 v30, 2, v0 :: v_dual_bitop2_b32 v0, 2, v22 bitop3:0x54
	v_dual_mov_b32 v9, v1 :: v_dual_lshlrev_b32 v32, 2, v10
	s_mul_f32 s12, s0, 0x4f7ffffe
	v_cmp_gt_u32_e64 s0, s7, v22
	s_delay_alu instid0(VALU_DEP_3) | instskip(NEXT) | instid1(SALU_CYCLE_1)
	v_cmp_gt_u32_e64 s1, s7, v0
	s_cvt_u32_f32 s12, s12
	v_lshl_add_u32 v10, s6, 1, v8
	s_sub_co_i32 s6, 0, s14
	s_and_b32 s1, vcc_lo, s1
	s_mul_i32 s20, s6, s12
	s_and_b32 s6, s0, vcc_lo
	s_mul_hi_u32 s0, s12, s20
	s_mov_b32 s20, s13
	s_add_co_i32 s12, s12, s0
	s_branch .LBB110_10
.LBB110_8:                              ;   in Loop: Header=BB110_10 Depth=1
	s_wait_xcnt 0x0
	s_or_b32 exec_lo, exec_lo, s21
	v_mov_b32_e32 v0, 1
.LBB110_9:                              ;   in Loop: Header=BB110_10 Depth=1
	s_or_b32 exec_lo, exec_lo, s0
	ds_bpermute_b32 v3, v27, v36
	s_wait_storecnt_dscnt 0x0
	v_dual_add_nc_u32 v2, v0, v2 :: v_dual_min_i32 v3, v3, v36
	ds_bpermute_b32 v14, v28, v3
	s_wait_dscnt 0x0
	v_min_i32_e32 v3, v14, v3
	ds_bpermute_b32 v14, v30, v3
	s_wait_dscnt 0x0
	v_min_i32_e32 v3, v14, v3
	;; [unrolled: 3-line block ×5, first 2 shown]
	ds_bpermute_b32 v37, v33, v3
	s_wait_dscnt 0x0
	v_cmp_le_i32_e32 vcc_lo, s5, v37
	s_or_b32 s20, vcc_lo, s20
	s_delay_alu instid0(SALU_CYCLE_1)
	s_and_not1_b32 exec_lo, exec_lo, s20
	s_cbranch_execz .LBB110_31
.LBB110_10:                             ; =>This Loop Header: Depth=1
                                        ;     Child Loop BB110_11 Depth 2
                                        ;     Child Loop BB110_15 Depth 2
	v_dual_mov_b32 v0, v26 :: v_dual_mov_b32 v3, v34
	s_mov_b32 s0, 0
	ds_store_b8 v20, v1 offset:4096
.LBB110_11:                             ;   Parent Loop BB110_10 Depth=1
                                        ; =>  This Inner Loop Header: Depth=2
	v_add_co_u32 v3, s21, v3, 2
	s_xor_b32 s21, s21, -1
	ds_store_b64 v0, v[12:13]
	v_add_nc_u32_e32 v0, 16, v0
	s_and_b32 s21, exec_lo, s21
	s_delay_alu instid0(SALU_CYCLE_1) | instskip(NEXT) | instid1(SALU_CYCLE_1)
	s_or_b32 s0, s21, s0
	s_and_not1_b32 exec_lo, exec_lo, s0
	s_cbranch_execnz .LBB110_11
; %bb.12:                               ;   in Loop: Header=BB110_10 Depth=1
	s_or_b32 exec_lo, exec_lo, s0
	v_dual_add_nc_u32 v14, v29, v22 :: v_dual_mov_b32 v36, s5
	v_mov_b32_e32 v15, v21
	s_mov_b32 s21, exec_lo
	s_wait_dscnt 0x0
	s_delay_alu instid0(VALU_DEP_2)
	v_cmpx_lt_i32_e64 v14, v21
	s_cbranch_execz .LBB110_20
; %bb.13:                               ;   in Loop: Header=BB110_10 Depth=1
	v_mul_lo_u32 v3, v37, s7
	v_dual_mov_b32 v36, s5 :: v_dual_ashrrev_i32 v15, 31, v14
	s_mov_b32 s22, 0
	s_delay_alu instid0(VALU_DEP_1)
	v_lshl_add_u64 v[16:17], v[14:15], 2, s[10:11]
	v_lshl_add_u64 v[18:19], v[14:15], 3, s[8:9]
	v_mov_b32_e32 v15, v21
	s_branch .LBB110_15
.LBB110_14:                             ;   in Loop: Header=BB110_15 Depth=2
	s_wait_xcnt 0x0
	s_or_b32 exec_lo, exec_lo, s0
	v_add_nc_u32_e32 v14, 2, v14
	s_xor_b32 s23, vcc_lo, -1
	v_add_nc_u64_e32 v[16:17], 8, v[16:17]
	v_add_nc_u64_e32 v[18:19], 16, v[18:19]
	s_delay_alu instid0(VALU_DEP_3) | instskip(SKIP_1) | instid1(SALU_CYCLE_1)
	v_cmp_ge_i32_e64 s0, v14, v21
	s_or_b32 s0, s23, s0
	s_and_b32 s0, exec_lo, s0
	s_delay_alu instid0(SALU_CYCLE_1) | instskip(NEXT) | instid1(SALU_CYCLE_1)
	s_or_b32 s22, s0, s22
	s_and_not1_b32 exec_lo, exec_lo, s22
	s_cbranch_execz .LBB110_19
.LBB110_15:                             ;   Parent Loop BB110_10 Depth=1
                                        ; =>  This Inner Loop Header: Depth=2
	global_load_b32 v0, v[16:17], off
	s_wait_loadcnt 0x0
	v_subrev_nc_u32_e32 v29, s18, v0
	s_delay_alu instid0(VALU_DEP_1) | instskip(NEXT) | instid1(VALU_DEP_1)
	v_sub_nc_u32_e32 v0, 0, v29
	v_max_i32_e32 v0, v29, v0
	s_delay_alu instid0(VALU_DEP_1) | instskip(NEXT) | instid1(VALU_DEP_1)
	v_mul_u64_e32 v[38:39], s[12:13], v[0:1]
	v_mul_lo_u32 v38, v39, s14
	s_delay_alu instid0(VALU_DEP_1) | instskip(NEXT) | instid1(VALU_DEP_1)
	v_dual_sub_nc_u32 v0, v0, v38 :: v_dual_add_nc_u32 v38, 1, v39
	v_cmp_le_u32_e32 vcc_lo, s14, v0
	s_delay_alu instid0(VALU_DEP_2) | instskip(SKIP_1) | instid1(VALU_DEP_1)
	v_dual_cndmask_b32 v38, v39, v38 :: v_dual_ashrrev_i32 v39, 31, v29
	v_subrev_nc_u32_e32 v40, s14, v0
	v_dual_cndmask_b32 v0, v0, v40, vcc_lo :: v_dual_add_nc_u32 v40, 1, v38
	s_delay_alu instid0(VALU_DEP_1) | instskip(NEXT) | instid1(VALU_DEP_2)
	v_cmp_le_u32_e32 vcc_lo, s14, v0
	v_dual_cndmask_b32 v0, v38, v40, vcc_lo :: v_dual_bitop2_b32 v39, s15, v39 bitop3:0x14
	s_delay_alu instid0(VALU_DEP_1) | instskip(NEXT) | instid1(VALU_DEP_1)
	v_xor_b32_e32 v0, v0, v39
	v_dual_sub_nc_u32 v38, v0, v39 :: v_dual_mov_b32 v0, v15
	s_delay_alu instid0(VALU_DEP_1) | instskip(SKIP_3) | instid1(SALU_CYCLE_1)
	v_cmp_ne_u32_e64 s0, v38, v37
	v_cmp_eq_u32_e32 vcc_lo, v38, v37
	s_wait_xcnt 0x0
	s_and_saveexec_b32 s23, s0
	s_xor_b32 s0, exec_lo, s23
; %bb.16:                               ;   in Loop: Header=BB110_15 Depth=2
	v_min_i32_e32 v36, v38, v36
                                        ; implicit-def: $vgpr29
                                        ; implicit-def: $vgpr0
; %bb.17:                               ;   in Loop: Header=BB110_15 Depth=2
	s_or_saveexec_b32 s0, s0
	v_mov_b32_e32 v15, v14
	s_xor_b32 exec_lo, exec_lo, s0
	s_cbranch_execz .LBB110_14
; %bb.18:                               ;   in Loop: Header=BB110_15 Depth=2
	global_load_b64 v[38:39], v[18:19], off
	v_sub_nc_u32_e32 v15, v29, v3
	s_delay_alu instid0(VALU_DEP_1)
	v_lshl_add_u32 v29, v15, 3, v23
	v_mov_b32_e32 v15, v0
	ds_store_b8 v20, v35 offset:4096
	s_wait_loadcnt 0x0
	ds_store_b64 v29, v[38:39]
	s_branch .LBB110_14
.LBB110_19:                             ;   in Loop: Header=BB110_10 Depth=1
	s_or_b32 exec_lo, exec_lo, s22
.LBB110_20:                             ;   in Loop: Header=BB110_10 Depth=1
	s_delay_alu instid0(SALU_CYCLE_1)
	s_or_b32 exec_lo, exec_lo, s21
	ds_bpermute_b32 v0, v24, v15
	s_wait_dscnt 0x0
	ds_load_u8 v3, v20 offset:4096
	v_min_i32_e32 v0, v0, v15
	ds_bpermute_b32 v29, v25, v0
	s_wait_dscnt 0x1
	v_and_b32_e32 v0, 1, v3
	s_delay_alu instid0(VALU_DEP_1)
	v_cmp_eq_u32_e32 vcc_lo, 1, v0
	v_mov_b32_e32 v0, 0
	s_and_saveexec_b32 s0, vcc_lo
	s_cbranch_execz .LBB110_9
; %bb.21:                               ;   in Loop: Header=BB110_10 Depth=1
	v_dual_ashrrev_i32 v3, 31, v2 :: v_dual_add_nc_u32 v0, s19, v37
	s_delay_alu instid0(VALU_DEP_1) | instskip(SKIP_2) | instid1(VALU_DEP_1)
	v_mul_u64_e32 v[14:15], s[16:17], v[2:3]
	global_store_b32 v2, v0, s[2:3] scale_offset
	v_lshlrev_b64_e32 v[14:15], 3, v[14:15]
	v_add_nc_u64_e32 v[16:17], v[4:5], v[14:15]
	v_add_nc_u64_e32 v[14:15], v[6:7], v[14:15]
	s_wait_xcnt 0x0
	s_and_saveexec_b32 s21, s6
	s_cbranch_execz .LBB110_25
; %bb.22:                               ;   in Loop: Header=BB110_10 Depth=1
	ds_load_b64 v[18:19], v26
	s_and_b32 vcc_lo, exec_lo, s4
	s_cbranch_vccz .LBB110_28
; %bb.23:                               ;   in Loop: Header=BB110_10 Depth=1
	v_lshl_add_u64 v[38:39], v[8:9], 3, v[16:17]
	s_wait_dscnt 0x0
	global_store_b64 v[38:39], v[18:19], off
	s_cbranch_execnz .LBB110_25
.LBB110_24:                             ;   in Loop: Header=BB110_10 Depth=1
	s_wait_dscnt 0x0
	global_store_b64 v[14:15], v[18:19], off
.LBB110_25:                             ;   in Loop: Header=BB110_10 Depth=1
	s_wait_xcnt 0x0
	s_or_b32 exec_lo, exec_lo, s21
	s_and_saveexec_b32 s21, s1
	s_cbranch_execz .LBB110_8
; %bb.26:                               ;   in Loop: Header=BB110_10 Depth=1
	s_and_not1_b32 vcc_lo, exec_lo, s4
	s_cbranch_vccnz .LBB110_29
; %bb.27:                               ;   in Loop: Header=BB110_10 Depth=1
	s_wait_dscnt 0x0
	ds_load_b64 v[18:19], v26 offset:16
	v_lshl_add_u64 v[16:17], v[10:11], 3, v[16:17]
	s_wait_dscnt 0x0
	global_store_b64 v[16:17], v[18:19], off
	s_cbranch_execnz .LBB110_8
	s_branch .LBB110_30
.LBB110_28:                             ;   in Loop: Header=BB110_10 Depth=1
	s_branch .LBB110_24
.LBB110_29:                             ;   in Loop: Header=BB110_10 Depth=1
.LBB110_30:                             ;   in Loop: Header=BB110_10 Depth=1
	s_wait_xcnt 0x0
	ds_load_b64 v[16:17], v26 offset:16
	s_wait_dscnt 0x0
	global_store_b64 v[14:15], v[16:17], off offset:16
	s_branch .LBB110_8
.LBB110_31:
	s_endpgm
	.section	.rodata,"a",@progbits
	.p2align	6, 0x0
	.amdhsa_kernel _ZN9rocsparseL44csr2gebsr_wavefront_per_row_multipass_kernelILi256ELi32ELi4ELi64EdEEv20rocsparse_direction_iiiiii21rocsparse_index_base_PKT3_PKiS7_S2_PS3_PiS9_
		.amdhsa_group_segment_fixed_size 4104
		.amdhsa_private_segment_fixed_size 0
		.amdhsa_kernarg_size 88
		.amdhsa_user_sgpr_count 2
		.amdhsa_user_sgpr_dispatch_ptr 0
		.amdhsa_user_sgpr_queue_ptr 0
		.amdhsa_user_sgpr_kernarg_segment_ptr 1
		.amdhsa_user_sgpr_dispatch_id 0
		.amdhsa_user_sgpr_kernarg_preload_length 0
		.amdhsa_user_sgpr_kernarg_preload_offset 0
		.amdhsa_user_sgpr_private_segment_size 0
		.amdhsa_wavefront_size32 1
		.amdhsa_uses_dynamic_stack 0
		.amdhsa_enable_private_segment 0
		.amdhsa_system_sgpr_workgroup_id_x 1
		.amdhsa_system_sgpr_workgroup_id_y 0
		.amdhsa_system_sgpr_workgroup_id_z 0
		.amdhsa_system_sgpr_workgroup_info 0
		.amdhsa_system_vgpr_workitem_id 0
		.amdhsa_next_free_vgpr 41
		.amdhsa_next_free_sgpr 24
		.amdhsa_named_barrier_count 0
		.amdhsa_reserve_vcc 1
		.amdhsa_float_round_mode_32 0
		.amdhsa_float_round_mode_16_64 0
		.amdhsa_float_denorm_mode_32 3
		.amdhsa_float_denorm_mode_16_64 3
		.amdhsa_fp16_overflow 0
		.amdhsa_memory_ordered 1
		.amdhsa_forward_progress 1
		.amdhsa_inst_pref_size 13
		.amdhsa_round_robin_scheduling 0
		.amdhsa_exception_fp_ieee_invalid_op 0
		.amdhsa_exception_fp_denorm_src 0
		.amdhsa_exception_fp_ieee_div_zero 0
		.amdhsa_exception_fp_ieee_overflow 0
		.amdhsa_exception_fp_ieee_underflow 0
		.amdhsa_exception_fp_ieee_inexact 0
		.amdhsa_exception_int_div_zero 0
	.end_amdhsa_kernel
	.section	.text._ZN9rocsparseL44csr2gebsr_wavefront_per_row_multipass_kernelILi256ELi32ELi4ELi64EdEEv20rocsparse_direction_iiiiii21rocsparse_index_base_PKT3_PKiS7_S2_PS3_PiS9_,"axG",@progbits,_ZN9rocsparseL44csr2gebsr_wavefront_per_row_multipass_kernelILi256ELi32ELi4ELi64EdEEv20rocsparse_direction_iiiiii21rocsparse_index_base_PKT3_PKiS7_S2_PS3_PiS9_,comdat
.Lfunc_end110:
	.size	_ZN9rocsparseL44csr2gebsr_wavefront_per_row_multipass_kernelILi256ELi32ELi4ELi64EdEEv20rocsparse_direction_iiiiii21rocsparse_index_base_PKT3_PKiS7_S2_PS3_PiS9_, .Lfunc_end110-_ZN9rocsparseL44csr2gebsr_wavefront_per_row_multipass_kernelILi256ELi32ELi4ELi64EdEEv20rocsparse_direction_iiiiii21rocsparse_index_base_PKT3_PKiS7_S2_PS3_PiS9_
                                        ; -- End function
	.set _ZN9rocsparseL44csr2gebsr_wavefront_per_row_multipass_kernelILi256ELi32ELi4ELi64EdEEv20rocsparse_direction_iiiiii21rocsparse_index_base_PKT3_PKiS7_S2_PS3_PiS9_.num_vgpr, 41
	.set _ZN9rocsparseL44csr2gebsr_wavefront_per_row_multipass_kernelILi256ELi32ELi4ELi64EdEEv20rocsparse_direction_iiiiii21rocsparse_index_base_PKT3_PKiS7_S2_PS3_PiS9_.num_agpr, 0
	.set _ZN9rocsparseL44csr2gebsr_wavefront_per_row_multipass_kernelILi256ELi32ELi4ELi64EdEEv20rocsparse_direction_iiiiii21rocsparse_index_base_PKT3_PKiS7_S2_PS3_PiS9_.numbered_sgpr, 24
	.set _ZN9rocsparseL44csr2gebsr_wavefront_per_row_multipass_kernelILi256ELi32ELi4ELi64EdEEv20rocsparse_direction_iiiiii21rocsparse_index_base_PKT3_PKiS7_S2_PS3_PiS9_.num_named_barrier, 0
	.set _ZN9rocsparseL44csr2gebsr_wavefront_per_row_multipass_kernelILi256ELi32ELi4ELi64EdEEv20rocsparse_direction_iiiiii21rocsparse_index_base_PKT3_PKiS7_S2_PS3_PiS9_.private_seg_size, 0
	.set _ZN9rocsparseL44csr2gebsr_wavefront_per_row_multipass_kernelILi256ELi32ELi4ELi64EdEEv20rocsparse_direction_iiiiii21rocsparse_index_base_PKT3_PKiS7_S2_PS3_PiS9_.uses_vcc, 1
	.set _ZN9rocsparseL44csr2gebsr_wavefront_per_row_multipass_kernelILi256ELi32ELi4ELi64EdEEv20rocsparse_direction_iiiiii21rocsparse_index_base_PKT3_PKiS7_S2_PS3_PiS9_.uses_flat_scratch, 0
	.set _ZN9rocsparseL44csr2gebsr_wavefront_per_row_multipass_kernelILi256ELi32ELi4ELi64EdEEv20rocsparse_direction_iiiiii21rocsparse_index_base_PKT3_PKiS7_S2_PS3_PiS9_.has_dyn_sized_stack, 0
	.set _ZN9rocsparseL44csr2gebsr_wavefront_per_row_multipass_kernelILi256ELi32ELi4ELi64EdEEv20rocsparse_direction_iiiiii21rocsparse_index_base_PKT3_PKiS7_S2_PS3_PiS9_.has_recursion, 0
	.set _ZN9rocsparseL44csr2gebsr_wavefront_per_row_multipass_kernelILi256ELi32ELi4ELi64EdEEv20rocsparse_direction_iiiiii21rocsparse_index_base_PKT3_PKiS7_S2_PS3_PiS9_.has_indirect_call, 0
	.section	.AMDGPU.csdata,"",@progbits
; Kernel info:
; codeLenInByte = 1652
; TotalNumSgprs: 26
; NumVgprs: 41
; ScratchSize: 0
; MemoryBound: 0
; FloatMode: 240
; IeeeMode: 1
; LDSByteSize: 4104 bytes/workgroup (compile time only)
; SGPRBlocks: 0
; VGPRBlocks: 2
; NumSGPRsForWavesPerEU: 26
; NumVGPRsForWavesPerEU: 41
; NamedBarCnt: 0
; Occupancy: 16
; WaveLimiterHint : 0
; COMPUTE_PGM_RSRC2:SCRATCH_EN: 0
; COMPUTE_PGM_RSRC2:USER_SGPR: 2
; COMPUTE_PGM_RSRC2:TRAP_HANDLER: 0
; COMPUTE_PGM_RSRC2:TGID_X_EN: 1
; COMPUTE_PGM_RSRC2:TGID_Y_EN: 0
; COMPUTE_PGM_RSRC2:TGID_Z_EN: 0
; COMPUTE_PGM_RSRC2:TIDIG_COMP_CNT: 0
	.section	.text._ZN9rocsparseL44csr2gebsr_wavefront_per_row_multipass_kernelILi256ELi32ELi4ELi32EdEEv20rocsparse_direction_iiiiii21rocsparse_index_base_PKT3_PKiS7_S2_PS3_PiS9_,"axG",@progbits,_ZN9rocsparseL44csr2gebsr_wavefront_per_row_multipass_kernelILi256ELi32ELi4ELi32EdEEv20rocsparse_direction_iiiiii21rocsparse_index_base_PKT3_PKiS7_S2_PS3_PiS9_,comdat
	.globl	_ZN9rocsparseL44csr2gebsr_wavefront_per_row_multipass_kernelILi256ELi32ELi4ELi32EdEEv20rocsparse_direction_iiiiii21rocsparse_index_base_PKT3_PKiS7_S2_PS3_PiS9_ ; -- Begin function _ZN9rocsparseL44csr2gebsr_wavefront_per_row_multipass_kernelILi256ELi32ELi4ELi32EdEEv20rocsparse_direction_iiiiii21rocsparse_index_base_PKT3_PKiS7_S2_PS3_PiS9_
	.p2align	8
	.type	_ZN9rocsparseL44csr2gebsr_wavefront_per_row_multipass_kernelILi256ELi32ELi4ELi32EdEEv20rocsparse_direction_iiiiii21rocsparse_index_base_PKT3_PKiS7_S2_PS3_PiS9_,@function
_ZN9rocsparseL44csr2gebsr_wavefront_per_row_multipass_kernelILi256ELi32ELi4ELi32EdEEv20rocsparse_direction_iiiiii21rocsparse_index_base_PKT3_PKiS7_S2_PS3_PiS9_: ; @_ZN9rocsparseL44csr2gebsr_wavefront_per_row_multipass_kernelILi256ELi32ELi4ELi32EdEEv20rocsparse_direction_iiiiii21rocsparse_index_base_PKT3_PKiS7_S2_PS3_PiS9_
; %bb.0:
	s_clause 0x1
	s_load_b128 s[4:7], s[0:1], 0xc
	s_load_b64 s[12:13], s[0:1], 0x0
	s_bfe_u32 s2, ttmp6, 0x4000c
	s_and_b32 s3, ttmp6, 15
	s_add_co_i32 s2, s2, 1
	s_getreg_b32 s8, hwreg(HW_REG_IB_STS2, 6, 4)
	s_mul_i32 s2, ttmp9, s2
	v_dual_lshrrev_b32 v20, 5, v0 :: v_dual_bitop2_b32 v1, 31, v0 bitop3:0x40
	s_add_co_i32 s3, s3, s2
	s_cmp_eq_u32 s8, 0
	s_clause 0x1
	s_load_b32 s22, s[0:1], 0x1c
	s_load_b64 s[8:9], s[0:1], 0x28
	s_cselect_b32 s2, ttmp9, s3
	v_dual_mov_b32 v4, 0 :: v_dual_mov_b32 v6, 0
	v_lshl_or_b32 v2, s2, 3, v20
	s_wait_kmcnt 0x0
	s_delay_alu instid0(VALU_DEP_1) | instskip(SKIP_1) | instid1(VALU_DEP_2)
	v_mad_u32 v3, v2, s6, v1
	v_cmp_gt_i32_e32 vcc_lo, s6, v1
	v_cmp_gt_i32_e64 s2, s13, v3
	s_and_b32 s2, vcc_lo, s2
	s_delay_alu instid0(SALU_CYCLE_1)
	s_and_saveexec_b32 s3, s2
	s_cbranch_execz .LBB111_2
; %bb.1:
	global_load_b32 v5, v3, s[8:9] scale_offset
	s_wait_loadcnt 0x0
	v_subrev_nc_u32_e32 v6, s22, v5
.LBB111_2:
	s_or_b32 exec_lo, exec_lo, s3
	v_mov_b32_e32 v21, 0
	s_and_saveexec_b32 s3, s2
	s_cbranch_execz .LBB111_4
; %bb.3:
	global_load_b32 v3, v3, s[8:9] offset:4 scale_offset
	s_wait_loadcnt 0x0
	v_subrev_nc_u32_e32 v21, s22, v3
.LBB111_4:
	s_or_b32 exec_lo, exec_lo, s3
	s_load_b32 s23, s[0:1], 0x38
	s_mov_b32 s3, exec_lo
	v_cmpx_gt_i32_e64 s4, v2
	s_cbranch_execz .LBB111_6
; %bb.5:
	s_load_b64 s[8:9], s[0:1], 0x48
	s_wait_kmcnt 0x0
	global_load_b32 v2, v2, s[8:9] scale_offset
	s_wait_loadcnt 0x0
	v_subrev_nc_u32_e32 v4, s23, v2
.LBB111_6:
	s_or_b32 exec_lo, exec_lo, s3
	s_cmp_lt_i32 s5, 1
	s_cbranch_scc1 .LBB111_39
; %bb.7:
	s_clause 0x3
	s_load_b64 s[16:17], s[0:1], 0x40
	s_load_b64 s[2:3], s[0:1], 0x50
	;; [unrolled: 1-line block ×4, first 2 shown]
	v_dual_lshlrev_b32 v22, 5, v0 :: v_dual_lshlrev_b32 v8, 3, v1
	v_mul_lo_u32 v0, s7, v1
	v_mbcnt_lo_u32_b32 v2, -1, 0
	s_cmp_lg_u32 s12, 0
	s_mov_b32 s13, 0
	s_cselect_b32 s4, -1, 0
	s_wait_xcnt 0x0
	s_ashr_i32 s1, s7, 31
	v_xor_b32_e32 v3, 16, v2
	s_mov_b32 s12, s6
	s_mov_b32 s0, s7
	s_cmp_lg_u32 s7, 0
	s_mul_u64 s[14:15], s[0:1], s[12:13]
	s_cselect_b32 s0, -1, 0
	v_ashrrev_i32_e32 v1, 31, v0
	s_and_b32 s24, vcc_lo, s0
	v_cmp_gt_i32_e64 s0, 32, v3
	s_cmp_gt_u32 s7, 1
	v_dual_mov_b32 v9, 0 :: v_dual_lshlrev_b32 v23, 2, v2
	s_cselect_b32 s18, -1, 0
	v_cndmask_b32_e64 v3, v2, v3, s0
	s_and_b32 s25, vcc_lo, s18
	s_wait_kmcnt 0x0
	v_lshl_add_u64 v[12:13], v[0:1], 3, s[16:17]
	v_xor_b32_e32 v0, 8, v2
	s_cmp_gt_u32 s7, 2
	v_dual_lshlrev_b32 v24, 2, v3 :: v_dual_bitop2_b32 v1, 4, v2 bitop3:0x14
	s_cselect_b32 s0, -1, 0
	v_add_nc_u64_e32 v[10:11], s[16:17], v[8:9]
	s_and_b32 s26, vcc_lo, s0
	v_cmp_gt_i32_e64 s0, 32, v0
	s_lshl_b32 s16, s6, 1
	s_cmp_gt_u32 s7, 3
	v_xor_b32_e32 v3, 2, v2
	s_cselect_b32 s18, -1, 0
	v_cndmask_b32_e64 v0, v2, v0, s0
	v_cmp_gt_i32_e64 s0, 32, v1
	s_abs_i32 s27, s7
	v_xor_b32_e32 v5, 1, v2
	s_cvt_f32_u32 s17, s27
	s_mov_b32 s36, s13
	v_cndmask_b32_e64 v1, v2, v1, s0
	v_cmp_gt_i32_e64 s0, 32, v3
	v_rcp_iflag_f32_e32 v7, s17
	s_mov_b32 s37, s13
	s_mov_b32 s38, s13
	;; [unrolled: 1-line block ×3, first 2 shown]
	v_cndmask_b32_e64 v3, v2, v3, s0
	v_cmp_gt_i32_e64 s0, 32, v5
	v_dual_lshlrev_b32 v25, 2, v0 :: v_dual_lshlrev_b32 v26, 2, v1
	s_and_b32 s28, vcc_lo, s18
	s_mul_i32 s18, s6, 3
	v_cndmask_b32_e64 v2, v2, v5, s0
	v_readfirstlane_b32 s0, v7
	v_lshlrev_b32_e32 v27, 2, v3
	s_sub_co_i32 s6, 0, s27
	v_dual_mov_b32 v29, 0x7c :: v_dual_mov_b32 v30, 1
	s_mul_f32 s0, s0, 0x4f7ffffe
	v_lshlrev_b32_e32 v28, 2, v2
	v_mov_b64_e32 v[0:1], s[36:37]
	v_mov_b64_e32 v[2:3], s[38:39]
	s_cvt_u32_f32 s0, s0
	v_mov_b32_e32 v18, 0
	s_mov_b32 s17, s13
	s_mov_b32 s19, s13
	s_mul_i32 s6, s6, s0
	s_mov_b32 s21, s13
	s_mul_hi_u32 s6, s0, s6
	s_delay_alu instid0(SALU_CYCLE_1)
	s_add_co_i32 s20, s0, s6
	s_mov_b32 s6, s13
	s_branch .LBB111_10
.LBB111_8:                              ;   in Loop: Header=BB111_10 Depth=1
	s_wait_xcnt 0x0
	s_or_b32 exec_lo, exec_lo, s29
	v_mov_b32_e32 v5, 1
.LBB111_9:                              ;   in Loop: Header=BB111_10 Depth=1
	s_or_b32 exec_lo, exec_lo, s0
	ds_bpermute_b32 v8, v24, v7
	s_wait_storecnt_dscnt 0x0
	v_dual_add_nc_u32 v4, v5, v4 :: v_dual_min_i32 v7, v8, v7
	ds_bpermute_b32 v8, v25, v7
	s_wait_dscnt 0x0
	v_min_i32_e32 v7, v8, v7
	ds_bpermute_b32 v8, v26, v7
	s_wait_dscnt 0x0
	v_min_i32_e32 v7, v8, v7
	;; [unrolled: 3-line block ×4, first 2 shown]
	ds_bpermute_b32 v18, v29, v7
	s_wait_dscnt 0x0
	v_cmp_le_i32_e32 vcc_lo, s5, v18
	s_or_b32 s6, vcc_lo, s6
	s_delay_alu instid0(SALU_CYCLE_1)
	s_and_not1_b32 exec_lo, exec_lo, s6
	s_cbranch_execz .LBB111_39
.LBB111_10:                             ; =>This Loop Header: Depth=1
                                        ;     Child Loop BB111_13 Depth 2
	v_dual_mov_b32 v7, s5 :: v_dual_mov_b32 v19, v21
	s_mov_b32 s29, exec_lo
	ds_store_b8 v20, v9 offset:8192
	ds_store_b128 v22, v[0:3]
	ds_store_b128 v22, v[0:3] offset:16
	s_wait_dscnt 0x0
	v_cmpx_lt_i32_e64 v6, v21
	s_cbranch_execz .LBB111_18
; %bb.11:                               ;   in Loop: Header=BB111_10 Depth=1
	v_mul_lo_u32 v5, v18, s7
	v_dual_ashrrev_i32 v7, 31, v6 :: v_dual_mov_b32 v19, v21
	s_mov_b32 s30, 0
	s_delay_alu instid0(VALU_DEP_1)
	v_lshl_add_u64 v[14:15], v[6:7], 2, s[10:11]
	v_lshl_add_u64 v[16:17], v[6:7], 3, s[8:9]
	v_mov_b32_e32 v7, s5
	s_branch .LBB111_13
.LBB111_12:                             ;   in Loop: Header=BB111_13 Depth=2
	s_wait_xcnt 0x0
	s_or_b32 exec_lo, exec_lo, s0
	v_add_nc_u32_e32 v6, 1, v6
	s_xor_b32 s31, vcc_lo, -1
	v_add_nc_u64_e32 v[14:15], 4, v[14:15]
	v_add_nc_u64_e32 v[16:17], 8, v[16:17]
	s_delay_alu instid0(VALU_DEP_3) | instskip(SKIP_1) | instid1(SALU_CYCLE_1)
	v_cmp_ge_i32_e64 s0, v6, v21
	s_or_b32 s0, s31, s0
	s_and_b32 s0, exec_lo, s0
	s_delay_alu instid0(SALU_CYCLE_1) | instskip(NEXT) | instid1(SALU_CYCLE_1)
	s_or_b32 s30, s0, s30
	s_and_not1_b32 exec_lo, exec_lo, s30
	s_cbranch_execz .LBB111_17
.LBB111_13:                             ;   Parent Loop BB111_10 Depth=1
                                        ; =>  This Inner Loop Header: Depth=2
	global_load_b32 v8, v[14:15], off
	s_wait_loadcnt 0x0
	v_subrev_nc_u32_e32 v31, s22, v8
	s_delay_alu instid0(VALU_DEP_1) | instskip(NEXT) | instid1(VALU_DEP_1)
	v_sub_nc_u32_e32 v8, 0, v31
	v_max_i32_e32 v8, v31, v8
	s_delay_alu instid0(VALU_DEP_1) | instskip(NEXT) | instid1(VALU_DEP_1)
	v_mul_u64_e32 v[32:33], s[20:21], v[8:9]
	v_mul_lo_u32 v32, v33, s27
	s_delay_alu instid0(VALU_DEP_1) | instskip(NEXT) | instid1(VALU_DEP_1)
	v_dual_sub_nc_u32 v8, v8, v32 :: v_dual_add_nc_u32 v32, 1, v33
	v_cmp_le_u32_e32 vcc_lo, s27, v8
	s_delay_alu instid0(VALU_DEP_2) | instskip(SKIP_1) | instid1(VALU_DEP_1)
	v_cndmask_b32_e32 v32, v33, v32, vcc_lo
	v_subrev_nc_u32_e32 v34, s27, v8
	v_dual_cndmask_b32 v8, v8, v34 :: v_dual_ashrrev_i32 v33, 31, v31
	s_delay_alu instid0(VALU_DEP_3) | instskip(NEXT) | instid1(VALU_DEP_2)
	v_add_nc_u32_e32 v34, 1, v32
	v_cmp_le_u32_e32 vcc_lo, s27, v8
	s_delay_alu instid0(VALU_DEP_2) | instskip(NEXT) | instid1(VALU_DEP_1)
	v_dual_cndmask_b32 v8, v32, v34, vcc_lo :: v_dual_bitop2_b32 v33, s1, v33 bitop3:0x14
	v_xor_b32_e32 v8, v8, v33
	s_delay_alu instid0(VALU_DEP_1) | instskip(NEXT) | instid1(VALU_DEP_1)
	v_dual_sub_nc_u32 v32, v8, v33 :: v_dual_mov_b32 v8, v19
	v_cmp_ne_u32_e64 s0, v32, v18
	v_cmp_eq_u32_e32 vcc_lo, v32, v18
	s_wait_xcnt 0x0
	s_and_saveexec_b32 s31, s0
	s_delay_alu instid0(SALU_CYCLE_1)
	s_xor_b32 s0, exec_lo, s31
; %bb.14:                               ;   in Loop: Header=BB111_13 Depth=2
	v_min_i32_e32 v7, v32, v7
                                        ; implicit-def: $vgpr31
                                        ; implicit-def: $vgpr8
; %bb.15:                               ;   in Loop: Header=BB111_13 Depth=2
	s_or_saveexec_b32 s0, s0
	v_mov_b32_e32 v19, v6
	s_xor_b32 exec_lo, exec_lo, s0
	s_cbranch_execz .LBB111_12
; %bb.16:                               ;   in Loop: Header=BB111_13 Depth=2
	global_load_b64 v[32:33], v[16:17], off
	v_sub_nc_u32_e32 v19, v31, v5
	s_delay_alu instid0(VALU_DEP_1)
	v_lshl_add_u32 v31, v19, 3, v22
	v_mov_b32_e32 v19, v8
	ds_store_b8 v20, v30 offset:8192
	s_wait_loadcnt 0x0
	ds_store_b64 v31, v[32:33]
	s_branch .LBB111_12
.LBB111_17:                             ;   in Loop: Header=BB111_10 Depth=1
	s_or_b32 exec_lo, exec_lo, s30
.LBB111_18:                             ;   in Loop: Header=BB111_10 Depth=1
	s_delay_alu instid0(SALU_CYCLE_1)
	s_or_b32 exec_lo, exec_lo, s29
	s_wait_dscnt 0x0
	ds_load_u8 v5, v20 offset:8192
	ds_bpermute_b32 v6, v23, v19
	s_wait_dscnt 0x1
	v_and_b32_e32 v5, 1, v5
	s_delay_alu instid0(VALU_DEP_1)
	v_cmp_eq_u32_e32 vcc_lo, 1, v5
	v_mov_b32_e32 v5, 0
	s_and_saveexec_b32 s0, vcc_lo
	s_cbranch_execz .LBB111_9
; %bb.19:                               ;   in Loop: Header=BB111_10 Depth=1
	v_ashrrev_i32_e32 v5, 31, v4
	s_delay_alu instid0(VALU_DEP_1) | instskip(SKIP_3) | instid1(VALU_DEP_1)
	v_mul_u64_e32 v[14:15], s[14:15], v[4:5]
	v_add_nc_u32_e32 v5, s23, v18
	global_store_b32 v4, v5, s[2:3] scale_offset
	v_lshlrev_b64_e32 v[14:15], 3, v[14:15]
	v_add_nc_u64_e32 v[16:17], v[10:11], v[14:15]
	v_add_nc_u64_e32 v[14:15], v[12:13], v[14:15]
	s_wait_xcnt 0x0
	s_and_saveexec_b32 s29, s24
	s_cbranch_execz .LBB111_23
; %bb.20:                               ;   in Loop: Header=BB111_10 Depth=1
	ds_load_b64 v[18:19], v22
	s_and_b32 vcc_lo, exec_lo, s4
	s_cbranch_vccz .LBB111_34
; %bb.21:                               ;   in Loop: Header=BB111_10 Depth=1
	s_wait_dscnt 0x0
	global_store_b64 v[16:17], v[18:19], off
	s_cbranch_execnz .LBB111_23
.LBB111_22:                             ;   in Loop: Header=BB111_10 Depth=1
	s_wait_dscnt 0x0
	global_store_b64 v[14:15], v[18:19], off
.LBB111_23:                             ;   in Loop: Header=BB111_10 Depth=1
	s_wait_xcnt 0x0
	s_or_b32 exec_lo, exec_lo, s29
	s_and_saveexec_b32 s29, s25
	s_cbranch_execz .LBB111_27
; %bb.24:                               ;   in Loop: Header=BB111_10 Depth=1
	s_wait_dscnt 0x0
	ds_load_b64 v[18:19], v22 offset:8
	s_and_not1_b32 vcc_lo, exec_lo, s4
	s_cbranch_vccnz .LBB111_35
; %bb.25:                               ;   in Loop: Header=BB111_10 Depth=1
	v_lshl_add_u64 v[32:33], s[12:13], 3, v[16:17]
	s_wait_dscnt 0x0
	global_store_b64 v[32:33], v[18:19], off
	s_cbranch_execnz .LBB111_27
.LBB111_26:                             ;   in Loop: Header=BB111_10 Depth=1
	s_wait_dscnt 0x0
	global_store_b64 v[14:15], v[18:19], off offset:8
.LBB111_27:                             ;   in Loop: Header=BB111_10 Depth=1
	s_wait_xcnt 0x0
	s_or_b32 exec_lo, exec_lo, s29
	s_and_saveexec_b32 s29, s26
	s_cbranch_execz .LBB111_31
; %bb.28:                               ;   in Loop: Header=BB111_10 Depth=1
	s_wait_dscnt 0x0
	ds_load_b64 v[18:19], v22 offset:16
	s_and_not1_b32 vcc_lo, exec_lo, s4
	s_cbranch_vccnz .LBB111_36
; %bb.29:                               ;   in Loop: Header=BB111_10 Depth=1
	v_lshl_add_u64 v[32:33], s[16:17], 3, v[16:17]
	s_wait_dscnt 0x0
	global_store_b64 v[32:33], v[18:19], off
	s_cbranch_execnz .LBB111_31
.LBB111_30:                             ;   in Loop: Header=BB111_10 Depth=1
	s_wait_dscnt 0x0
	global_store_b64 v[14:15], v[18:19], off offset:16
.LBB111_31:                             ;   in Loop: Header=BB111_10 Depth=1
	s_wait_xcnt 0x0
	s_or_b32 exec_lo, exec_lo, s29
	s_and_saveexec_b32 s29, s28
	s_cbranch_execz .LBB111_8
; %bb.32:                               ;   in Loop: Header=BB111_10 Depth=1
	s_wait_dscnt 0x0
	ds_load_b64 v[18:19], v22 offset:24
	s_and_not1_b32 vcc_lo, exec_lo, s4
	s_cbranch_vccnz .LBB111_37
; %bb.33:                               ;   in Loop: Header=BB111_10 Depth=1
	v_lshl_add_u64 v[16:17], s[18:19], 3, v[16:17]
	s_wait_dscnt 0x0
	global_store_b64 v[16:17], v[18:19], off
	s_cbranch_execnz .LBB111_8
	s_branch .LBB111_38
.LBB111_34:                             ;   in Loop: Header=BB111_10 Depth=1
	s_branch .LBB111_22
.LBB111_35:                             ;   in Loop: Header=BB111_10 Depth=1
	s_branch .LBB111_26
.LBB111_36:                             ;   in Loop: Header=BB111_10 Depth=1
	s_branch .LBB111_30
.LBB111_37:                             ;   in Loop: Header=BB111_10 Depth=1
.LBB111_38:                             ;   in Loop: Header=BB111_10 Depth=1
	s_wait_dscnt 0x0
	global_store_b64 v[14:15], v[18:19], off offset:24
	s_branch .LBB111_8
.LBB111_39:
	s_endpgm
	.section	.rodata,"a",@progbits
	.p2align	6, 0x0
	.amdhsa_kernel _ZN9rocsparseL44csr2gebsr_wavefront_per_row_multipass_kernelILi256ELi32ELi4ELi32EdEEv20rocsparse_direction_iiiiii21rocsparse_index_base_PKT3_PKiS7_S2_PS3_PiS9_
		.amdhsa_group_segment_fixed_size 8200
		.amdhsa_private_segment_fixed_size 0
		.amdhsa_kernarg_size 88
		.amdhsa_user_sgpr_count 2
		.amdhsa_user_sgpr_dispatch_ptr 0
		.amdhsa_user_sgpr_queue_ptr 0
		.amdhsa_user_sgpr_kernarg_segment_ptr 1
		.amdhsa_user_sgpr_dispatch_id 0
		.amdhsa_user_sgpr_kernarg_preload_length 0
		.amdhsa_user_sgpr_kernarg_preload_offset 0
		.amdhsa_user_sgpr_private_segment_size 0
		.amdhsa_wavefront_size32 1
		.amdhsa_uses_dynamic_stack 0
		.amdhsa_enable_private_segment 0
		.amdhsa_system_sgpr_workgroup_id_x 1
		.amdhsa_system_sgpr_workgroup_id_y 0
		.amdhsa_system_sgpr_workgroup_id_z 0
		.amdhsa_system_sgpr_workgroup_info 0
		.amdhsa_system_vgpr_workitem_id 0
		.amdhsa_next_free_vgpr 35
		.amdhsa_next_free_sgpr 40
		.amdhsa_named_barrier_count 0
		.amdhsa_reserve_vcc 1
		.amdhsa_float_round_mode_32 0
		.amdhsa_float_round_mode_16_64 0
		.amdhsa_float_denorm_mode_32 3
		.amdhsa_float_denorm_mode_16_64 3
		.amdhsa_fp16_overflow 0
		.amdhsa_memory_ordered 1
		.amdhsa_forward_progress 1
		.amdhsa_inst_pref_size 14
		.amdhsa_round_robin_scheduling 0
		.amdhsa_exception_fp_ieee_invalid_op 0
		.amdhsa_exception_fp_denorm_src 0
		.amdhsa_exception_fp_ieee_div_zero 0
		.amdhsa_exception_fp_ieee_overflow 0
		.amdhsa_exception_fp_ieee_underflow 0
		.amdhsa_exception_fp_ieee_inexact 0
		.amdhsa_exception_int_div_zero 0
	.end_amdhsa_kernel
	.section	.text._ZN9rocsparseL44csr2gebsr_wavefront_per_row_multipass_kernelILi256ELi32ELi4ELi32EdEEv20rocsparse_direction_iiiiii21rocsparse_index_base_PKT3_PKiS7_S2_PS3_PiS9_,"axG",@progbits,_ZN9rocsparseL44csr2gebsr_wavefront_per_row_multipass_kernelILi256ELi32ELi4ELi32EdEEv20rocsparse_direction_iiiiii21rocsparse_index_base_PKT3_PKiS7_S2_PS3_PiS9_,comdat
.Lfunc_end111:
	.size	_ZN9rocsparseL44csr2gebsr_wavefront_per_row_multipass_kernelILi256ELi32ELi4ELi32EdEEv20rocsparse_direction_iiiiii21rocsparse_index_base_PKT3_PKiS7_S2_PS3_PiS9_, .Lfunc_end111-_ZN9rocsparseL44csr2gebsr_wavefront_per_row_multipass_kernelILi256ELi32ELi4ELi32EdEEv20rocsparse_direction_iiiiii21rocsparse_index_base_PKT3_PKiS7_S2_PS3_PiS9_
                                        ; -- End function
	.set _ZN9rocsparseL44csr2gebsr_wavefront_per_row_multipass_kernelILi256ELi32ELi4ELi32EdEEv20rocsparse_direction_iiiiii21rocsparse_index_base_PKT3_PKiS7_S2_PS3_PiS9_.num_vgpr, 35
	.set _ZN9rocsparseL44csr2gebsr_wavefront_per_row_multipass_kernelILi256ELi32ELi4ELi32EdEEv20rocsparse_direction_iiiiii21rocsparse_index_base_PKT3_PKiS7_S2_PS3_PiS9_.num_agpr, 0
	.set _ZN9rocsparseL44csr2gebsr_wavefront_per_row_multipass_kernelILi256ELi32ELi4ELi32EdEEv20rocsparse_direction_iiiiii21rocsparse_index_base_PKT3_PKiS7_S2_PS3_PiS9_.numbered_sgpr, 40
	.set _ZN9rocsparseL44csr2gebsr_wavefront_per_row_multipass_kernelILi256ELi32ELi4ELi32EdEEv20rocsparse_direction_iiiiii21rocsparse_index_base_PKT3_PKiS7_S2_PS3_PiS9_.num_named_barrier, 0
	.set _ZN9rocsparseL44csr2gebsr_wavefront_per_row_multipass_kernelILi256ELi32ELi4ELi32EdEEv20rocsparse_direction_iiiiii21rocsparse_index_base_PKT3_PKiS7_S2_PS3_PiS9_.private_seg_size, 0
	.set _ZN9rocsparseL44csr2gebsr_wavefront_per_row_multipass_kernelILi256ELi32ELi4ELi32EdEEv20rocsparse_direction_iiiiii21rocsparse_index_base_PKT3_PKiS7_S2_PS3_PiS9_.uses_vcc, 1
	.set _ZN9rocsparseL44csr2gebsr_wavefront_per_row_multipass_kernelILi256ELi32ELi4ELi32EdEEv20rocsparse_direction_iiiiii21rocsparse_index_base_PKT3_PKiS7_S2_PS3_PiS9_.uses_flat_scratch, 0
	.set _ZN9rocsparseL44csr2gebsr_wavefront_per_row_multipass_kernelILi256ELi32ELi4ELi32EdEEv20rocsparse_direction_iiiiii21rocsparse_index_base_PKT3_PKiS7_S2_PS3_PiS9_.has_dyn_sized_stack, 0
	.set _ZN9rocsparseL44csr2gebsr_wavefront_per_row_multipass_kernelILi256ELi32ELi4ELi32EdEEv20rocsparse_direction_iiiiii21rocsparse_index_base_PKT3_PKiS7_S2_PS3_PiS9_.has_recursion, 0
	.set _ZN9rocsparseL44csr2gebsr_wavefront_per_row_multipass_kernelILi256ELi32ELi4ELi32EdEEv20rocsparse_direction_iiiiii21rocsparse_index_base_PKT3_PKiS7_S2_PS3_PiS9_.has_indirect_call, 0
	.section	.AMDGPU.csdata,"",@progbits
; Kernel info:
; codeLenInByte = 1672
; TotalNumSgprs: 42
; NumVgprs: 35
; ScratchSize: 0
; MemoryBound: 0
; FloatMode: 240
; IeeeMode: 1
; LDSByteSize: 8200 bytes/workgroup (compile time only)
; SGPRBlocks: 0
; VGPRBlocks: 2
; NumSGPRsForWavesPerEU: 42
; NumVGPRsForWavesPerEU: 35
; NamedBarCnt: 0
; Occupancy: 16
; WaveLimiterHint : 0
; COMPUTE_PGM_RSRC2:SCRATCH_EN: 0
; COMPUTE_PGM_RSRC2:USER_SGPR: 2
; COMPUTE_PGM_RSRC2:TRAP_HANDLER: 0
; COMPUTE_PGM_RSRC2:TGID_X_EN: 1
; COMPUTE_PGM_RSRC2:TGID_Y_EN: 0
; COMPUTE_PGM_RSRC2:TGID_Z_EN: 0
; COMPUTE_PGM_RSRC2:TIDIG_COMP_CNT: 0
	.section	.text._ZN9rocsparseL44csr2gebsr_wavefront_per_row_multipass_kernelILi256ELi32ELi8ELi64EdEEv20rocsparse_direction_iiiiii21rocsparse_index_base_PKT3_PKiS7_S2_PS3_PiS9_,"axG",@progbits,_ZN9rocsparseL44csr2gebsr_wavefront_per_row_multipass_kernelILi256ELi32ELi8ELi64EdEEv20rocsparse_direction_iiiiii21rocsparse_index_base_PKT3_PKiS7_S2_PS3_PiS9_,comdat
	.globl	_ZN9rocsparseL44csr2gebsr_wavefront_per_row_multipass_kernelILi256ELi32ELi8ELi64EdEEv20rocsparse_direction_iiiiii21rocsparse_index_base_PKT3_PKiS7_S2_PS3_PiS9_ ; -- Begin function _ZN9rocsparseL44csr2gebsr_wavefront_per_row_multipass_kernelILi256ELi32ELi8ELi64EdEEv20rocsparse_direction_iiiiii21rocsparse_index_base_PKT3_PKiS7_S2_PS3_PiS9_
	.p2align	8
	.type	_ZN9rocsparseL44csr2gebsr_wavefront_per_row_multipass_kernelILi256ELi32ELi8ELi64EdEEv20rocsparse_direction_iiiiii21rocsparse_index_base_PKT3_PKiS7_S2_PS3_PiS9_,@function
_ZN9rocsparseL44csr2gebsr_wavefront_per_row_multipass_kernelILi256ELi32ELi8ELi64EdEEv20rocsparse_direction_iiiiii21rocsparse_index_base_PKT3_PKiS7_S2_PS3_PiS9_: ; @_ZN9rocsparseL44csr2gebsr_wavefront_per_row_multipass_kernelILi256ELi32ELi8ELi64EdEEv20rocsparse_direction_iiiiii21rocsparse_index_base_PKT3_PKiS7_S2_PS3_PiS9_
; %bb.0:
	s_clause 0x1
	s_load_b128 s[4:7], s[0:1], 0xc
	s_load_b64 s[14:15], s[0:1], 0x0
	s_bfe_u32 s2, ttmp6, 0x4000c
	s_and_b32 s3, ttmp6, 15
	s_add_co_i32 s2, s2, 1
	s_getreg_b32 s8, hwreg(HW_REG_IB_STS2, 6, 4)
	s_mul_i32 s2, ttmp9, s2
	v_dual_lshrrev_b32 v24, 6, v0 :: v_dual_mov_b32 v2, 0
	s_add_co_i32 s3, s3, s2
	s_cmp_eq_u32 s8, 0
	v_bfe_u32 v3, v0, 1, 5
	s_cselect_b32 s2, ttmp9, s3
	s_clause 0x1
	s_load_b32 s20, s[0:1], 0x1c
	s_load_b64 s[8:9], s[0:1], 0x28
	v_lshl_or_b32 v1, s2, 2, v24
	v_mov_b32_e32 v35, 0
	s_wait_kmcnt 0x0
	s_delay_alu instid0(VALU_DEP_2) | instskip(SKIP_1) | instid1(VALU_DEP_2)
	v_mad_u32 v4, v1, s6, v3
	v_cmp_gt_i32_e32 vcc_lo, s6, v3
	v_cmp_gt_i32_e64 s2, s15, v4
	s_and_b32 s2, vcc_lo, s2
	s_delay_alu instid0(SALU_CYCLE_1)
	s_and_saveexec_b32 s3, s2
	s_cbranch_execz .LBB112_2
; %bb.1:
	global_load_b32 v5, v4, s[8:9] scale_offset
	s_wait_loadcnt 0x0
	v_subrev_nc_u32_e32 v35, s20, v5
.LBB112_2:
	s_or_b32 exec_lo, exec_lo, s3
	v_mov_b32_e32 v25, 0
	s_and_saveexec_b32 s3, s2
	s_cbranch_execz .LBB112_4
; %bb.3:
	global_load_b32 v4, v4, s[8:9] offset:4 scale_offset
	s_wait_loadcnt 0x0
	v_subrev_nc_u32_e32 v25, s20, v4
.LBB112_4:
	s_or_b32 exec_lo, exec_lo, s3
	s_load_b32 s21, s[0:1], 0x38
	s_mov_b32 s3, exec_lo
	v_cmpx_gt_i32_e64 s4, v1
	s_cbranch_execz .LBB112_6
; %bb.5:
	s_load_b64 s[8:9], s[0:1], 0x48
	s_wait_kmcnt 0x0
	global_load_b32 v1, v1, s[8:9] scale_offset
	s_wait_loadcnt 0x0
	v_subrev_nc_u32_e32 v2, s21, v1
.LBB112_6:
	s_or_b32 exec_lo, exec_lo, s3
	s_cmp_lt_i32 s5, 1
	s_cbranch_scc1 .LBB112_41
; %bb.7:
	v_mbcnt_lo_u32_b32 v10, -1, 0
	s_clause 0x3
	s_load_b64 s[8:9], s[0:1], 0x50
	s_load_b64 s[2:3], s[0:1], 0x40
	;; [unrolled: 1-line block ×4, first 2 shown]
	v_mul_lo_u32 v4, s7, v3
	s_cmp_lg_u32 s14, 0
	s_mov_b32 s15, 0
	v_xor_b32_e32 v1, 1, v10
	v_dual_lshlrev_b32 v0, 6, v3 :: v_dual_bitop2_b32 v26, 1, v0 bitop3:0x40
	s_cselect_b32 s4, -1, 0
	s_mov_b32 s14, s6
	s_wait_xcnt 0x0
	v_cmp_gt_i32_e64 s0, 32, v1
	s_ashr_i32 s17, s7, 31
	v_lshl_or_b32 v27, v24, 11, v0
	s_mov_b32 s16, s7
	v_lshl_or_b32 v29, v10, 2, 4
	v_dual_cndmask_b32 v1, v10, v1, s0 :: v_dual_lshlrev_b32 v6, 3, v26
	s_mul_u64 s[18:19], s[16:17], s[14:15]
	s_abs_i32 s16, s7
	v_mov_b64_e32 v[16:17], 0
	s_delay_alu instid0(VALU_DEP_2) | instskip(SKIP_2) | instid1(VALU_DEP_3)
	v_dual_mov_b32 v1, 0 :: v_dual_lshlrev_b32 v28, 2, v1
	v_or_b32_e32 v11, 32, v10
	v_dual_ashrrev_i32 v5, 31, v4 :: v_dual_bitop2_b32 v30, v27, v6 bitop3:0x54
	v_dual_mov_b32 v7, v1 :: v_dual_lshlrev_b32 v0, 3, v3
	s_delay_alu instid0(VALU_DEP_3)
	v_cmp_gt_i32_e64 s0, 32, v11
	s_cvt_f32_u32 s1, s16
	s_wait_kmcnt 0x0
	v_lshl_add_u64 v[8:9], v[4:5], 3, s[2:3]
	v_add_nc_u64_e32 v[4:5], s[2:3], v[0:1]
	v_dual_cndmask_b32 v3, v10, v11, s0 :: v_dual_bitop2_b32 v0, 16, v10 bitop3:0x14
	v_mov_b32_e32 v11, v1
	s_delay_alu instid0(VALU_DEP_4) | instskip(SKIP_1) | instid1(VALU_DEP_4)
	v_add_nc_u64_e32 v[6:7], v[8:9], v[6:7]
	v_bfrev_b32_e32 v37, 0.5
	v_cmp_gt_i32_e64 s0, 32, v0
	v_dual_lshlrev_b32 v31, 2, v3 :: v_dual_bitop2_b32 v3, 8, v10 bitop3:0x14
	v_xor_b32_e32 v8, 4, v10
	v_dual_mov_b32 v39, 1 :: v_dual_bitop2_b32 v38, -2, v26 bitop3:0x54
	s_delay_alu instid0(VALU_DEP_4) | instskip(NEXT) | instid1(VALU_DEP_4)
	v_cndmask_b32_e64 v0, v10, v0, s0
	v_cmp_gt_i32_e64 s0, 32, v3
	v_dual_mov_b32 v41, 0 :: v_dual_bitop2_b32 v9, 2, v10 bitop3:0x14
	s_mov_b32 s22, s15
	v_dual_mov_b32 v13, v1 :: v_dual_cndmask_b32 v3, v10, v3, s0
	v_cmp_gt_i32_e64 s0, 32, v8
	v_dual_mov_b32 v15, v1 :: v_dual_lshlrev_b32 v32, 2, v0
	s_delay_alu instid0(VALU_DEP_2) | instskip(SKIP_2) | instid1(VALU_DEP_1)
	v_dual_lshlrev_b32 v33, 2, v3 :: v_dual_cndmask_b32 v8, v10, v8, s0
	v_cmp_gt_i32_e64 s0, 32, v9
	v_rcp_iflag_f32_e32 v3, s1
	v_dual_cndmask_b32 v0, v10, v9, s0 :: v_dual_lshlrev_b32 v34, 2, v8
	v_mul_lo_u32 v8, v26, s6
	s_lshl_b32 s6, s6, 1
	s_delay_alu instid0(TRANS32_DEP_1) | instskip(NEXT) | instid1(VALU_DEP_3)
	v_readfirstlane_b32 s3, v3
	v_dual_mov_b32 v9, v1 :: v_dual_lshlrev_b32 v36, 2, v0
	v_or_b32_e32 v0, 2, v26
	v_cmp_gt_u32_e64 s0, s7, v26
	s_mul_f32 s14, s3, 0x4f7ffffe
	v_or_b32_e32 v3, 6, v26
	v_cmp_gt_u32_e64 s1, s7, v0
	v_dual_add_nc_u32 v10, s6, v8 :: v_dual_bitop2_b32 v0, 4, v26 bitop3:0x54
	s_cvt_u32_f32 s14, s14
	v_cmp_gt_u32_e64 s3, s7, v3
	s_and_b32 s1, vcc_lo, s1
	v_add_nc_u32_e32 v12, s6, v10
	v_cmp_gt_u32_e64 s2, s7, v0
	s_and_b32 s3, vcc_lo, s3
	v_add_nc_u32_e32 v14, s6, v12
	s_and_b32 s6, s0, vcc_lo
	s_sub_co_i32 s0, 0, s16
	s_and_b32 s2, vcc_lo, s2
	s_mul_i32 s0, s0, s14
	s_delay_alu instid0(SALU_CYCLE_1) | instskip(NEXT) | instid1(SALU_CYCLE_1)
	s_mul_hi_u32 s0, s14, s0
	s_add_co_i32 s14, s14, s0
	s_branch .LBB112_10
.LBB112_8:                              ;   in Loop: Header=BB112_10 Depth=1
	s_wait_xcnt 0x0
	s_or_b32 exec_lo, exec_lo, s23
	v_mov_b32_e32 v0, 1
.LBB112_9:                              ;   in Loop: Header=BB112_10 Depth=1
	s_or_b32 exec_lo, exec_lo, s0
	ds_bpermute_b32 v3, v31, v40
	s_wait_storecnt_dscnt 0x0
	v_dual_add_nc_u32 v2, v0, v2 :: v_dual_min_i32 v3, v3, v40
	ds_bpermute_b32 v18, v32, v3
	s_wait_dscnt 0x0
	v_min_i32_e32 v3, v18, v3
	ds_bpermute_b32 v18, v33, v3
	s_wait_dscnt 0x0
	v_min_i32_e32 v3, v18, v3
	;; [unrolled: 3-line block ×5, first 2 shown]
	ds_bpermute_b32 v41, v37, v3
	s_wait_dscnt 0x0
	v_cmp_le_i32_e32 vcc_lo, s5, v41
	s_or_b32 s22, vcc_lo, s22
	s_delay_alu instid0(SALU_CYCLE_1)
	s_and_not1_b32 exec_lo, exec_lo, s22
	s_cbranch_execz .LBB112_41
.LBB112_10:                             ; =>This Loop Header: Depth=1
                                        ;     Child Loop BB112_11 Depth 2
                                        ;     Child Loop BB112_15 Depth 2
	v_dual_mov_b32 v0, v30 :: v_dual_mov_b32 v3, v38
	s_mov_b32 s0, 0
	ds_store_b8 v24, v1 offset:8192
.LBB112_11:                             ;   Parent Loop BB112_10 Depth=1
                                        ; =>  This Inner Loop Header: Depth=2
	v_add_nc_u32_e32 v3, 2, v3
	ds_store_b64 v0, v[16:17]
	v_add_nc_u32_e32 v0, 16, v0
	v_cmp_lt_u32_e32 vcc_lo, 5, v3
	s_or_b32 s0, vcc_lo, s0
	s_delay_alu instid0(SALU_CYCLE_1)
	s_and_not1_b32 exec_lo, exec_lo, s0
	s_cbranch_execnz .LBB112_11
; %bb.12:                               ;   in Loop: Header=BB112_10 Depth=1
	s_or_b32 exec_lo, exec_lo, s0
	v_dual_add_nc_u32 v18, v35, v26 :: v_dual_mov_b32 v40, s5
	v_mov_b32_e32 v19, v25
	s_mov_b32 s23, exec_lo
	s_wait_dscnt 0x0
	s_delay_alu instid0(VALU_DEP_2)
	v_cmpx_lt_i32_e64 v18, v25
	s_cbranch_execz .LBB112_20
; %bb.13:                               ;   in Loop: Header=BB112_10 Depth=1
	v_mul_lo_u32 v3, v41, s7
	v_dual_mov_b32 v40, s5 :: v_dual_ashrrev_i32 v19, 31, v18
	s_mov_b32 s24, 0
	s_delay_alu instid0(VALU_DEP_1)
	v_lshl_add_u64 v[20:21], v[18:19], 2, s[12:13]
	v_lshl_add_u64 v[22:23], v[18:19], 3, s[10:11]
	v_mov_b32_e32 v19, v25
	s_branch .LBB112_15
.LBB112_14:                             ;   in Loop: Header=BB112_15 Depth=2
	s_wait_xcnt 0x0
	s_or_b32 exec_lo, exec_lo, s0
	v_add_nc_u32_e32 v18, 2, v18
	s_xor_b32 s25, vcc_lo, -1
	v_add_nc_u64_e32 v[20:21], 8, v[20:21]
	v_add_nc_u64_e32 v[22:23], 16, v[22:23]
	s_delay_alu instid0(VALU_DEP_3) | instskip(SKIP_1) | instid1(SALU_CYCLE_1)
	v_cmp_ge_i32_e64 s0, v18, v25
	s_or_b32 s0, s25, s0
	s_and_b32 s0, exec_lo, s0
	s_delay_alu instid0(SALU_CYCLE_1) | instskip(NEXT) | instid1(SALU_CYCLE_1)
	s_or_b32 s24, s0, s24
	s_and_not1_b32 exec_lo, exec_lo, s24
	s_cbranch_execz .LBB112_19
.LBB112_15:                             ;   Parent Loop BB112_10 Depth=1
                                        ; =>  This Inner Loop Header: Depth=2
	global_load_b32 v0, v[20:21], off
	s_wait_loadcnt 0x0
	v_subrev_nc_u32_e32 v35, s20, v0
	s_delay_alu instid0(VALU_DEP_1) | instskip(NEXT) | instid1(VALU_DEP_1)
	v_sub_nc_u32_e32 v0, 0, v35
	v_max_i32_e32 v0, v35, v0
	s_delay_alu instid0(VALU_DEP_1) | instskip(NEXT) | instid1(VALU_DEP_1)
	v_mul_u64_e32 v[42:43], s[14:15], v[0:1]
	v_mul_lo_u32 v42, v43, s16
	s_delay_alu instid0(VALU_DEP_1) | instskip(NEXT) | instid1(VALU_DEP_1)
	v_dual_sub_nc_u32 v0, v0, v42 :: v_dual_add_nc_u32 v42, 1, v43
	v_cmp_le_u32_e32 vcc_lo, s16, v0
	s_delay_alu instid0(VALU_DEP_2) | instskip(SKIP_1) | instid1(VALU_DEP_1)
	v_dual_cndmask_b32 v42, v43, v42 :: v_dual_ashrrev_i32 v43, 31, v35
	v_subrev_nc_u32_e32 v44, s16, v0
	v_dual_cndmask_b32 v0, v0, v44, vcc_lo :: v_dual_add_nc_u32 v44, 1, v42
	s_delay_alu instid0(VALU_DEP_1) | instskip(NEXT) | instid1(VALU_DEP_2)
	v_cmp_le_u32_e32 vcc_lo, s16, v0
	v_dual_cndmask_b32 v0, v42, v44, vcc_lo :: v_dual_bitop2_b32 v43, s17, v43 bitop3:0x14
	s_delay_alu instid0(VALU_DEP_1) | instskip(NEXT) | instid1(VALU_DEP_1)
	v_xor_b32_e32 v0, v0, v43
	v_dual_sub_nc_u32 v42, v0, v43 :: v_dual_mov_b32 v0, v19
	s_delay_alu instid0(VALU_DEP_1) | instskip(SKIP_3) | instid1(SALU_CYCLE_1)
	v_cmp_ne_u32_e64 s0, v42, v41
	v_cmp_eq_u32_e32 vcc_lo, v42, v41
	s_wait_xcnt 0x0
	s_and_saveexec_b32 s25, s0
	s_xor_b32 s0, exec_lo, s25
; %bb.16:                               ;   in Loop: Header=BB112_15 Depth=2
	v_min_i32_e32 v40, v42, v40
                                        ; implicit-def: $vgpr35
                                        ; implicit-def: $vgpr0
; %bb.17:                               ;   in Loop: Header=BB112_15 Depth=2
	s_or_saveexec_b32 s0, s0
	v_mov_b32_e32 v19, v18
	s_xor_b32 exec_lo, exec_lo, s0
	s_cbranch_execz .LBB112_14
; %bb.18:                               ;   in Loop: Header=BB112_15 Depth=2
	global_load_b64 v[42:43], v[22:23], off
	v_sub_nc_u32_e32 v19, v35, v3
	s_delay_alu instid0(VALU_DEP_1)
	v_lshl_add_u32 v35, v19, 3, v27
	v_mov_b32_e32 v19, v0
	ds_store_b8 v24, v39 offset:8192
	s_wait_loadcnt 0x0
	ds_store_b64 v35, v[42:43]
	s_branch .LBB112_14
.LBB112_19:                             ;   in Loop: Header=BB112_10 Depth=1
	s_or_b32 exec_lo, exec_lo, s24
.LBB112_20:                             ;   in Loop: Header=BB112_10 Depth=1
	s_delay_alu instid0(SALU_CYCLE_1)
	s_or_b32 exec_lo, exec_lo, s23
	ds_bpermute_b32 v0, v28, v19
	s_wait_dscnt 0x0
	ds_load_u8 v3, v24 offset:8192
	v_min_i32_e32 v0, v0, v19
	ds_bpermute_b32 v35, v29, v0
	s_wait_dscnt 0x1
	v_and_b32_e32 v0, 1, v3
	s_delay_alu instid0(VALU_DEP_1)
	v_cmp_eq_u32_e32 vcc_lo, 1, v0
	v_mov_b32_e32 v0, 0
	s_and_saveexec_b32 s0, vcc_lo
	s_cbranch_execz .LBB112_9
; %bb.21:                               ;   in Loop: Header=BB112_10 Depth=1
	v_dual_ashrrev_i32 v3, 31, v2 :: v_dual_add_nc_u32 v0, s21, v41
	s_delay_alu instid0(VALU_DEP_1) | instskip(SKIP_2) | instid1(VALU_DEP_1)
	v_mul_u64_e32 v[18:19], s[18:19], v[2:3]
	global_store_b32 v2, v0, s[8:9] scale_offset
	v_lshlrev_b64_e32 v[18:19], 3, v[18:19]
	v_add_nc_u64_e32 v[20:21], v[4:5], v[18:19]
	v_add_nc_u64_e32 v[18:19], v[6:7], v[18:19]
	s_wait_xcnt 0x0
	s_and_saveexec_b32 s23, s6
	s_cbranch_execz .LBB112_25
; %bb.22:                               ;   in Loop: Header=BB112_10 Depth=1
	ds_load_b64 v[22:23], v30
	s_and_b32 vcc_lo, exec_lo, s4
	s_cbranch_vccz .LBB112_36
; %bb.23:                               ;   in Loop: Header=BB112_10 Depth=1
	v_lshl_add_u64 v[42:43], v[8:9], 3, v[20:21]
	s_wait_dscnt 0x0
	global_store_b64 v[42:43], v[22:23], off
	s_cbranch_execnz .LBB112_25
.LBB112_24:                             ;   in Loop: Header=BB112_10 Depth=1
	s_wait_dscnt 0x0
	global_store_b64 v[18:19], v[22:23], off
.LBB112_25:                             ;   in Loop: Header=BB112_10 Depth=1
	s_wait_xcnt 0x0
	s_or_b32 exec_lo, exec_lo, s23
	s_and_saveexec_b32 s23, s1
	s_cbranch_execz .LBB112_29
; %bb.26:                               ;   in Loop: Header=BB112_10 Depth=1
	s_and_not1_b32 vcc_lo, exec_lo, s4
	s_cbranch_vccnz .LBB112_37
; %bb.27:                               ;   in Loop: Header=BB112_10 Depth=1
	s_wait_dscnt 0x0
	ds_load_b64 v[22:23], v30 offset:16
	v_lshl_add_u64 v[42:43], v[10:11], 3, v[20:21]
	s_wait_dscnt 0x0
	global_store_b64 v[42:43], v[22:23], off
	s_cbranch_execnz .LBB112_29
.LBB112_28:                             ;   in Loop: Header=BB112_10 Depth=1
	s_wait_dscnt 0x0
	s_wait_xcnt 0x0
	ds_load_b64 v[22:23], v30 offset:16
	s_wait_dscnt 0x0
	global_store_b64 v[18:19], v[22:23], off offset:16
.LBB112_29:                             ;   in Loop: Header=BB112_10 Depth=1
	s_wait_xcnt 0x0
	s_or_b32 exec_lo, exec_lo, s23
	s_and_saveexec_b32 s23, s2
	s_cbranch_execz .LBB112_33
; %bb.30:                               ;   in Loop: Header=BB112_10 Depth=1
	s_and_not1_b32 vcc_lo, exec_lo, s4
	s_cbranch_vccnz .LBB112_38
; %bb.31:                               ;   in Loop: Header=BB112_10 Depth=1
	s_wait_dscnt 0x0
	ds_load_b64 v[22:23], v30 offset:32
	v_lshl_add_u64 v[42:43], v[12:13], 3, v[20:21]
	s_wait_dscnt 0x0
	global_store_b64 v[42:43], v[22:23], off
	s_cbranch_execnz .LBB112_33
.LBB112_32:                             ;   in Loop: Header=BB112_10 Depth=1
	s_wait_dscnt 0x0
	s_wait_xcnt 0x0
	ds_load_b64 v[22:23], v30 offset:32
	s_wait_dscnt 0x0
	global_store_b64 v[18:19], v[22:23], off offset:32
.LBB112_33:                             ;   in Loop: Header=BB112_10 Depth=1
	s_wait_xcnt 0x0
	s_or_b32 exec_lo, exec_lo, s23
	s_and_saveexec_b32 s23, s3
	s_cbranch_execz .LBB112_8
; %bb.34:                               ;   in Loop: Header=BB112_10 Depth=1
	s_and_not1_b32 vcc_lo, exec_lo, s4
	s_cbranch_vccnz .LBB112_39
; %bb.35:                               ;   in Loop: Header=BB112_10 Depth=1
	s_wait_dscnt 0x0
	ds_load_b64 v[22:23], v30 offset:48
	v_lshl_add_u64 v[20:21], v[14:15], 3, v[20:21]
	s_wait_dscnt 0x0
	global_store_b64 v[20:21], v[22:23], off
	s_cbranch_execnz .LBB112_8
	s_branch .LBB112_40
.LBB112_36:                             ;   in Loop: Header=BB112_10 Depth=1
	s_branch .LBB112_24
.LBB112_37:                             ;   in Loop: Header=BB112_10 Depth=1
	s_branch .LBB112_28
.LBB112_38:                             ;   in Loop: Header=BB112_10 Depth=1
	s_branch .LBB112_32
.LBB112_39:                             ;   in Loop: Header=BB112_10 Depth=1
.LBB112_40:                             ;   in Loop: Header=BB112_10 Depth=1
	s_wait_xcnt 0x0
	ds_load_b64 v[20:21], v30 offset:48
	s_wait_dscnt 0x0
	global_store_b64 v[18:19], v[20:21], off offset:48
	s_branch .LBB112_8
.LBB112_41:
	s_endpgm
	.section	.rodata,"a",@progbits
	.p2align	6, 0x0
	.amdhsa_kernel _ZN9rocsparseL44csr2gebsr_wavefront_per_row_multipass_kernelILi256ELi32ELi8ELi64EdEEv20rocsparse_direction_iiiiii21rocsparse_index_base_PKT3_PKiS7_S2_PS3_PiS9_
		.amdhsa_group_segment_fixed_size 8200
		.amdhsa_private_segment_fixed_size 0
		.amdhsa_kernarg_size 88
		.amdhsa_user_sgpr_count 2
		.amdhsa_user_sgpr_dispatch_ptr 0
		.amdhsa_user_sgpr_queue_ptr 0
		.amdhsa_user_sgpr_kernarg_segment_ptr 1
		.amdhsa_user_sgpr_dispatch_id 0
		.amdhsa_user_sgpr_kernarg_preload_length 0
		.amdhsa_user_sgpr_kernarg_preload_offset 0
		.amdhsa_user_sgpr_private_segment_size 0
		.amdhsa_wavefront_size32 1
		.amdhsa_uses_dynamic_stack 0
		.amdhsa_enable_private_segment 0
		.amdhsa_system_sgpr_workgroup_id_x 1
		.amdhsa_system_sgpr_workgroup_id_y 0
		.amdhsa_system_sgpr_workgroup_id_z 0
		.amdhsa_system_sgpr_workgroup_info 0
		.amdhsa_system_vgpr_workitem_id 0
		.amdhsa_next_free_vgpr 45
		.amdhsa_next_free_sgpr 26
		.amdhsa_named_barrier_count 0
		.amdhsa_reserve_vcc 1
		.amdhsa_float_round_mode_32 0
		.amdhsa_float_round_mode_16_64 0
		.amdhsa_float_denorm_mode_32 3
		.amdhsa_float_denorm_mode_16_64 3
		.amdhsa_fp16_overflow 0
		.amdhsa_memory_ordered 1
		.amdhsa_forward_progress 1
		.amdhsa_inst_pref_size 15
		.amdhsa_round_robin_scheduling 0
		.amdhsa_exception_fp_ieee_invalid_op 0
		.amdhsa_exception_fp_denorm_src 0
		.amdhsa_exception_fp_ieee_div_zero 0
		.amdhsa_exception_fp_ieee_overflow 0
		.amdhsa_exception_fp_ieee_underflow 0
		.amdhsa_exception_fp_ieee_inexact 0
		.amdhsa_exception_int_div_zero 0
	.end_amdhsa_kernel
	.section	.text._ZN9rocsparseL44csr2gebsr_wavefront_per_row_multipass_kernelILi256ELi32ELi8ELi64EdEEv20rocsparse_direction_iiiiii21rocsparse_index_base_PKT3_PKiS7_S2_PS3_PiS9_,"axG",@progbits,_ZN9rocsparseL44csr2gebsr_wavefront_per_row_multipass_kernelILi256ELi32ELi8ELi64EdEEv20rocsparse_direction_iiiiii21rocsparse_index_base_PKT3_PKiS7_S2_PS3_PiS9_,comdat
.Lfunc_end112:
	.size	_ZN9rocsparseL44csr2gebsr_wavefront_per_row_multipass_kernelILi256ELi32ELi8ELi64EdEEv20rocsparse_direction_iiiiii21rocsparse_index_base_PKT3_PKiS7_S2_PS3_PiS9_, .Lfunc_end112-_ZN9rocsparseL44csr2gebsr_wavefront_per_row_multipass_kernelILi256ELi32ELi8ELi64EdEEv20rocsparse_direction_iiiiii21rocsparse_index_base_PKT3_PKiS7_S2_PS3_PiS9_
                                        ; -- End function
	.set _ZN9rocsparseL44csr2gebsr_wavefront_per_row_multipass_kernelILi256ELi32ELi8ELi64EdEEv20rocsparse_direction_iiiiii21rocsparse_index_base_PKT3_PKiS7_S2_PS3_PiS9_.num_vgpr, 45
	.set _ZN9rocsparseL44csr2gebsr_wavefront_per_row_multipass_kernelILi256ELi32ELi8ELi64EdEEv20rocsparse_direction_iiiiii21rocsparse_index_base_PKT3_PKiS7_S2_PS3_PiS9_.num_agpr, 0
	.set _ZN9rocsparseL44csr2gebsr_wavefront_per_row_multipass_kernelILi256ELi32ELi8ELi64EdEEv20rocsparse_direction_iiiiii21rocsparse_index_base_PKT3_PKiS7_S2_PS3_PiS9_.numbered_sgpr, 26
	.set _ZN9rocsparseL44csr2gebsr_wavefront_per_row_multipass_kernelILi256ELi32ELi8ELi64EdEEv20rocsparse_direction_iiiiii21rocsparse_index_base_PKT3_PKiS7_S2_PS3_PiS9_.num_named_barrier, 0
	.set _ZN9rocsparseL44csr2gebsr_wavefront_per_row_multipass_kernelILi256ELi32ELi8ELi64EdEEv20rocsparse_direction_iiiiii21rocsparse_index_base_PKT3_PKiS7_S2_PS3_PiS9_.private_seg_size, 0
	.set _ZN9rocsparseL44csr2gebsr_wavefront_per_row_multipass_kernelILi256ELi32ELi8ELi64EdEEv20rocsparse_direction_iiiiii21rocsparse_index_base_PKT3_PKiS7_S2_PS3_PiS9_.uses_vcc, 1
	.set _ZN9rocsparseL44csr2gebsr_wavefront_per_row_multipass_kernelILi256ELi32ELi8ELi64EdEEv20rocsparse_direction_iiiiii21rocsparse_index_base_PKT3_PKiS7_S2_PS3_PiS9_.uses_flat_scratch, 0
	.set _ZN9rocsparseL44csr2gebsr_wavefront_per_row_multipass_kernelILi256ELi32ELi8ELi64EdEEv20rocsparse_direction_iiiiii21rocsparse_index_base_PKT3_PKiS7_S2_PS3_PiS9_.has_dyn_sized_stack, 0
	.set _ZN9rocsparseL44csr2gebsr_wavefront_per_row_multipass_kernelILi256ELi32ELi8ELi64EdEEv20rocsparse_direction_iiiiii21rocsparse_index_base_PKT3_PKiS7_S2_PS3_PiS9_.has_recursion, 0
	.set _ZN9rocsparseL44csr2gebsr_wavefront_per_row_multipass_kernelILi256ELi32ELi8ELi64EdEEv20rocsparse_direction_iiiiii21rocsparse_index_base_PKT3_PKiS7_S2_PS3_PiS9_.has_indirect_call, 0
	.section	.AMDGPU.csdata,"",@progbits
; Kernel info:
; codeLenInByte = 1896
; TotalNumSgprs: 28
; NumVgprs: 45
; ScratchSize: 0
; MemoryBound: 0
; FloatMode: 240
; IeeeMode: 1
; LDSByteSize: 8200 bytes/workgroup (compile time only)
; SGPRBlocks: 0
; VGPRBlocks: 2
; NumSGPRsForWavesPerEU: 28
; NumVGPRsForWavesPerEU: 45
; NamedBarCnt: 0
; Occupancy: 16
; WaveLimiterHint : 0
; COMPUTE_PGM_RSRC2:SCRATCH_EN: 0
; COMPUTE_PGM_RSRC2:USER_SGPR: 2
; COMPUTE_PGM_RSRC2:TRAP_HANDLER: 0
; COMPUTE_PGM_RSRC2:TGID_X_EN: 1
; COMPUTE_PGM_RSRC2:TGID_Y_EN: 0
; COMPUTE_PGM_RSRC2:TGID_Z_EN: 0
; COMPUTE_PGM_RSRC2:TIDIG_COMP_CNT: 0
	.section	.text._ZN9rocsparseL44csr2gebsr_wavefront_per_row_multipass_kernelILi256ELi32ELi8ELi32EdEEv20rocsparse_direction_iiiiii21rocsparse_index_base_PKT3_PKiS7_S2_PS3_PiS9_,"axG",@progbits,_ZN9rocsparseL44csr2gebsr_wavefront_per_row_multipass_kernelILi256ELi32ELi8ELi32EdEEv20rocsparse_direction_iiiiii21rocsparse_index_base_PKT3_PKiS7_S2_PS3_PiS9_,comdat
	.globl	_ZN9rocsparseL44csr2gebsr_wavefront_per_row_multipass_kernelILi256ELi32ELi8ELi32EdEEv20rocsparse_direction_iiiiii21rocsparse_index_base_PKT3_PKiS7_S2_PS3_PiS9_ ; -- Begin function _ZN9rocsparseL44csr2gebsr_wavefront_per_row_multipass_kernelILi256ELi32ELi8ELi32EdEEv20rocsparse_direction_iiiiii21rocsparse_index_base_PKT3_PKiS7_S2_PS3_PiS9_
	.p2align	8
	.type	_ZN9rocsparseL44csr2gebsr_wavefront_per_row_multipass_kernelILi256ELi32ELi8ELi32EdEEv20rocsparse_direction_iiiiii21rocsparse_index_base_PKT3_PKiS7_S2_PS3_PiS9_,@function
_ZN9rocsparseL44csr2gebsr_wavefront_per_row_multipass_kernelILi256ELi32ELi8ELi32EdEEv20rocsparse_direction_iiiiii21rocsparse_index_base_PKT3_PKiS7_S2_PS3_PiS9_: ; @_ZN9rocsparseL44csr2gebsr_wavefront_per_row_multipass_kernelILi256ELi32ELi8ELi32EdEEv20rocsparse_direction_iiiiii21rocsparse_index_base_PKT3_PKiS7_S2_PS3_PiS9_
; %bb.0:
	s_clause 0x1
	s_load_b128 s[4:7], s[0:1], 0xc
	s_load_b64 s[12:13], s[0:1], 0x0
	s_bfe_u32 s2, ttmp6, 0x4000c
	s_and_b32 s3, ttmp6, 15
	s_add_co_i32 s2, s2, 1
	s_getreg_b32 s8, hwreg(HW_REG_IB_STS2, 6, 4)
	s_mul_i32 s2, ttmp9, s2
	v_dual_lshrrev_b32 v20, 5, v0 :: v_dual_bitop2_b32 v1, 31, v0 bitop3:0x40
	s_add_co_i32 s3, s3, s2
	s_cmp_eq_u32 s8, 0
	s_clause 0x1
	s_load_b32 s30, s[0:1], 0x1c
	s_load_b64 s[8:9], s[0:1], 0x28
	s_cselect_b32 s2, ttmp9, s3
	v_dual_mov_b32 v4, 0 :: v_dual_mov_b32 v6, 0
	v_lshl_or_b32 v2, s2, 3, v20
	s_wait_kmcnt 0x0
	s_delay_alu instid0(VALU_DEP_1) | instskip(SKIP_1) | instid1(VALU_DEP_2)
	v_mad_u32 v3, v2, s6, v1
	v_cmp_gt_i32_e32 vcc_lo, s6, v1
	v_cmp_gt_i32_e64 s2, s13, v3
	s_and_b32 s2, vcc_lo, s2
	s_delay_alu instid0(SALU_CYCLE_1)
	s_and_saveexec_b32 s3, s2
	s_cbranch_execz .LBB113_2
; %bb.1:
	global_load_b32 v5, v3, s[8:9] scale_offset
	s_wait_loadcnt 0x0
	v_subrev_nc_u32_e32 v6, s30, v5
.LBB113_2:
	s_or_b32 exec_lo, exec_lo, s3
	v_mov_b32_e32 v21, 0
	s_and_saveexec_b32 s3, s2
	s_cbranch_execz .LBB113_4
; %bb.3:
	global_load_b32 v3, v3, s[8:9] offset:4 scale_offset
	s_wait_loadcnt 0x0
	v_subrev_nc_u32_e32 v21, s30, v3
.LBB113_4:
	s_or_b32 exec_lo, exec_lo, s3
	s_load_b32 s31, s[0:1], 0x38
	s_mov_b32 s3, exec_lo
	v_cmpx_gt_i32_e64 s4, v2
	s_cbranch_execz .LBB113_6
; %bb.5:
	s_load_b64 s[8:9], s[0:1], 0x48
	s_wait_kmcnt 0x0
	global_load_b32 v2, v2, s[8:9] scale_offset
	s_wait_loadcnt 0x0
	v_subrev_nc_u32_e32 v4, s31, v2
.LBB113_6:
	s_or_b32 exec_lo, exec_lo, s3
	s_cmp_lt_i32 s5, 1
	s_cbranch_scc1 .LBB113_59
; %bb.7:
	s_cmp_lg_u32 s12, 0
	s_clause 0x3
	s_load_b64 s[2:3], s[0:1], 0x50
	s_load_b64 s[18:19], s[0:1], 0x40
	;; [unrolled: 1-line block ×4, first 2 shown]
	s_cselect_b32 s4, -1, 0
	s_wait_xcnt 0x0
	s_ashr_i32 s1, s7, 31
	s_cmp_lg_u32 s7, 0
	v_mbcnt_lo_u32_b32 v2, -1, 0
	s_cselect_b32 s14, -1, 0
	v_lshlrev_b32_e32 v22, 6, v0
	v_mul_lo_u32 v0, s7, v1
	s_and_b32 s33, vcc_lo, s14
	s_mov_b32 s13, 0
	s_mov_b32 s12, s6
	;; [unrolled: 1-line block ×3, first 2 shown]
	s_cmp_gt_u32 s7, 1
	s_mul_u64 s[14:15], s[0:1], s[12:13]
	s_cselect_b32 s0, -1, 0
	v_xor_b32_e32 v3, 16, v2
	s_and_b32 s34, vcc_lo, s0
	s_cmp_gt_u32 s7, 2
	v_dual_mov_b32 v9, 0 :: v_dual_lshlrev_b32 v8, 3, v1
	s_cselect_b32 s0, -1, 0
	v_ashrrev_i32_e32 v1, 31, v0
	s_and_b32 s35, vcc_lo, s0
	v_cmp_gt_i32_e64 s0, 32, v3
	s_lshl_b32 s16, s6, 1
	s_cmp_gt_u32 s7, 3
	s_wait_kmcnt 0x0
	v_lshl_add_u64 v[12:13], v[0:1], 3, s[18:19]
	v_dual_cndmask_b32 v3, v2, v3, s0 :: v_dual_bitop2_b32 v0, 8, v2 bitop3:0x14
	s_cselect_b32 s0, -1, 0
	v_xor_b32_e32 v1, 4, v2
	s_and_b32 s36, vcc_lo, s0
	s_cmp_gt_u32 s7, 4
	v_lshlrev_b32_e32 v24, 2, v3
	s_cselect_b32 s0, -1, 0
	v_add_nc_u64_e32 v[10:11], s[18:19], v[8:9]
	s_and_b32 s37, vcc_lo, s0
	v_cmp_gt_i32_e64 s0, 32, v0
	s_lshl_b32 s18, s6, 2
	s_cmp_gt_u32 s7, 5
	v_xor_b32_e32 v5, 1, v2
	s_cselect_b32 s17, -1, 0
	v_cndmask_b32_e64 v0, v2, v0, s0
	v_cmp_gt_i32_e64 s0, 32, v1
	s_and_b32 s38, vcc_lo, s17
	s_cmp_gt_u32 s7, 6
	v_dual_lshlrev_b32 v23, 2, v2 :: v_dual_bitop2_b32 v3, 2, v2 bitop3:0x14
	v_cndmask_b32_e64 v1, v2, v1, s0
	s_cselect_b32 s0, -1, 0
	v_lshlrev_b32_e32 v25, 2, v0
	s_and_b32 s39, vcc_lo, s0
	s_cmp_gt_u32 s7, 7
	v_cmp_gt_i32_e64 s0, 32, v3
	s_cselect_b32 s26, -1, 0
	s_abs_i32 s40, s7
	s_mov_b32 s44, s13
	s_cvt_f32_u32 s17, s40
	v_cndmask_b32_e64 v3, v2, v3, s0
	v_cmp_gt_i32_e64 s0, 32, v5
	s_mov_b32 s45, s13
	v_rcp_iflag_f32_e32 v0, s17
	s_mov_b32 s46, s13
	s_mov_b32 s47, s13
	v_cndmask_b32_e64 v2, v2, v5, s0
	v_dual_lshlrev_b32 v26, 2, v1 :: v_dual_lshlrev_b32 v27, 2, v3
	s_mul_i32 s20, s6, 3
	s_delay_alu instid0(TRANS32_DEP_1) | instskip(NEXT) | instid1(VALU_DEP_3)
	v_readfirstlane_b32 s0, v0
	v_lshlrev_b32_e32 v28, 2, v2
	s_mul_i32 s22, s6, 5
	s_mul_i32 s24, s6, 6
	s_and_b32 s41, vcc_lo, s26
	s_mul_f32 s0, s0, 0x4f7ffffe
	s_mul_i32 s26, s6, 7
	s_sub_co_i32 s6, 0, s40
	v_mov_b64_e32 v[0:1], s[44:45]
	s_cvt_u32_f32 s0, s0
	v_mov_b64_e32 v[2:3], s[46:47]
	v_dual_mov_b32 v29, 0x7c :: v_dual_mov_b32 v30, 1
	s_delay_alu instid0(SALU_CYCLE_1)
	s_mul_i32 s6, s6, s0
	v_mov_b32_e32 v18, 0
	s_mul_hi_u32 s6, s0, s6
	s_mov_b32 s17, s13
	s_mov_b32 s21, s13
	;; [unrolled: 1-line block ×6, first 2 shown]
	s_add_co_i32 s28, s0, s6
	s_mov_b32 s29, s13
	s_mov_b32 s6, s13
	s_branch .LBB113_10
.LBB113_8:                              ;   in Loop: Header=BB113_10 Depth=1
	s_wait_xcnt 0x0
	s_or_b32 exec_lo, exec_lo, s42
	v_mov_b32_e32 v5, 1
.LBB113_9:                              ;   in Loop: Header=BB113_10 Depth=1
	s_or_b32 exec_lo, exec_lo, s0
	ds_bpermute_b32 v8, v24, v7
	s_wait_storecnt_dscnt 0x0
	v_dual_add_nc_u32 v4, v5, v4 :: v_dual_min_i32 v7, v8, v7
	ds_bpermute_b32 v8, v25, v7
	s_wait_dscnt 0x0
	v_min_i32_e32 v7, v8, v7
	ds_bpermute_b32 v8, v26, v7
	s_wait_dscnt 0x0
	v_min_i32_e32 v7, v8, v7
	;; [unrolled: 3-line block ×4, first 2 shown]
	ds_bpermute_b32 v18, v29, v7
	s_wait_dscnt 0x0
	v_cmp_le_i32_e32 vcc_lo, s5, v18
	s_or_b32 s6, vcc_lo, s6
	s_delay_alu instid0(SALU_CYCLE_1)
	s_and_not1_b32 exec_lo, exec_lo, s6
	s_cbranch_execz .LBB113_59
.LBB113_10:                             ; =>This Loop Header: Depth=1
                                        ;     Child Loop BB113_13 Depth 2
	v_dual_mov_b32 v7, s5 :: v_dual_mov_b32 v19, v21
	s_mov_b32 s42, exec_lo
	ds_store_b8 v20, v9 offset:16384
	ds_store_b128 v22, v[0:3]
	ds_store_b128 v22, v[0:3] offset:16
	ds_store_b128 v22, v[0:3] offset:32
	;; [unrolled: 1-line block ×3, first 2 shown]
	s_wait_dscnt 0x0
	v_cmpx_lt_i32_e64 v6, v21
	s_cbranch_execz .LBB113_18
; %bb.11:                               ;   in Loop: Header=BB113_10 Depth=1
	v_mul_lo_u32 v5, v18, s7
	v_dual_ashrrev_i32 v7, 31, v6 :: v_dual_mov_b32 v19, v21
	s_mov_b32 s43, 0
	s_delay_alu instid0(VALU_DEP_1)
	v_lshl_add_u64 v[14:15], v[6:7], 2, s[10:11]
	v_lshl_add_u64 v[16:17], v[6:7], 3, s[8:9]
	v_mov_b32_e32 v7, s5
	s_branch .LBB113_13
.LBB113_12:                             ;   in Loop: Header=BB113_13 Depth=2
	s_wait_xcnt 0x0
	s_or_b32 exec_lo, exec_lo, s0
	v_add_nc_u32_e32 v6, 1, v6
	s_xor_b32 s44, vcc_lo, -1
	v_add_nc_u64_e32 v[14:15], 4, v[14:15]
	v_add_nc_u64_e32 v[16:17], 8, v[16:17]
	s_delay_alu instid0(VALU_DEP_3) | instskip(SKIP_1) | instid1(SALU_CYCLE_1)
	v_cmp_ge_i32_e64 s0, v6, v21
	s_or_b32 s0, s44, s0
	s_and_b32 s0, exec_lo, s0
	s_delay_alu instid0(SALU_CYCLE_1) | instskip(NEXT) | instid1(SALU_CYCLE_1)
	s_or_b32 s43, s0, s43
	s_and_not1_b32 exec_lo, exec_lo, s43
	s_cbranch_execz .LBB113_17
.LBB113_13:                             ;   Parent Loop BB113_10 Depth=1
                                        ; =>  This Inner Loop Header: Depth=2
	global_load_b32 v8, v[14:15], off
	s_wait_loadcnt 0x0
	v_subrev_nc_u32_e32 v31, s30, v8
	s_delay_alu instid0(VALU_DEP_1) | instskip(NEXT) | instid1(VALU_DEP_1)
	v_sub_nc_u32_e32 v8, 0, v31
	v_max_i32_e32 v8, v31, v8
	s_delay_alu instid0(VALU_DEP_1) | instskip(NEXT) | instid1(VALU_DEP_1)
	v_mul_u64_e32 v[32:33], s[28:29], v[8:9]
	v_mul_lo_u32 v32, v33, s40
	s_delay_alu instid0(VALU_DEP_1) | instskip(NEXT) | instid1(VALU_DEP_1)
	v_dual_sub_nc_u32 v8, v8, v32 :: v_dual_add_nc_u32 v32, 1, v33
	v_cmp_le_u32_e32 vcc_lo, s40, v8
	s_delay_alu instid0(VALU_DEP_2) | instskip(SKIP_1) | instid1(VALU_DEP_1)
	v_cndmask_b32_e32 v32, v33, v32, vcc_lo
	v_subrev_nc_u32_e32 v34, s40, v8
	v_dual_cndmask_b32 v8, v8, v34 :: v_dual_ashrrev_i32 v33, 31, v31
	s_delay_alu instid0(VALU_DEP_3) | instskip(NEXT) | instid1(VALU_DEP_2)
	v_add_nc_u32_e32 v34, 1, v32
	v_cmp_le_u32_e32 vcc_lo, s40, v8
	s_delay_alu instid0(VALU_DEP_2) | instskip(NEXT) | instid1(VALU_DEP_1)
	v_dual_cndmask_b32 v8, v32, v34, vcc_lo :: v_dual_bitop2_b32 v33, s1, v33 bitop3:0x14
	v_xor_b32_e32 v8, v8, v33
	s_delay_alu instid0(VALU_DEP_1) | instskip(NEXT) | instid1(VALU_DEP_1)
	v_dual_sub_nc_u32 v32, v8, v33 :: v_dual_mov_b32 v8, v19
	v_cmp_ne_u32_e64 s0, v32, v18
	v_cmp_eq_u32_e32 vcc_lo, v32, v18
	s_wait_xcnt 0x0
	s_and_saveexec_b32 s44, s0
	s_delay_alu instid0(SALU_CYCLE_1)
	s_xor_b32 s0, exec_lo, s44
; %bb.14:                               ;   in Loop: Header=BB113_13 Depth=2
	v_min_i32_e32 v7, v32, v7
                                        ; implicit-def: $vgpr31
                                        ; implicit-def: $vgpr8
; %bb.15:                               ;   in Loop: Header=BB113_13 Depth=2
	s_or_saveexec_b32 s0, s0
	v_mov_b32_e32 v19, v6
	s_xor_b32 exec_lo, exec_lo, s0
	s_cbranch_execz .LBB113_12
; %bb.16:                               ;   in Loop: Header=BB113_13 Depth=2
	global_load_b64 v[32:33], v[16:17], off
	v_sub_nc_u32_e32 v19, v31, v5
	s_delay_alu instid0(VALU_DEP_1)
	v_lshl_add_u32 v31, v19, 3, v22
	v_mov_b32_e32 v19, v8
	ds_store_b8 v20, v30 offset:16384
	s_wait_loadcnt 0x0
	ds_store_b64 v31, v[32:33]
	s_branch .LBB113_12
.LBB113_17:                             ;   in Loop: Header=BB113_10 Depth=1
	s_or_b32 exec_lo, exec_lo, s43
.LBB113_18:                             ;   in Loop: Header=BB113_10 Depth=1
	s_delay_alu instid0(SALU_CYCLE_1)
	s_or_b32 exec_lo, exec_lo, s42
	s_wait_dscnt 0x0
	ds_load_u8 v5, v20 offset:16384
	ds_bpermute_b32 v6, v23, v19
	s_wait_dscnt 0x1
	v_and_b32_e32 v5, 1, v5
	s_delay_alu instid0(VALU_DEP_1)
	v_cmp_eq_u32_e32 vcc_lo, 1, v5
	v_mov_b32_e32 v5, 0
	s_and_saveexec_b32 s0, vcc_lo
	s_cbranch_execz .LBB113_9
; %bb.19:                               ;   in Loop: Header=BB113_10 Depth=1
	v_ashrrev_i32_e32 v5, 31, v4
	s_delay_alu instid0(VALU_DEP_1) | instskip(SKIP_3) | instid1(VALU_DEP_1)
	v_mul_u64_e32 v[14:15], s[14:15], v[4:5]
	v_add_nc_u32_e32 v5, s31, v18
	global_store_b32 v4, v5, s[2:3] scale_offset
	v_lshlrev_b64_e32 v[14:15], 3, v[14:15]
	v_add_nc_u64_e32 v[16:17], v[10:11], v[14:15]
	v_add_nc_u64_e32 v[14:15], v[12:13], v[14:15]
	s_wait_xcnt 0x0
	s_and_saveexec_b32 s42, s33
	s_cbranch_execz .LBB113_23
; %bb.20:                               ;   in Loop: Header=BB113_10 Depth=1
	ds_load_b64 v[18:19], v22
	s_and_b32 vcc_lo, exec_lo, s4
	s_cbranch_vccz .LBB113_50
; %bb.21:                               ;   in Loop: Header=BB113_10 Depth=1
	s_wait_dscnt 0x0
	global_store_b64 v[16:17], v[18:19], off
	s_cbranch_execnz .LBB113_23
.LBB113_22:                             ;   in Loop: Header=BB113_10 Depth=1
	s_wait_dscnt 0x0
	global_store_b64 v[14:15], v[18:19], off
.LBB113_23:                             ;   in Loop: Header=BB113_10 Depth=1
	s_wait_xcnt 0x0
	s_or_b32 exec_lo, exec_lo, s42
	s_and_saveexec_b32 s42, s34
	s_cbranch_execz .LBB113_27
; %bb.24:                               ;   in Loop: Header=BB113_10 Depth=1
	s_wait_dscnt 0x0
	ds_load_b64 v[18:19], v22 offset:8
	s_and_not1_b32 vcc_lo, exec_lo, s4
	s_cbranch_vccnz .LBB113_51
; %bb.25:                               ;   in Loop: Header=BB113_10 Depth=1
	v_lshl_add_u64 v[32:33], s[12:13], 3, v[16:17]
	s_wait_dscnt 0x0
	global_store_b64 v[32:33], v[18:19], off
	s_cbranch_execnz .LBB113_27
.LBB113_26:                             ;   in Loop: Header=BB113_10 Depth=1
	s_wait_dscnt 0x0
	global_store_b64 v[14:15], v[18:19], off offset:8
.LBB113_27:                             ;   in Loop: Header=BB113_10 Depth=1
	s_wait_xcnt 0x0
	s_or_b32 exec_lo, exec_lo, s42
	s_and_saveexec_b32 s42, s35
	s_cbranch_execz .LBB113_31
; %bb.28:                               ;   in Loop: Header=BB113_10 Depth=1
	s_wait_dscnt 0x0
	ds_load_b64 v[18:19], v22 offset:16
	s_and_not1_b32 vcc_lo, exec_lo, s4
	s_cbranch_vccnz .LBB113_52
; %bb.29:                               ;   in Loop: Header=BB113_10 Depth=1
	v_lshl_add_u64 v[32:33], s[16:17], 3, v[16:17]
	s_wait_dscnt 0x0
	global_store_b64 v[32:33], v[18:19], off
	s_cbranch_execnz .LBB113_31
.LBB113_30:                             ;   in Loop: Header=BB113_10 Depth=1
	s_wait_dscnt 0x0
	global_store_b64 v[14:15], v[18:19], off offset:16
.LBB113_31:                             ;   in Loop: Header=BB113_10 Depth=1
	s_wait_xcnt 0x0
	s_or_b32 exec_lo, exec_lo, s42
	s_and_saveexec_b32 s42, s36
	s_cbranch_execz .LBB113_35
; %bb.32:                               ;   in Loop: Header=BB113_10 Depth=1
	s_wait_dscnt 0x0
	ds_load_b64 v[18:19], v22 offset:24
	s_and_not1_b32 vcc_lo, exec_lo, s4
	s_cbranch_vccnz .LBB113_53
; %bb.33:                               ;   in Loop: Header=BB113_10 Depth=1
	v_lshl_add_u64 v[32:33], s[20:21], 3, v[16:17]
	s_wait_dscnt 0x0
	global_store_b64 v[32:33], v[18:19], off
	s_cbranch_execnz .LBB113_35
.LBB113_34:                             ;   in Loop: Header=BB113_10 Depth=1
	s_wait_dscnt 0x0
	global_store_b64 v[14:15], v[18:19], off offset:24
.LBB113_35:                             ;   in Loop: Header=BB113_10 Depth=1
	s_wait_xcnt 0x0
	s_or_b32 exec_lo, exec_lo, s42
	s_and_saveexec_b32 s42, s37
	s_cbranch_execz .LBB113_39
; %bb.36:                               ;   in Loop: Header=BB113_10 Depth=1
	s_wait_dscnt 0x0
	ds_load_b64 v[18:19], v22 offset:32
	s_and_not1_b32 vcc_lo, exec_lo, s4
	s_cbranch_vccnz .LBB113_54
; %bb.37:                               ;   in Loop: Header=BB113_10 Depth=1
	v_lshl_add_u64 v[32:33], s[18:19], 3, v[16:17]
	s_wait_dscnt 0x0
	global_store_b64 v[32:33], v[18:19], off
	s_cbranch_execnz .LBB113_39
.LBB113_38:                             ;   in Loop: Header=BB113_10 Depth=1
	s_wait_dscnt 0x0
	global_store_b64 v[14:15], v[18:19], off offset:32
.LBB113_39:                             ;   in Loop: Header=BB113_10 Depth=1
	s_wait_xcnt 0x0
	s_or_b32 exec_lo, exec_lo, s42
	s_and_saveexec_b32 s42, s38
	s_cbranch_execz .LBB113_43
; %bb.40:                               ;   in Loop: Header=BB113_10 Depth=1
	s_wait_dscnt 0x0
	ds_load_b64 v[18:19], v22 offset:40
	s_and_not1_b32 vcc_lo, exec_lo, s4
	s_cbranch_vccnz .LBB113_55
; %bb.41:                               ;   in Loop: Header=BB113_10 Depth=1
	v_lshl_add_u64 v[32:33], s[22:23], 3, v[16:17]
	s_wait_dscnt 0x0
	global_store_b64 v[32:33], v[18:19], off
	s_cbranch_execnz .LBB113_43
.LBB113_42:                             ;   in Loop: Header=BB113_10 Depth=1
	s_wait_dscnt 0x0
	global_store_b64 v[14:15], v[18:19], off offset:40
.LBB113_43:                             ;   in Loop: Header=BB113_10 Depth=1
	s_wait_xcnt 0x0
	s_or_b32 exec_lo, exec_lo, s42
	s_and_saveexec_b32 s42, s39
	s_cbranch_execz .LBB113_47
; %bb.44:                               ;   in Loop: Header=BB113_10 Depth=1
	s_wait_dscnt 0x0
	ds_load_b64 v[18:19], v22 offset:48
	s_and_not1_b32 vcc_lo, exec_lo, s4
	s_cbranch_vccnz .LBB113_56
; %bb.45:                               ;   in Loop: Header=BB113_10 Depth=1
	v_lshl_add_u64 v[32:33], s[24:25], 3, v[16:17]
	s_wait_dscnt 0x0
	global_store_b64 v[32:33], v[18:19], off
	s_cbranch_execnz .LBB113_47
.LBB113_46:                             ;   in Loop: Header=BB113_10 Depth=1
	s_wait_dscnt 0x0
	global_store_b64 v[14:15], v[18:19], off offset:48
.LBB113_47:                             ;   in Loop: Header=BB113_10 Depth=1
	s_wait_xcnt 0x0
	s_or_b32 exec_lo, exec_lo, s42
	s_and_saveexec_b32 s42, s41
	s_cbranch_execz .LBB113_8
; %bb.48:                               ;   in Loop: Header=BB113_10 Depth=1
	s_wait_dscnt 0x0
	ds_load_b64 v[18:19], v22 offset:56
	s_and_not1_b32 vcc_lo, exec_lo, s4
	s_cbranch_vccnz .LBB113_57
; %bb.49:                               ;   in Loop: Header=BB113_10 Depth=1
	v_lshl_add_u64 v[16:17], s[26:27], 3, v[16:17]
	s_wait_dscnt 0x0
	global_store_b64 v[16:17], v[18:19], off
	s_cbranch_execnz .LBB113_8
	s_branch .LBB113_58
.LBB113_50:                             ;   in Loop: Header=BB113_10 Depth=1
	s_branch .LBB113_22
.LBB113_51:                             ;   in Loop: Header=BB113_10 Depth=1
	s_branch .LBB113_26
.LBB113_52:                             ;   in Loop: Header=BB113_10 Depth=1
	s_branch .LBB113_30
.LBB113_53:                             ;   in Loop: Header=BB113_10 Depth=1
	s_branch .LBB113_34
.LBB113_54:                             ;   in Loop: Header=BB113_10 Depth=1
	s_branch .LBB113_38
.LBB113_55:                             ;   in Loop: Header=BB113_10 Depth=1
	s_branch .LBB113_42
.LBB113_56:                             ;   in Loop: Header=BB113_10 Depth=1
	s_branch .LBB113_46
.LBB113_57:                             ;   in Loop: Header=BB113_10 Depth=1
.LBB113_58:                             ;   in Loop: Header=BB113_10 Depth=1
	s_wait_dscnt 0x0
	global_store_b64 v[14:15], v[18:19], off offset:56
	s_branch .LBB113_8
.LBB113_59:
	s_endpgm
	.section	.rodata,"a",@progbits
	.p2align	6, 0x0
	.amdhsa_kernel _ZN9rocsparseL44csr2gebsr_wavefront_per_row_multipass_kernelILi256ELi32ELi8ELi32EdEEv20rocsparse_direction_iiiiii21rocsparse_index_base_PKT3_PKiS7_S2_PS3_PiS9_
		.amdhsa_group_segment_fixed_size 16392
		.amdhsa_private_segment_fixed_size 0
		.amdhsa_kernarg_size 88
		.amdhsa_user_sgpr_count 2
		.amdhsa_user_sgpr_dispatch_ptr 0
		.amdhsa_user_sgpr_queue_ptr 0
		.amdhsa_user_sgpr_kernarg_segment_ptr 1
		.amdhsa_user_sgpr_dispatch_id 0
		.amdhsa_user_sgpr_kernarg_preload_length 0
		.amdhsa_user_sgpr_kernarg_preload_offset 0
		.amdhsa_user_sgpr_private_segment_size 0
		.amdhsa_wavefront_size32 1
		.amdhsa_uses_dynamic_stack 0
		.amdhsa_enable_private_segment 0
		.amdhsa_system_sgpr_workgroup_id_x 1
		.amdhsa_system_sgpr_workgroup_id_y 0
		.amdhsa_system_sgpr_workgroup_id_z 0
		.amdhsa_system_sgpr_workgroup_info 0
		.amdhsa_system_vgpr_workitem_id 0
		.amdhsa_next_free_vgpr 35
		.amdhsa_next_free_sgpr 48
		.amdhsa_named_barrier_count 0
		.amdhsa_reserve_vcc 1
		.amdhsa_float_round_mode_32 0
		.amdhsa_float_round_mode_16_64 0
		.amdhsa_float_denorm_mode_32 3
		.amdhsa_float_denorm_mode_16_64 3
		.amdhsa_fp16_overflow 0
		.amdhsa_memory_ordered 1
		.amdhsa_forward_progress 1
		.amdhsa_inst_pref_size 17
		.amdhsa_round_robin_scheduling 0
		.amdhsa_exception_fp_ieee_invalid_op 0
		.amdhsa_exception_fp_denorm_src 0
		.amdhsa_exception_fp_ieee_div_zero 0
		.amdhsa_exception_fp_ieee_overflow 0
		.amdhsa_exception_fp_ieee_underflow 0
		.amdhsa_exception_fp_ieee_inexact 0
		.amdhsa_exception_int_div_zero 0
	.end_amdhsa_kernel
	.section	.text._ZN9rocsparseL44csr2gebsr_wavefront_per_row_multipass_kernelILi256ELi32ELi8ELi32EdEEv20rocsparse_direction_iiiiii21rocsparse_index_base_PKT3_PKiS7_S2_PS3_PiS9_,"axG",@progbits,_ZN9rocsparseL44csr2gebsr_wavefront_per_row_multipass_kernelILi256ELi32ELi8ELi32EdEEv20rocsparse_direction_iiiiii21rocsparse_index_base_PKT3_PKiS7_S2_PS3_PiS9_,comdat
.Lfunc_end113:
	.size	_ZN9rocsparseL44csr2gebsr_wavefront_per_row_multipass_kernelILi256ELi32ELi8ELi32EdEEv20rocsparse_direction_iiiiii21rocsparse_index_base_PKT3_PKiS7_S2_PS3_PiS9_, .Lfunc_end113-_ZN9rocsparseL44csr2gebsr_wavefront_per_row_multipass_kernelILi256ELi32ELi8ELi32EdEEv20rocsparse_direction_iiiiii21rocsparse_index_base_PKT3_PKiS7_S2_PS3_PiS9_
                                        ; -- End function
	.set _ZN9rocsparseL44csr2gebsr_wavefront_per_row_multipass_kernelILi256ELi32ELi8ELi32EdEEv20rocsparse_direction_iiiiii21rocsparse_index_base_PKT3_PKiS7_S2_PS3_PiS9_.num_vgpr, 35
	.set _ZN9rocsparseL44csr2gebsr_wavefront_per_row_multipass_kernelILi256ELi32ELi8ELi32EdEEv20rocsparse_direction_iiiiii21rocsparse_index_base_PKT3_PKiS7_S2_PS3_PiS9_.num_agpr, 0
	.set _ZN9rocsparseL44csr2gebsr_wavefront_per_row_multipass_kernelILi256ELi32ELi8ELi32EdEEv20rocsparse_direction_iiiiii21rocsparse_index_base_PKT3_PKiS7_S2_PS3_PiS9_.numbered_sgpr, 48
	.set _ZN9rocsparseL44csr2gebsr_wavefront_per_row_multipass_kernelILi256ELi32ELi8ELi32EdEEv20rocsparse_direction_iiiiii21rocsparse_index_base_PKT3_PKiS7_S2_PS3_PiS9_.num_named_barrier, 0
	.set _ZN9rocsparseL44csr2gebsr_wavefront_per_row_multipass_kernelILi256ELi32ELi8ELi32EdEEv20rocsparse_direction_iiiiii21rocsparse_index_base_PKT3_PKiS7_S2_PS3_PiS9_.private_seg_size, 0
	.set _ZN9rocsparseL44csr2gebsr_wavefront_per_row_multipass_kernelILi256ELi32ELi8ELi32EdEEv20rocsparse_direction_iiiiii21rocsparse_index_base_PKT3_PKiS7_S2_PS3_PiS9_.uses_vcc, 1
	.set _ZN9rocsparseL44csr2gebsr_wavefront_per_row_multipass_kernelILi256ELi32ELi8ELi32EdEEv20rocsparse_direction_iiiiii21rocsparse_index_base_PKT3_PKiS7_S2_PS3_PiS9_.uses_flat_scratch, 0
	.set _ZN9rocsparseL44csr2gebsr_wavefront_per_row_multipass_kernelILi256ELi32ELi8ELi32EdEEv20rocsparse_direction_iiiiii21rocsparse_index_base_PKT3_PKiS7_S2_PS3_PiS9_.has_dyn_sized_stack, 0
	.set _ZN9rocsparseL44csr2gebsr_wavefront_per_row_multipass_kernelILi256ELi32ELi8ELi32EdEEv20rocsparse_direction_iiiiii21rocsparse_index_base_PKT3_PKiS7_S2_PS3_PiS9_.has_recursion, 0
	.set _ZN9rocsparseL44csr2gebsr_wavefront_per_row_multipass_kernelILi256ELi32ELi8ELi32EdEEv20rocsparse_direction_iiiiii21rocsparse_index_base_PKT3_PKiS7_S2_PS3_PiS9_.has_indirect_call, 0
	.section	.AMDGPU.csdata,"",@progbits
; Kernel info:
; codeLenInByte = 2100
; TotalNumSgprs: 50
; NumVgprs: 35
; ScratchSize: 0
; MemoryBound: 0
; FloatMode: 240
; IeeeMode: 1
; LDSByteSize: 16392 bytes/workgroup (compile time only)
; SGPRBlocks: 0
; VGPRBlocks: 2
; NumSGPRsForWavesPerEU: 50
; NumVGPRsForWavesPerEU: 35
; NamedBarCnt: 0
; Occupancy: 16
; WaveLimiterHint : 0
; COMPUTE_PGM_RSRC2:SCRATCH_EN: 0
; COMPUTE_PGM_RSRC2:USER_SGPR: 2
; COMPUTE_PGM_RSRC2:TRAP_HANDLER: 0
; COMPUTE_PGM_RSRC2:TGID_X_EN: 1
; COMPUTE_PGM_RSRC2:TGID_Y_EN: 0
; COMPUTE_PGM_RSRC2:TGID_Z_EN: 0
; COMPUTE_PGM_RSRC2:TIDIG_COMP_CNT: 0
	.section	.text._ZN9rocsparseL40csr2gebsr_block_per_row_multipass_kernelILj256ELj32ELj16EdEEv20rocsparse_direction_iiiiii21rocsparse_index_base_PKT2_PKiS7_S2_PS3_PiS9_,"axG",@progbits,_ZN9rocsparseL40csr2gebsr_block_per_row_multipass_kernelILj256ELj32ELj16EdEEv20rocsparse_direction_iiiiii21rocsparse_index_base_PKT2_PKiS7_S2_PS3_PiS9_,comdat
	.globl	_ZN9rocsparseL40csr2gebsr_block_per_row_multipass_kernelILj256ELj32ELj16EdEEv20rocsparse_direction_iiiiii21rocsparse_index_base_PKT2_PKiS7_S2_PS3_PiS9_ ; -- Begin function _ZN9rocsparseL40csr2gebsr_block_per_row_multipass_kernelILj256ELj32ELj16EdEEv20rocsparse_direction_iiiiii21rocsparse_index_base_PKT2_PKiS7_S2_PS3_PiS9_
	.p2align	8
	.type	_ZN9rocsparseL40csr2gebsr_block_per_row_multipass_kernelILj256ELj32ELj16EdEEv20rocsparse_direction_iiiiii21rocsparse_index_base_PKT2_PKiS7_S2_PS3_PiS9_,@function
_ZN9rocsparseL40csr2gebsr_block_per_row_multipass_kernelILj256ELj32ELj16EdEEv20rocsparse_direction_iiiiii21rocsparse_index_base_PKT2_PKiS7_S2_PS3_PiS9_: ; @_ZN9rocsparseL40csr2gebsr_block_per_row_multipass_kernelILj256ELj32ELj16EdEEv20rocsparse_direction_iiiiii21rocsparse_index_base_PKT2_PKiS7_S2_PS3_PiS9_
; %bb.0:
	s_clause 0x1
	s_load_b128 s[12:15], s[0:1], 0x10
	s_load_b64 s[30:31], s[0:1], 0x0
	s_bfe_u32 s2, ttmp6, 0x4000c
	s_and_b32 s3, ttmp6, 15
	s_add_co_i32 s2, s2, 1
	s_getreg_b32 s4, hwreg(HW_REG_IB_STS2, 6, 4)
	s_mul_i32 s2, ttmp9, s2
	v_dual_mov_b32 v18, 0 :: v_dual_lshrrev_b32 v1, 3, v0
	s_add_co_i32 s3, s3, s2
	s_cmp_eq_u32 s4, 0
	s_load_b64 s[6:7], s[0:1], 0x28
	s_cselect_b32 s4, ttmp9, s3
	v_mov_b32_e32 v28, 0
	s_wait_kmcnt 0x0
	v_mad_u32 v2, s13, s4, v1
	v_cmp_gt_i32_e32 vcc_lo, s13, v1
	s_delay_alu instid0(VALU_DEP_2) | instskip(SKIP_1) | instid1(SALU_CYCLE_1)
	v_cmp_gt_i32_e64 s2, s31, v2
	s_and_b32 s2, vcc_lo, s2
	s_and_saveexec_b32 s3, s2
	s_cbranch_execnz .LBB114_3
; %bb.1:
	s_or_b32 exec_lo, exec_lo, s3
	s_and_saveexec_b32 s3, s2
	s_cbranch_execnz .LBB114_4
.LBB114_2:
	s_or_b32 exec_lo, exec_lo, s3
	s_cmp_lt_i32 s12, 1
	s_cbranch_scc0 .LBB114_5
	s_branch .LBB114_43
.LBB114_3:
	global_load_b32 v3, v2, s[6:7] scale_offset
	s_wait_loadcnt 0x0
	v_subrev_nc_u32_e32 v28, s15, v3
	s_or_b32 exec_lo, exec_lo, s3
	s_and_saveexec_b32 s3, s2
	s_cbranch_execz .LBB114_2
.LBB114_4:
	global_load_b32 v2, v2, s[6:7] offset:4 scale_offset
	s_wait_loadcnt 0x0
	v_subrev_nc_u32_e32 v18, s15, v2
	s_or_b32 exec_lo, exec_lo, s3
	s_cmp_lt_i32 s12, 1
	s_cbranch_scc1 .LBB114_43
.LBB114_5:
	s_clause 0x3
	s_load_b128 s[16:19], s[0:1], 0x40
	s_load_b64 s[10:11], s[0:1], 0x50
	s_load_b96 s[20:22], s[0:1], 0x30
	s_load_b64 s[24:25], s[0:1], 0x20
	s_ashr_i32 s5, s4, 31
	v_dual_lshlrev_b32 v20, 7, v1 :: v_dual_bitop2_b32 v19, 7, v0 bitop3:0x40
	s_wait_xcnt 0x0
	s_lshl_b64 s[0:1], s[4:5], 2
	v_mbcnt_lo_u32_b32 v6, -1, 0
	v_dual_mov_b32 v3, 0 :: v_dual_lshlrev_b32 v2, 3, v1
	v_lshlrev_b32_e32 v10, 3, v19
	v_mul_lo_u32 v8, s14, v1
	s_delay_alu instid0(VALU_DEP_4) | instskip(NEXT) | instid1(VALU_DEP_4)
	v_xor_b32_e32 v9, 4, v6
	v_dual_mov_b32 v11, v3 :: v_dual_bitop2_b32 v12, 2, v6 bitop3:0x14
	v_dual_mov_b32 v5, v3 :: v_dual_bitop2_b32 v13, 1, v6 bitop3:0x14
	v_mul_lo_u32 v4, v19, s13
	v_lshl_or_b32 v23, v6, 2, 28
	s_wait_kmcnt 0x0
	s_add_nc_u64 s[0:1], s[18:19], s[0:1]
	s_mov_b32 s26, s13
	s_load_b32 s9, s[0:1], 0x0
	v_cmp_gt_u32_e64 s8, s14, v19
	v_dual_mov_b32 v7, v3 :: v_dual_bitop2_b32 v14, 8, v19 bitop3:0x54
	v_dual_mov_b32 v22, 1 :: v_dual_lshlrev_b32 v21, 2, v0
	s_wait_xcnt 0x0
	v_cmp_gt_u32_e64 s0, 0x80, v0
	v_cmp_gt_u32_e64 s1, 64, v0
	;; [unrolled: 1-line block ×7, first 2 shown]
	v_cmp_eq_u32_e64 s7, 0, v0
	v_mov_b64_e32 v[0:1], 0
	s_mov_b32 s27, 0
	s_mov_b32 s28, s14
	s_wait_kmcnt 0x0
	s_sub_co_i32 s18, s9, s22
	s_cmp_lg_u32 s30, 0
	v_cmp_gt_i32_e64 s9, 32, v9
	s_cselect_b32 s23, -1, 0
	s_abs_i32 s30, s14
	s_ashr_i32 s29, s14, 31
	s_cvt_f32_u32 s19, s30
	v_cndmask_b32_e64 v15, v6, v9, s9
	v_cmp_gt_i32_e64 s9, 32, v12
	v_ashrrev_i32_e32 v9, 31, v8
	v_rcp_iflag_f32_e32 v16, s19
	s_delay_alu instid0(VALU_DEP_2) | instskip(SKIP_2) | instid1(TRANS32_DEP_1)
	v_cndmask_b32_e64 v12, v6, v12, s9
	v_cmp_gt_i32_e64 s9, 32, v13
	v_dual_add_nc_u32 v24, v10, v20 :: v_dual_lshlrev_b32 v25, 2, v15
	v_readfirstlane_b32 s19, v16
	s_delay_alu instid0(VALU_DEP_3) | instskip(SKIP_3) | instid1(VALU_DEP_4)
	v_dual_cndmask_b32 v6, v6, v13, s9 :: v_dual_lshlrev_b32 v26, 2, v12
	v_lshl_add_u64 v[12:13], v[8:9], 3, s[16:17]
	v_cmp_gt_u32_e64 s9, s14, v14
	v_add_nc_u64_e32 v[8:9], s[16:17], v[2:3]
	v_lshlrev_b32_e32 v27, 2, v6
	v_lshl_add_u32 v6, s13, 3, v4
	s_mul_f32 s13, s19, 0x4f7ffffe
	v_add_nc_u64_e32 v[10:11], v[12:13], v[10:11]
	v_mov_b32_e32 v14, 0
	s_mul_u64 s[16:17], s[28:29], s[26:27]
	s_cvt_u32_f32 s19, s13
	s_and_b32 s13, vcc_lo, s8
	s_sub_co_i32 s8, 0, s30
	s_and_b32 s9, vcc_lo, s9
	s_mul_i32 s8, s8, s19
	s_delay_alu instid0(SALU_CYCLE_1) | instskip(NEXT) | instid1(SALU_CYCLE_1)
	s_mul_hi_u32 s8, s19, s8
	s_add_co_i32 s26, s19, s8
	s_branch .LBB114_7
.LBB114_6:                              ;   in Loop: Header=BB114_7 Depth=1
	s_or_b32 exec_lo, exec_lo, s19
	s_wait_dscnt 0x0
	s_barrier_signal -1
	s_barrier_wait -1
	ds_load_b32 v14, v3
	s_add_co_i32 s18, s8, s18
	s_wait_dscnt 0x0
	s_barrier_signal -1
	s_barrier_wait -1
	v_cmp_gt_i32_e32 vcc_lo, s12, v14
	s_cbranch_vccz .LBB114_43
.LBB114_7:                              ; =>This Loop Header: Depth=1
                                        ;     Child Loop BB114_10 Depth 2
	v_dual_mov_b32 v29, s12 :: v_dual_add_nc_u32 v12, v28, v19
	v_mov_b32_e32 v13, v18
	s_mov_b32 s19, exec_lo
	ds_store_b8 v3, v3 offset:4096
	ds_store_2addr_b64 v24, v[0:1], v[0:1] offset1:8
	s_wait_dscnt 0x0
	s_barrier_signal -1
	s_barrier_wait -1
	v_cmpx_lt_i32_e64 v12, v18
	s_cbranch_execz .LBB114_15
; %bb.8:                                ;   in Loop: Header=BB114_7 Depth=1
	v_mul_lo_u32 v15, v14, s14
	v_dual_mov_b32 v29, s12 :: v_dual_mov_b32 v13, v18
	s_mov_b32 s28, 0
	s_branch .LBB114_10
.LBB114_9:                              ;   in Loop: Header=BB114_10 Depth=2
	s_wait_xcnt 0x0
	s_or_b32 exec_lo, exec_lo, s8
	v_add_nc_u32_e32 v12, 8, v12
	s_xor_b32 s31, vcc_lo, -1
	s_delay_alu instid0(VALU_DEP_1) | instskip(SKIP_1) | instid1(SALU_CYCLE_1)
	v_cmp_ge_i32_e64 s8, v12, v18
	s_or_b32 s8, s31, s8
	s_and_b32 s8, exec_lo, s8
	s_delay_alu instid0(SALU_CYCLE_1) | instskip(NEXT) | instid1(SALU_CYCLE_1)
	s_or_b32 s28, s8, s28
	s_and_not1_b32 exec_lo, exec_lo, s28
	s_cbranch_execz .LBB114_14
.LBB114_10:                             ;   Parent Loop BB114_7 Depth=1
                                        ; =>  This Inner Loop Header: Depth=2
	global_load_b32 v2, v12, s[20:21] scale_offset
	s_wait_loadcnt 0x0
	v_subrev_nc_u32_e32 v16, s15, v2
	s_delay_alu instid0(VALU_DEP_1) | instskip(NEXT) | instid1(VALU_DEP_1)
	v_sub_nc_u32_e32 v2, 0, v16
	v_max_i32_e32 v2, v16, v2
	s_delay_alu instid0(VALU_DEP_1) | instskip(SKIP_1) | instid1(VALU_DEP_2)
	v_mul_u64_e32 v[30:31], s[26:27], v[2:3]
	v_ashrrev_i32_e32 v30, 31, v16
	v_mul_lo_u32 v17, v31, s30
	s_delay_alu instid0(VALU_DEP_1) | instskip(NEXT) | instid1(VALU_DEP_1)
	v_dual_sub_nc_u32 v2, v2, v17 :: v_dual_add_nc_u32 v17, 1, v31
	v_subrev_nc_u32_e32 v28, s30, v2
	v_cmp_le_u32_e32 vcc_lo, s30, v2
	s_delay_alu instid0(VALU_DEP_2) | instskip(NEXT) | instid1(VALU_DEP_1)
	v_dual_cndmask_b32 v17, v31, v17 :: v_dual_cndmask_b32 v2, v2, v28
	v_add_nc_u32_e32 v28, 1, v17
	s_delay_alu instid0(VALU_DEP_2) | instskip(NEXT) | instid1(VALU_DEP_2)
	v_cmp_le_u32_e32 vcc_lo, s30, v2
	v_dual_cndmask_b32 v2, v17, v28, vcc_lo :: v_dual_bitop2_b32 v30, s29, v30 bitop3:0x14
	s_delay_alu instid0(VALU_DEP_1) | instskip(NEXT) | instid1(VALU_DEP_1)
	v_xor_b32_e32 v2, v2, v30
	v_dual_mov_b32 v2, v13 :: v_dual_sub_nc_u32 v17, v2, v30
	s_delay_alu instid0(VALU_DEP_1) | instskip(SKIP_3) | instid1(SALU_CYCLE_1)
	v_cmp_ne_u32_e64 s8, v17, v14
	v_cmp_eq_u32_e32 vcc_lo, v17, v14
	s_wait_xcnt 0x0
	s_and_saveexec_b32 s31, s8
	s_xor_b32 s8, exec_lo, s31
; %bb.11:                               ;   in Loop: Header=BB114_10 Depth=2
	v_min_i32_e32 v29, v17, v29
                                        ; implicit-def: $vgpr16
                                        ; implicit-def: $vgpr2
; %bb.12:                               ;   in Loop: Header=BB114_10 Depth=2
	s_or_saveexec_b32 s8, s8
	v_mov_b32_e32 v13, v12
	s_xor_b32 exec_lo, exec_lo, s8
	s_cbranch_execz .LBB114_9
; %bb.13:                               ;   in Loop: Header=BB114_10 Depth=2
	v_ashrrev_i32_e32 v13, 31, v12
	s_delay_alu instid0(VALU_DEP_1)
	v_lshl_add_u64 v[30:31], v[12:13], 3, s[24:25]
	v_sub_nc_u32_e32 v13, v16, v15
	global_load_b64 v[30:31], v[30:31], off
	v_lshl_add_u32 v16, v13, 3, v20
	v_mov_b32_e32 v13, v2
	ds_store_b8 v3, v22 offset:4096
	s_wait_loadcnt 0x0
	ds_store_b64 v16, v[30:31]
	s_branch .LBB114_9
.LBB114_14:                             ;   in Loop: Header=BB114_7 Depth=1
	s_or_b32 exec_lo, exec_lo, s28
.LBB114_15:                             ;   in Loop: Header=BB114_7 Depth=1
	s_delay_alu instid0(SALU_CYCLE_1)
	s_or_b32 exec_lo, exec_lo, s19
	ds_bpermute_b32 v2, v25, v13
	s_wait_dscnt 0x0
	s_barrier_signal -1
	s_barrier_wait -1
	s_mov_b32 s8, 0
	v_min_i32_e32 v2, v2, v13
	ds_load_u8 v13, v3 offset:4096
	ds_bpermute_b32 v12, v26, v2
	s_wait_dscnt 0x0
	v_min_i32_e32 v2, v12, v2
	ds_bpermute_b32 v12, v27, v2
	s_wait_dscnt 0x0
	v_min_i32_e32 v2, v12, v2
	ds_bpermute_b32 v28, v23, v2
	v_and_b32_e32 v2, 1, v13
	s_delay_alu instid0(VALU_DEP_1)
	v_cmp_eq_u32_e32 vcc_lo, 0, v2
	s_cbranch_vccnz .LBB114_25
; %bb.16:                               ;   in Loop: Header=BB114_7 Depth=1
	s_ashr_i32 s19, s18, 31
	v_dual_add_nc_u32 v2, s22, v14 :: v_dual_mov_b32 v16, s18
	s_mul_u64 s[34:35], s[16:17], s[18:19]
	s_delay_alu instid0(SALU_CYCLE_1) | instskip(NEXT) | instid1(SALU_CYCLE_1)
	s_lshl_b64 s[34:35], s[34:35], 3
	v_add_nc_u64_e32 v[14:15], s[34:35], v[8:9]
	v_add_nc_u64_e32 v[12:13], s[34:35], v[10:11]
	global_store_b32 v16, v2, s[10:11] scale_offset
	s_wait_xcnt 0x0
	s_and_saveexec_b32 s8, s13
	s_cbranch_execz .LBB114_20
; %bb.17:                               ;   in Loop: Header=BB114_7 Depth=1
	ds_load_b64 v[16:17], v24
	s_and_b32 vcc_lo, exec_lo, s23
	s_cbranch_vccz .LBB114_41
; %bb.18:                               ;   in Loop: Header=BB114_7 Depth=1
	v_lshl_add_u64 v[30:31], v[4:5], 3, v[14:15]
	s_wait_dscnt 0x0
	global_store_b64 v[30:31], v[16:17], off
	s_cbranch_execnz .LBB114_20
.LBB114_19:                             ;   in Loop: Header=BB114_7 Depth=1
	s_wait_dscnt 0x0
	global_store_b64 v[12:13], v[16:17], off
.LBB114_20:                             ;   in Loop: Header=BB114_7 Depth=1
	s_wait_xcnt 0x0
	s_or_b32 exec_lo, exec_lo, s8
	s_and_saveexec_b32 s8, s9
	s_cbranch_execz .LBB114_24
; %bb.21:                               ;   in Loop: Header=BB114_7 Depth=1
	s_wait_dscnt 0x0
	ds_load_b64 v[16:17], v24 offset:64
	s_and_not1_b32 vcc_lo, exec_lo, s23
	s_cbranch_vccnz .LBB114_42
; %bb.22:                               ;   in Loop: Header=BB114_7 Depth=1
	v_lshl_add_u64 v[14:15], v[6:7], 3, v[14:15]
	s_wait_dscnt 0x0
	global_store_b64 v[14:15], v[16:17], off
	s_cbranch_execnz .LBB114_24
.LBB114_23:                             ;   in Loop: Header=BB114_7 Depth=1
	s_wait_dscnt 0x0
	global_store_b64 v[12:13], v[16:17], off offset:64
.LBB114_24:                             ;   in Loop: Header=BB114_7 Depth=1
	s_wait_xcnt 0x0
	s_or_b32 exec_lo, exec_lo, s8
	s_mov_b32 s8, 1
.LBB114_25:                             ;   in Loop: Header=BB114_7 Depth=1
	s_wait_storecnt_dscnt 0x0
	s_barrier_signal -1
	s_barrier_wait -1
	ds_store_b32 v21, v29
	s_wait_dscnt 0x0
	s_barrier_signal -1
	s_barrier_wait -1
	s_and_saveexec_b32 s19, s0
	s_cbranch_execz .LBB114_27
; %bb.26:                               ;   in Loop: Header=BB114_7 Depth=1
	ds_load_2addr_stride64_b32 v[12:13], v21 offset1:2
	s_wait_dscnt 0x0
	v_min_i32_e32 v2, v13, v12
	ds_store_b32 v21, v2
.LBB114_27:                             ;   in Loop: Header=BB114_7 Depth=1
	s_or_b32 exec_lo, exec_lo, s19
	s_wait_dscnt 0x0
	s_barrier_signal -1
	s_barrier_wait -1
	s_and_saveexec_b32 s19, s1
	s_cbranch_execz .LBB114_29
; %bb.28:                               ;   in Loop: Header=BB114_7 Depth=1
	ds_load_2addr_stride64_b32 v[12:13], v21 offset1:1
	s_wait_dscnt 0x0
	v_min_i32_e32 v2, v13, v12
	ds_store_b32 v21, v2
.LBB114_29:                             ;   in Loop: Header=BB114_7 Depth=1
	s_or_b32 exec_lo, exec_lo, s19
	s_wait_dscnt 0x0
	s_barrier_signal -1
	s_barrier_wait -1
	s_and_saveexec_b32 s19, s2
	s_cbranch_execz .LBB114_31
; %bb.30:                               ;   in Loop: Header=BB114_7 Depth=1
	ds_load_2addr_b32 v[12:13], v21 offset1:32
	s_wait_dscnt 0x0
	v_min_i32_e32 v2, v13, v12
	ds_store_b32 v21, v2
.LBB114_31:                             ;   in Loop: Header=BB114_7 Depth=1
	s_or_b32 exec_lo, exec_lo, s19
	s_wait_dscnt 0x0
	s_barrier_signal -1
	s_barrier_wait -1
	s_and_saveexec_b32 s19, s3
	s_cbranch_execz .LBB114_33
; %bb.32:                               ;   in Loop: Header=BB114_7 Depth=1
	ds_load_2addr_b32 v[12:13], v21 offset1:16
	s_wait_dscnt 0x0
	v_min_i32_e32 v2, v13, v12
	ds_store_b32 v21, v2
.LBB114_33:                             ;   in Loop: Header=BB114_7 Depth=1
	s_or_b32 exec_lo, exec_lo, s19
	s_wait_dscnt 0x0
	s_barrier_signal -1
	s_barrier_wait -1
	s_and_saveexec_b32 s19, s4
	s_cbranch_execz .LBB114_35
; %bb.34:                               ;   in Loop: Header=BB114_7 Depth=1
	ds_load_2addr_b32 v[12:13], v21 offset1:8
	s_wait_dscnt 0x0
	v_min_i32_e32 v2, v13, v12
	ds_store_b32 v21, v2
.LBB114_35:                             ;   in Loop: Header=BB114_7 Depth=1
	s_or_b32 exec_lo, exec_lo, s19
	s_wait_dscnt 0x0
	s_barrier_signal -1
	s_barrier_wait -1
	s_and_saveexec_b32 s19, s5
	s_cbranch_execz .LBB114_37
; %bb.36:                               ;   in Loop: Header=BB114_7 Depth=1
	ds_load_2addr_b32 v[12:13], v21 offset1:4
	s_wait_dscnt 0x0
	v_min_i32_e32 v2, v13, v12
	ds_store_b32 v21, v2
.LBB114_37:                             ;   in Loop: Header=BB114_7 Depth=1
	s_or_b32 exec_lo, exec_lo, s19
	s_wait_dscnt 0x0
	s_barrier_signal -1
	s_barrier_wait -1
	s_and_saveexec_b32 s19, s6
	s_cbranch_execz .LBB114_39
; %bb.38:                               ;   in Loop: Header=BB114_7 Depth=1
	ds_load_2addr_b32 v[12:13], v21 offset1:2
	s_wait_dscnt 0x0
	v_min_i32_e32 v2, v13, v12
	ds_store_b32 v21, v2
.LBB114_39:                             ;   in Loop: Header=BB114_7 Depth=1
	s_or_b32 exec_lo, exec_lo, s19
	s_wait_dscnt 0x0
	s_barrier_signal -1
	s_barrier_wait -1
	s_and_saveexec_b32 s19, s7
	s_cbranch_execz .LBB114_6
; %bb.40:                               ;   in Loop: Header=BB114_7 Depth=1
	ds_load_b64 v[12:13], v3
	s_wait_dscnt 0x0
	v_min_i32_e32 v2, v13, v12
	ds_store_b32 v3, v2
	s_branch .LBB114_6
.LBB114_41:                             ;   in Loop: Header=BB114_7 Depth=1
	s_branch .LBB114_19
.LBB114_42:                             ;   in Loop: Header=BB114_7 Depth=1
	s_branch .LBB114_23
.LBB114_43:
	s_endpgm
	.section	.rodata,"a",@progbits
	.p2align	6, 0x0
	.amdhsa_kernel _ZN9rocsparseL40csr2gebsr_block_per_row_multipass_kernelILj256ELj32ELj16EdEEv20rocsparse_direction_iiiiii21rocsparse_index_base_PKT2_PKiS7_S2_PS3_PiS9_
		.amdhsa_group_segment_fixed_size 4104
		.amdhsa_private_segment_fixed_size 0
		.amdhsa_kernarg_size 88
		.amdhsa_user_sgpr_count 2
		.amdhsa_user_sgpr_dispatch_ptr 0
		.amdhsa_user_sgpr_queue_ptr 0
		.amdhsa_user_sgpr_kernarg_segment_ptr 1
		.amdhsa_user_sgpr_dispatch_id 0
		.amdhsa_user_sgpr_kernarg_preload_length 0
		.amdhsa_user_sgpr_kernarg_preload_offset 0
		.amdhsa_user_sgpr_private_segment_size 0
		.amdhsa_wavefront_size32 1
		.amdhsa_uses_dynamic_stack 0
		.amdhsa_enable_private_segment 0
		.amdhsa_system_sgpr_workgroup_id_x 1
		.amdhsa_system_sgpr_workgroup_id_y 0
		.amdhsa_system_sgpr_workgroup_id_z 0
		.amdhsa_system_sgpr_workgroup_info 0
		.amdhsa_system_vgpr_workitem_id 0
		.amdhsa_next_free_vgpr 32
		.amdhsa_next_free_sgpr 36
		.amdhsa_named_barrier_count 0
		.amdhsa_reserve_vcc 1
		.amdhsa_float_round_mode_32 0
		.amdhsa_float_round_mode_16_64 0
		.amdhsa_float_denorm_mode_32 3
		.amdhsa_float_denorm_mode_16_64 3
		.amdhsa_fp16_overflow 0
		.amdhsa_memory_ordered 1
		.amdhsa_forward_progress 1
		.amdhsa_inst_pref_size 15
		.amdhsa_round_robin_scheduling 0
		.amdhsa_exception_fp_ieee_invalid_op 0
		.amdhsa_exception_fp_denorm_src 0
		.amdhsa_exception_fp_ieee_div_zero 0
		.amdhsa_exception_fp_ieee_overflow 0
		.amdhsa_exception_fp_ieee_underflow 0
		.amdhsa_exception_fp_ieee_inexact 0
		.amdhsa_exception_int_div_zero 0
	.end_amdhsa_kernel
	.section	.text._ZN9rocsparseL40csr2gebsr_block_per_row_multipass_kernelILj256ELj32ELj16EdEEv20rocsparse_direction_iiiiii21rocsparse_index_base_PKT2_PKiS7_S2_PS3_PiS9_,"axG",@progbits,_ZN9rocsparseL40csr2gebsr_block_per_row_multipass_kernelILj256ELj32ELj16EdEEv20rocsparse_direction_iiiiii21rocsparse_index_base_PKT2_PKiS7_S2_PS3_PiS9_,comdat
.Lfunc_end114:
	.size	_ZN9rocsparseL40csr2gebsr_block_per_row_multipass_kernelILj256ELj32ELj16EdEEv20rocsparse_direction_iiiiii21rocsparse_index_base_PKT2_PKiS7_S2_PS3_PiS9_, .Lfunc_end114-_ZN9rocsparseL40csr2gebsr_block_per_row_multipass_kernelILj256ELj32ELj16EdEEv20rocsparse_direction_iiiiii21rocsparse_index_base_PKT2_PKiS7_S2_PS3_PiS9_
                                        ; -- End function
	.set _ZN9rocsparseL40csr2gebsr_block_per_row_multipass_kernelILj256ELj32ELj16EdEEv20rocsparse_direction_iiiiii21rocsparse_index_base_PKT2_PKiS7_S2_PS3_PiS9_.num_vgpr, 32
	.set _ZN9rocsparseL40csr2gebsr_block_per_row_multipass_kernelILj256ELj32ELj16EdEEv20rocsparse_direction_iiiiii21rocsparse_index_base_PKT2_PKiS7_S2_PS3_PiS9_.num_agpr, 0
	.set _ZN9rocsparseL40csr2gebsr_block_per_row_multipass_kernelILj256ELj32ELj16EdEEv20rocsparse_direction_iiiiii21rocsparse_index_base_PKT2_PKiS7_S2_PS3_PiS9_.numbered_sgpr, 36
	.set _ZN9rocsparseL40csr2gebsr_block_per_row_multipass_kernelILj256ELj32ELj16EdEEv20rocsparse_direction_iiiiii21rocsparse_index_base_PKT2_PKiS7_S2_PS3_PiS9_.num_named_barrier, 0
	.set _ZN9rocsparseL40csr2gebsr_block_per_row_multipass_kernelILj256ELj32ELj16EdEEv20rocsparse_direction_iiiiii21rocsparse_index_base_PKT2_PKiS7_S2_PS3_PiS9_.private_seg_size, 0
	.set _ZN9rocsparseL40csr2gebsr_block_per_row_multipass_kernelILj256ELj32ELj16EdEEv20rocsparse_direction_iiiiii21rocsparse_index_base_PKT2_PKiS7_S2_PS3_PiS9_.uses_vcc, 1
	.set _ZN9rocsparseL40csr2gebsr_block_per_row_multipass_kernelILj256ELj32ELj16EdEEv20rocsparse_direction_iiiiii21rocsparse_index_base_PKT2_PKiS7_S2_PS3_PiS9_.uses_flat_scratch, 0
	.set _ZN9rocsparseL40csr2gebsr_block_per_row_multipass_kernelILj256ELj32ELj16EdEEv20rocsparse_direction_iiiiii21rocsparse_index_base_PKT2_PKiS7_S2_PS3_PiS9_.has_dyn_sized_stack, 0
	.set _ZN9rocsparseL40csr2gebsr_block_per_row_multipass_kernelILj256ELj32ELj16EdEEv20rocsparse_direction_iiiiii21rocsparse_index_base_PKT2_PKiS7_S2_PS3_PiS9_.has_recursion, 0
	.set _ZN9rocsparseL40csr2gebsr_block_per_row_multipass_kernelILj256ELj32ELj16EdEEv20rocsparse_direction_iiiiii21rocsparse_index_base_PKT2_PKiS7_S2_PS3_PiS9_.has_indirect_call, 0
	.section	.AMDGPU.csdata,"",@progbits
; Kernel info:
; codeLenInByte = 1836
; TotalNumSgprs: 38
; NumVgprs: 32
; ScratchSize: 0
; MemoryBound: 0
; FloatMode: 240
; IeeeMode: 1
; LDSByteSize: 4104 bytes/workgroup (compile time only)
; SGPRBlocks: 0
; VGPRBlocks: 1
; NumSGPRsForWavesPerEU: 38
; NumVGPRsForWavesPerEU: 32
; NamedBarCnt: 0
; Occupancy: 16
; WaveLimiterHint : 0
; COMPUTE_PGM_RSRC2:SCRATCH_EN: 0
; COMPUTE_PGM_RSRC2:USER_SGPR: 2
; COMPUTE_PGM_RSRC2:TRAP_HANDLER: 0
; COMPUTE_PGM_RSRC2:TGID_X_EN: 1
; COMPUTE_PGM_RSRC2:TGID_Y_EN: 0
; COMPUTE_PGM_RSRC2:TGID_Z_EN: 0
; COMPUTE_PGM_RSRC2:TIDIG_COMP_CNT: 0
	.section	.text._ZN9rocsparseL40csr2gebsr_block_per_row_multipass_kernelILj256ELj32ELj32EdEEv20rocsparse_direction_iiiiii21rocsparse_index_base_PKT2_PKiS7_S2_PS3_PiS9_,"axG",@progbits,_ZN9rocsparseL40csr2gebsr_block_per_row_multipass_kernelILj256ELj32ELj32EdEEv20rocsparse_direction_iiiiii21rocsparse_index_base_PKT2_PKiS7_S2_PS3_PiS9_,comdat
	.globl	_ZN9rocsparseL40csr2gebsr_block_per_row_multipass_kernelILj256ELj32ELj32EdEEv20rocsparse_direction_iiiiii21rocsparse_index_base_PKT2_PKiS7_S2_PS3_PiS9_ ; -- Begin function _ZN9rocsparseL40csr2gebsr_block_per_row_multipass_kernelILj256ELj32ELj32EdEEv20rocsparse_direction_iiiiii21rocsparse_index_base_PKT2_PKiS7_S2_PS3_PiS9_
	.p2align	8
	.type	_ZN9rocsparseL40csr2gebsr_block_per_row_multipass_kernelILj256ELj32ELj32EdEEv20rocsparse_direction_iiiiii21rocsparse_index_base_PKT2_PKiS7_S2_PS3_PiS9_,@function
_ZN9rocsparseL40csr2gebsr_block_per_row_multipass_kernelILj256ELj32ELj32EdEEv20rocsparse_direction_iiiiii21rocsparse_index_base_PKT2_PKiS7_S2_PS3_PiS9_: ; @_ZN9rocsparseL40csr2gebsr_block_per_row_multipass_kernelILj256ELj32ELj32EdEEv20rocsparse_direction_iiiiii21rocsparse_index_base_PKT2_PKiS7_S2_PS3_PiS9_
; %bb.0:
	s_clause 0x1
	s_load_b128 s[12:15], s[0:1], 0x10
	s_load_b64 s[28:29], s[0:1], 0x0
	s_bfe_u32 s2, ttmp6, 0x4000c
	s_and_b32 s3, ttmp6, 15
	s_add_co_i32 s2, s2, 1
	s_getreg_b32 s4, hwreg(HW_REG_IB_STS2, 6, 4)
	s_mul_i32 s2, ttmp9, s2
	v_dual_mov_b32 v22, 0 :: v_dual_lshrrev_b32 v1, 3, v0
	s_add_co_i32 s3, s3, s2
	s_cmp_eq_u32 s4, 0
	s_load_b64 s[6:7], s[0:1], 0x28
	s_cselect_b32 s4, ttmp9, s3
	v_mov_b32_e32 v30, 0
	s_wait_kmcnt 0x0
	v_mad_u32 v2, s13, s4, v1
	v_cmp_gt_i32_e32 vcc_lo, s13, v1
	s_delay_alu instid0(VALU_DEP_2) | instskip(SKIP_1) | instid1(SALU_CYCLE_1)
	v_cmp_gt_i32_e64 s2, s29, v2
	s_and_b32 s2, vcc_lo, s2
	s_and_saveexec_b32 s3, s2
	s_cbranch_execnz .LBB115_3
; %bb.1:
	s_or_b32 exec_lo, exec_lo, s3
	s_and_saveexec_b32 s3, s2
	s_cbranch_execnz .LBB115_4
.LBB115_2:
	s_or_b32 exec_lo, exec_lo, s3
	s_cmp_lt_i32 s12, 1
	s_cbranch_scc0 .LBB115_5
	s_branch .LBB115_53
.LBB115_3:
	global_load_b32 v3, v2, s[6:7] scale_offset
	s_wait_loadcnt 0x0
	v_subrev_nc_u32_e32 v30, s15, v3
	s_or_b32 exec_lo, exec_lo, s3
	s_and_saveexec_b32 s3, s2
	s_cbranch_execz .LBB115_2
.LBB115_4:
	global_load_b32 v2, v2, s[6:7] offset:4 scale_offset
	s_wait_loadcnt 0x0
	v_subrev_nc_u32_e32 v22, s15, v2
	s_or_b32 exec_lo, exec_lo, s3
	s_cmp_lt_i32 s12, 1
	s_cbranch_scc1 .LBB115_53
.LBB115_5:
	s_clause 0x3
	s_load_b128 s[8:11], s[0:1], 0x40
	s_load_b64 s[20:21], s[0:1], 0x50
	s_load_b96 s[16:18], s[0:1], 0x30
	s_load_b64 s[22:23], s[0:1], 0x20
	s_ashr_i32 s5, s4, 31
	v_mbcnt_lo_u32_b32 v5, -1, 0
	s_lshl_b64 s[4:5], s[4:5], 2
	v_dual_lshlrev_b32 v24, 8, v1 :: v_dual_bitop2_b32 v23, 7, v0 bitop3:0x40
	v_dual_mov_b32 v3, 0 :: v_dual_lshlrev_b32 v2, 3, v1
	v_mul_lo_u32 v4, s14, v1
	v_dual_lshlrev_b32 v25, 2, v0 :: v_dual_bitop2_b32 v1, 4, v5 bitop3:0x14
	s_delay_alu instid0(VALU_DEP_4) | instskip(SKIP_2) | instid1(VALU_DEP_2)
	v_dual_lshlrev_b32 v14, 3, v23 :: v_dual_bitop2_b32 v6, 2, v5 bitop3:0x14
	s_mov_b32 s25, 0
	s_mov_b32 s24, s13
	v_cmp_gt_i32_e64 s6, 32, v1
	s_mov_b32 s26, s14
	s_wait_kmcnt 0x0
	s_add_nc_u64 s[4:5], s[10:11], s[4:5]
	v_lshl_or_b32 v26, v5, 2, 28
	s_load_b32 s7, s[4:5], 0x0
	v_cndmask_b32_e64 v1, v5, v1, s6
	v_cmp_gt_i32_e64 s6, 32, v6
	v_xor_b32_e32 v7, 1, v5
	v_mul_lo_u32 v8, v23, s13
	v_cmp_gt_u32_e64 s0, 0x80, v0
	s_delay_alu instid0(VALU_DEP_4) | instskip(NEXT) | instid1(VALU_DEP_4)
	v_dual_mov_b32 v15, v3 :: v_dual_cndmask_b32 v6, v5, v6, s6
	v_cmp_gt_i32_e64 s6, 32, v7
	v_cmp_gt_u32_e64 s1, 64, v0
	v_cmp_gt_u32_e64 s2, 32, v0
	v_cmp_gt_u32_e64 s3, 16, v0
	s_delay_alu instid0(VALU_DEP_4)
	v_dual_lshlrev_b32 v28, 2, v6 :: v_dual_cndmask_b32 v7, v5, v7, s6
	v_dual_ashrrev_i32 v5, 31, v4 :: v_dual_lshlrev_b32 v27, 2, v1
	v_or_b32_e32 v1, 8, v23
	s_wait_xcnt 0x0
	v_cmp_gt_u32_e64 s4, 8, v0
	v_dual_lshlrev_b32 v29, 2, v7 :: v_dual_mov_b32 v9, v3
	s_wait_kmcnt 0x0
	s_sub_co_i32 s10, s7, s18
	s_cmp_lg_u32 s28, 0
	v_lshl_add_u64 v[6:7], v[4:5], 3, s[8:9]
	s_cselect_b32 s19, -1, 0
	s_ashr_i32 s27, s14, 31
	v_add_nc_u64_e32 v[4:5], s[8:9], v[2:3]
	s_mul_u64 s[28:29], s[26:27], s[24:25]
	s_abs_i32 s26, s14
	v_cmp_gt_u32_e64 s9, s14, v1
	s_cvt_f32_u32 s11, s26
	v_cmp_gt_u32_e64 s5, 4, v0
	v_cmp_gt_u32_e64 s8, s14, v23
	;; [unrolled: 1-line block ×3, first 2 shown]
	v_rcp_iflag_f32_e32 v1, s11
	s_lshl_b32 s11, s13, 3
	v_cmp_eq_u32_e64 s7, 0, v0
	v_dual_add_nc_u32 v0, s11, v8 :: v_dual_bitop2_b32 v2, 16, v23 bitop3:0x54
	s_and_b32 s30, vcc_lo, s8
	v_add_nc_u64_e32 v[6:7], v[6:7], v[14:15]
	s_delay_alu instid0(TRANS32_DEP_1)
	v_readfirstlane_b32 s13, v1
	v_mov_b32_e32 v1, v3
	v_cmp_gt_u32_e64 s8, s14, v2
	v_dual_add_nc_u32 v10, s11, v0 :: v_dual_bitop2_b32 v2, 24, v23 bitop3:0x54
	s_mul_f32 s24, s13, 0x4f7ffffe
	v_mov_b32_e32 v11, v3
	s_and_b32 s13, vcc_lo, s8
	s_delay_alu instid0(VALU_DEP_2)
	v_cmp_gt_u32_e64 s8, s14, v2
	s_cvt_u32_f32 s24, s24
	v_add_nc_u32_e32 v12, s11, v10
	s_sub_co_i32 s11, 0, s26
	v_dual_mov_b32 v13, v3 :: v_dual_add_nc_u32 v31, v14, v24
	v_mov_b64_e32 v[14:15], 0
	s_mul_i32 s11, s11, s24
	v_dual_mov_b32 v32, 1 :: v_dual_mov_b32 v18, 0
	s_mul_hi_u32 s11, s24, s11
	s_and_b32 s9, vcc_lo, s9
	s_and_b32 s31, vcc_lo, s8
	s_add_co_i32 s24, s24, s11
	s_branch .LBB115_7
.LBB115_6:                              ;   in Loop: Header=BB115_7 Depth=1
	s_or_b32 exec_lo, exec_lo, s11
	s_wait_dscnt 0x0
	s_barrier_signal -1
	s_barrier_wait -1
	ds_load_b32 v18, v3
	s_add_co_i32 s10, s8, s10
	s_wait_dscnt 0x0
	s_barrier_signal -1
	s_barrier_wait -1
	v_cmp_gt_i32_e32 vcc_lo, s12, v18
	s_cbranch_vccz .LBB115_53
.LBB115_7:                              ; =>This Loop Header: Depth=1
                                        ;     Child Loop BB115_10 Depth 2
	v_dual_mov_b32 v33, s12 :: v_dual_add_nc_u32 v16, v30, v23
	v_mov_b32_e32 v17, v22
	s_mov_b32 s11, exec_lo
	ds_store_b8 v3, v3 offset:8192
	ds_store_2addr_b64 v31, v[14:15], v[14:15] offset1:8
	ds_store_2addr_b64 v31, v[14:15], v[14:15] offset0:16 offset1:24
	s_wait_dscnt 0x0
	s_barrier_signal -1
	s_barrier_wait -1
	v_cmpx_lt_i32_e64 v16, v22
	s_cbranch_execz .LBB115_15
; %bb.8:                                ;   in Loop: Header=BB115_7 Depth=1
	v_mul_lo_u32 v19, v18, s14
	v_dual_mov_b32 v33, s12 :: v_dual_mov_b32 v17, v22
	s_mov_b32 s33, 0
	s_branch .LBB115_10
.LBB115_9:                              ;   in Loop: Header=BB115_10 Depth=2
	s_wait_xcnt 0x0
	s_or_b32 exec_lo, exec_lo, s8
	v_add_nc_u32_e32 v16, 8, v16
	s_xor_b32 s34, vcc_lo, -1
	s_delay_alu instid0(VALU_DEP_1) | instskip(SKIP_1) | instid1(SALU_CYCLE_1)
	v_cmp_ge_i32_e64 s8, v16, v22
	s_or_b32 s8, s34, s8
	s_and_b32 s8, exec_lo, s8
	s_delay_alu instid0(SALU_CYCLE_1) | instskip(NEXT) | instid1(SALU_CYCLE_1)
	s_or_b32 s33, s8, s33
	s_and_not1_b32 exec_lo, exec_lo, s33
	s_cbranch_execz .LBB115_14
.LBB115_10:                             ;   Parent Loop BB115_7 Depth=1
                                        ; =>  This Inner Loop Header: Depth=2
	global_load_b32 v2, v16, s[16:17] scale_offset
	s_wait_loadcnt 0x0
	v_subrev_nc_u32_e32 v20, s15, v2
	s_delay_alu instid0(VALU_DEP_1) | instskip(NEXT) | instid1(VALU_DEP_1)
	v_sub_nc_u32_e32 v2, 0, v20
	v_max_i32_e32 v2, v20, v2
	s_delay_alu instid0(VALU_DEP_1) | instskip(SKIP_1) | instid1(VALU_DEP_1)
	v_mul_u64_e32 v[34:35], s[24:25], v[2:3]
	v_ashrrev_i32_e32 v34, 31, v20
	v_xor_b32_e32 v34, s27, v34
	s_delay_alu instid0(VALU_DEP_3) | instskip(NEXT) | instid1(VALU_DEP_1)
	v_mul_lo_u32 v21, v35, s26
	v_dual_sub_nc_u32 v2, v2, v21 :: v_dual_add_nc_u32 v21, 1, v35
	s_delay_alu instid0(VALU_DEP_1) | instskip(SKIP_1) | instid1(VALU_DEP_2)
	v_subrev_nc_u32_e32 v30, s26, v2
	v_cmp_le_u32_e32 vcc_lo, s26, v2
	v_dual_cndmask_b32 v21, v35, v21 :: v_dual_cndmask_b32 v2, v2, v30
	s_delay_alu instid0(VALU_DEP_1) | instskip(NEXT) | instid1(VALU_DEP_2)
	v_add_nc_u32_e32 v30, 1, v21
	v_cmp_le_u32_e32 vcc_lo, s26, v2
	s_delay_alu instid0(VALU_DEP_2) | instskip(NEXT) | instid1(VALU_DEP_1)
	v_cndmask_b32_e32 v2, v21, v30, vcc_lo
	v_xor_b32_e32 v2, v2, v34
	s_delay_alu instid0(VALU_DEP_1) | instskip(NEXT) | instid1(VALU_DEP_1)
	v_dual_mov_b32 v2, v17 :: v_dual_sub_nc_u32 v21, v2, v34
	v_cmp_ne_u32_e64 s8, v21, v18
	v_cmp_eq_u32_e32 vcc_lo, v21, v18
	s_wait_xcnt 0x0
	s_and_saveexec_b32 s34, s8
	s_delay_alu instid0(SALU_CYCLE_1)
	s_xor_b32 s8, exec_lo, s34
; %bb.11:                               ;   in Loop: Header=BB115_10 Depth=2
	v_min_i32_e32 v33, v21, v33
                                        ; implicit-def: $vgpr20
                                        ; implicit-def: $vgpr2
; %bb.12:                               ;   in Loop: Header=BB115_10 Depth=2
	s_or_saveexec_b32 s8, s8
	v_mov_b32_e32 v17, v16
	s_xor_b32 exec_lo, exec_lo, s8
	s_cbranch_execz .LBB115_9
; %bb.13:                               ;   in Loop: Header=BB115_10 Depth=2
	v_ashrrev_i32_e32 v17, 31, v16
	s_delay_alu instid0(VALU_DEP_1)
	v_lshl_add_u64 v[34:35], v[16:17], 3, s[22:23]
	v_sub_nc_u32_e32 v17, v20, v19
	global_load_b64 v[34:35], v[34:35], off
	v_lshl_add_u32 v20, v17, 3, v24
	v_mov_b32_e32 v17, v2
	ds_store_b8 v3, v32 offset:8192
	s_wait_loadcnt 0x0
	ds_store_b64 v20, v[34:35]
	s_branch .LBB115_9
.LBB115_14:                             ;   in Loop: Header=BB115_7 Depth=1
	s_or_b32 exec_lo, exec_lo, s33
.LBB115_15:                             ;   in Loop: Header=BB115_7 Depth=1
	s_delay_alu instid0(SALU_CYCLE_1)
	s_or_b32 exec_lo, exec_lo, s11
	ds_bpermute_b32 v2, v27, v17
	s_wait_dscnt 0x0
	s_barrier_signal -1
	s_barrier_wait -1
	s_mov_b32 s8, 0
	v_min_i32_e32 v2, v2, v17
	ds_load_u8 v17, v3 offset:8192
	ds_bpermute_b32 v16, v28, v2
	s_wait_dscnt 0x0
	v_min_i32_e32 v2, v16, v2
	ds_bpermute_b32 v16, v29, v2
	s_wait_dscnt 0x0
	v_min_i32_e32 v2, v16, v2
	ds_bpermute_b32 v30, v26, v2
	v_and_b32_e32 v2, 1, v17
	s_delay_alu instid0(VALU_DEP_1)
	v_cmp_eq_u32_e32 vcc_lo, 0, v2
	s_cbranch_vccnz .LBB115_33
; %bb.16:                               ;   in Loop: Header=BB115_7 Depth=1
	s_ashr_i32 s11, s10, 31
	v_dual_add_nc_u32 v2, s18, v18 :: v_dual_mov_b32 v20, s10
	s_mul_u64 s[34:35], s[28:29], s[10:11]
	s_delay_alu instid0(SALU_CYCLE_1) | instskip(NEXT) | instid1(SALU_CYCLE_1)
	s_lshl_b64 s[34:35], s[34:35], 3
	v_add_nc_u64_e32 v[18:19], s[34:35], v[4:5]
	v_add_nc_u64_e32 v[16:17], s[34:35], v[6:7]
	global_store_b32 v20, v2, s[20:21] scale_offset
	s_wait_xcnt 0x0
	s_and_saveexec_b32 s8, s30
	s_cbranch_execz .LBB115_20
; %bb.17:                               ;   in Loop: Header=BB115_7 Depth=1
	ds_load_b64 v[20:21], v31
	s_and_b32 vcc_lo, exec_lo, s19
	s_cbranch_vccz .LBB115_49
; %bb.18:                               ;   in Loop: Header=BB115_7 Depth=1
	v_lshl_add_u64 v[34:35], v[8:9], 3, v[18:19]
	s_wait_dscnt 0x0
	global_store_b64 v[34:35], v[20:21], off
	s_cbranch_execnz .LBB115_20
.LBB115_19:                             ;   in Loop: Header=BB115_7 Depth=1
	s_wait_dscnt 0x0
	global_store_b64 v[16:17], v[20:21], off
.LBB115_20:                             ;   in Loop: Header=BB115_7 Depth=1
	s_wait_xcnt 0x0
	s_or_b32 exec_lo, exec_lo, s8
	s_and_saveexec_b32 s8, s9
	s_cbranch_execz .LBB115_24
; %bb.21:                               ;   in Loop: Header=BB115_7 Depth=1
	s_wait_dscnt 0x0
	ds_load_b64 v[20:21], v31 offset:64
	s_and_not1_b32 vcc_lo, exec_lo, s19
	s_cbranch_vccnz .LBB115_50
; %bb.22:                               ;   in Loop: Header=BB115_7 Depth=1
	v_lshl_add_u64 v[34:35], v[0:1], 3, v[18:19]
	s_wait_dscnt 0x0
	global_store_b64 v[34:35], v[20:21], off
	s_cbranch_execnz .LBB115_24
.LBB115_23:                             ;   in Loop: Header=BB115_7 Depth=1
	s_wait_dscnt 0x0
	global_store_b64 v[16:17], v[20:21], off offset:64
.LBB115_24:                             ;   in Loop: Header=BB115_7 Depth=1
	s_wait_xcnt 0x0
	s_or_b32 exec_lo, exec_lo, s8
	s_and_saveexec_b32 s8, s13
	s_cbranch_execz .LBB115_28
; %bb.25:                               ;   in Loop: Header=BB115_7 Depth=1
	s_wait_dscnt 0x0
	ds_load_b64 v[20:21], v31 offset:128
	s_and_not1_b32 vcc_lo, exec_lo, s19
	s_cbranch_vccnz .LBB115_51
; %bb.26:                               ;   in Loop: Header=BB115_7 Depth=1
	v_lshl_add_u64 v[34:35], v[10:11], 3, v[18:19]
	s_wait_dscnt 0x0
	global_store_b64 v[34:35], v[20:21], off
	s_cbranch_execnz .LBB115_28
.LBB115_27:                             ;   in Loop: Header=BB115_7 Depth=1
	s_wait_dscnt 0x0
	global_store_b64 v[16:17], v[20:21], off offset:128
.LBB115_28:                             ;   in Loop: Header=BB115_7 Depth=1
	s_wait_xcnt 0x0
	s_or_b32 exec_lo, exec_lo, s8
	s_and_saveexec_b32 s8, s31
	s_cbranch_execz .LBB115_32
; %bb.29:                               ;   in Loop: Header=BB115_7 Depth=1
	s_wait_dscnt 0x0
	ds_load_b64 v[20:21], v31 offset:192
	s_and_not1_b32 vcc_lo, exec_lo, s19
	s_cbranch_vccnz .LBB115_52
; %bb.30:                               ;   in Loop: Header=BB115_7 Depth=1
	v_lshl_add_u64 v[18:19], v[12:13], 3, v[18:19]
	s_wait_dscnt 0x0
	global_store_b64 v[18:19], v[20:21], off
	s_cbranch_execnz .LBB115_32
.LBB115_31:                             ;   in Loop: Header=BB115_7 Depth=1
	s_wait_dscnt 0x0
	global_store_b64 v[16:17], v[20:21], off offset:192
.LBB115_32:                             ;   in Loop: Header=BB115_7 Depth=1
	s_wait_xcnt 0x0
	s_or_b32 exec_lo, exec_lo, s8
	s_mov_b32 s8, 1
.LBB115_33:                             ;   in Loop: Header=BB115_7 Depth=1
	s_wait_storecnt_dscnt 0x0
	s_barrier_signal -1
	s_barrier_wait -1
	ds_store_b32 v25, v33
	s_wait_dscnt 0x0
	s_barrier_signal -1
	s_barrier_wait -1
	s_and_saveexec_b32 s11, s0
	s_cbranch_execz .LBB115_35
; %bb.34:                               ;   in Loop: Header=BB115_7 Depth=1
	ds_load_2addr_stride64_b32 v[16:17], v25 offset1:2
	s_wait_dscnt 0x0
	v_min_i32_e32 v2, v17, v16
	ds_store_b32 v25, v2
.LBB115_35:                             ;   in Loop: Header=BB115_7 Depth=1
	s_or_b32 exec_lo, exec_lo, s11
	s_wait_dscnt 0x0
	s_barrier_signal -1
	s_barrier_wait -1
	s_and_saveexec_b32 s11, s1
	s_cbranch_execz .LBB115_37
; %bb.36:                               ;   in Loop: Header=BB115_7 Depth=1
	ds_load_2addr_stride64_b32 v[16:17], v25 offset1:1
	s_wait_dscnt 0x0
	v_min_i32_e32 v2, v17, v16
	ds_store_b32 v25, v2
.LBB115_37:                             ;   in Loop: Header=BB115_7 Depth=1
	s_or_b32 exec_lo, exec_lo, s11
	s_wait_dscnt 0x0
	s_barrier_signal -1
	s_barrier_wait -1
	s_and_saveexec_b32 s11, s2
	s_cbranch_execz .LBB115_39
; %bb.38:                               ;   in Loop: Header=BB115_7 Depth=1
	ds_load_2addr_b32 v[16:17], v25 offset1:32
	s_wait_dscnt 0x0
	v_min_i32_e32 v2, v17, v16
	ds_store_b32 v25, v2
.LBB115_39:                             ;   in Loop: Header=BB115_7 Depth=1
	s_or_b32 exec_lo, exec_lo, s11
	s_wait_dscnt 0x0
	s_barrier_signal -1
	s_barrier_wait -1
	s_and_saveexec_b32 s11, s3
	s_cbranch_execz .LBB115_41
; %bb.40:                               ;   in Loop: Header=BB115_7 Depth=1
	ds_load_2addr_b32 v[16:17], v25 offset1:16
	s_wait_dscnt 0x0
	v_min_i32_e32 v2, v17, v16
	ds_store_b32 v25, v2
.LBB115_41:                             ;   in Loop: Header=BB115_7 Depth=1
	;; [unrolled: 12-line block ×5, first 2 shown]
	s_or_b32 exec_lo, exec_lo, s11
	s_wait_dscnt 0x0
	s_barrier_signal -1
	s_barrier_wait -1
	s_and_saveexec_b32 s11, s7
	s_cbranch_execz .LBB115_6
; %bb.48:                               ;   in Loop: Header=BB115_7 Depth=1
	ds_load_b64 v[16:17], v3
	s_wait_dscnt 0x0
	v_min_i32_e32 v2, v17, v16
	ds_store_b32 v3, v2
	s_branch .LBB115_6
.LBB115_49:                             ;   in Loop: Header=BB115_7 Depth=1
	s_branch .LBB115_19
.LBB115_50:                             ;   in Loop: Header=BB115_7 Depth=1
	s_branch .LBB115_23
.LBB115_51:                             ;   in Loop: Header=BB115_7 Depth=1
	s_branch .LBB115_27
.LBB115_52:                             ;   in Loop: Header=BB115_7 Depth=1
	s_branch .LBB115_31
.LBB115_53:
	s_endpgm
	.section	.rodata,"a",@progbits
	.p2align	6, 0x0
	.amdhsa_kernel _ZN9rocsparseL40csr2gebsr_block_per_row_multipass_kernelILj256ELj32ELj32EdEEv20rocsparse_direction_iiiiii21rocsparse_index_base_PKT2_PKiS7_S2_PS3_PiS9_
		.amdhsa_group_segment_fixed_size 8200
		.amdhsa_private_segment_fixed_size 0
		.amdhsa_kernarg_size 88
		.amdhsa_user_sgpr_count 2
		.amdhsa_user_sgpr_dispatch_ptr 0
		.amdhsa_user_sgpr_queue_ptr 0
		.amdhsa_user_sgpr_kernarg_segment_ptr 1
		.amdhsa_user_sgpr_dispatch_id 0
		.amdhsa_user_sgpr_kernarg_preload_length 0
		.amdhsa_user_sgpr_kernarg_preload_offset 0
		.amdhsa_user_sgpr_private_segment_size 0
		.amdhsa_wavefront_size32 1
		.amdhsa_uses_dynamic_stack 0
		.amdhsa_enable_private_segment 0
		.amdhsa_system_sgpr_workgroup_id_x 1
		.amdhsa_system_sgpr_workgroup_id_y 0
		.amdhsa_system_sgpr_workgroup_id_z 0
		.amdhsa_system_sgpr_workgroup_info 0
		.amdhsa_system_vgpr_workitem_id 0
		.amdhsa_next_free_vgpr 36
		.amdhsa_next_free_sgpr 36
		.amdhsa_named_barrier_count 0
		.amdhsa_reserve_vcc 1
		.amdhsa_float_round_mode_32 0
		.amdhsa_float_round_mode_16_64 0
		.amdhsa_float_denorm_mode_32 3
		.amdhsa_float_denorm_mode_16_64 3
		.amdhsa_fp16_overflow 0
		.amdhsa_memory_ordered 1
		.amdhsa_forward_progress 1
		.amdhsa_inst_pref_size 17
		.amdhsa_round_robin_scheduling 0
		.amdhsa_exception_fp_ieee_invalid_op 0
		.amdhsa_exception_fp_denorm_src 0
		.amdhsa_exception_fp_ieee_div_zero 0
		.amdhsa_exception_fp_ieee_overflow 0
		.amdhsa_exception_fp_ieee_underflow 0
		.amdhsa_exception_fp_ieee_inexact 0
		.amdhsa_exception_int_div_zero 0
	.end_amdhsa_kernel
	.section	.text._ZN9rocsparseL40csr2gebsr_block_per_row_multipass_kernelILj256ELj32ELj32EdEEv20rocsparse_direction_iiiiii21rocsparse_index_base_PKT2_PKiS7_S2_PS3_PiS9_,"axG",@progbits,_ZN9rocsparseL40csr2gebsr_block_per_row_multipass_kernelILj256ELj32ELj32EdEEv20rocsparse_direction_iiiiii21rocsparse_index_base_PKT2_PKiS7_S2_PS3_PiS9_,comdat
.Lfunc_end115:
	.size	_ZN9rocsparseL40csr2gebsr_block_per_row_multipass_kernelILj256ELj32ELj32EdEEv20rocsparse_direction_iiiiii21rocsparse_index_base_PKT2_PKiS7_S2_PS3_PiS9_, .Lfunc_end115-_ZN9rocsparseL40csr2gebsr_block_per_row_multipass_kernelILj256ELj32ELj32EdEEv20rocsparse_direction_iiiiii21rocsparse_index_base_PKT2_PKiS7_S2_PS3_PiS9_
                                        ; -- End function
	.set _ZN9rocsparseL40csr2gebsr_block_per_row_multipass_kernelILj256ELj32ELj32EdEEv20rocsparse_direction_iiiiii21rocsparse_index_base_PKT2_PKiS7_S2_PS3_PiS9_.num_vgpr, 36
	.set _ZN9rocsparseL40csr2gebsr_block_per_row_multipass_kernelILj256ELj32ELj32EdEEv20rocsparse_direction_iiiiii21rocsparse_index_base_PKT2_PKiS7_S2_PS3_PiS9_.num_agpr, 0
	.set _ZN9rocsparseL40csr2gebsr_block_per_row_multipass_kernelILj256ELj32ELj32EdEEv20rocsparse_direction_iiiiii21rocsparse_index_base_PKT2_PKiS7_S2_PS3_PiS9_.numbered_sgpr, 36
	.set _ZN9rocsparseL40csr2gebsr_block_per_row_multipass_kernelILj256ELj32ELj32EdEEv20rocsparse_direction_iiiiii21rocsparse_index_base_PKT2_PKiS7_S2_PS3_PiS9_.num_named_barrier, 0
	.set _ZN9rocsparseL40csr2gebsr_block_per_row_multipass_kernelILj256ELj32ELj32EdEEv20rocsparse_direction_iiiiii21rocsparse_index_base_PKT2_PKiS7_S2_PS3_PiS9_.private_seg_size, 0
	.set _ZN9rocsparseL40csr2gebsr_block_per_row_multipass_kernelILj256ELj32ELj32EdEEv20rocsparse_direction_iiiiii21rocsparse_index_base_PKT2_PKiS7_S2_PS3_PiS9_.uses_vcc, 1
	.set _ZN9rocsparseL40csr2gebsr_block_per_row_multipass_kernelILj256ELj32ELj32EdEEv20rocsparse_direction_iiiiii21rocsparse_index_base_PKT2_PKiS7_S2_PS3_PiS9_.uses_flat_scratch, 0
	.set _ZN9rocsparseL40csr2gebsr_block_per_row_multipass_kernelILj256ELj32ELj32EdEEv20rocsparse_direction_iiiiii21rocsparse_index_base_PKT2_PKiS7_S2_PS3_PiS9_.has_dyn_sized_stack, 0
	.set _ZN9rocsparseL40csr2gebsr_block_per_row_multipass_kernelILj256ELj32ELj32EdEEv20rocsparse_direction_iiiiii21rocsparse_index_base_PKT2_PKiS7_S2_PS3_PiS9_.has_recursion, 0
	.set _ZN9rocsparseL40csr2gebsr_block_per_row_multipass_kernelILj256ELj32ELj32EdEEv20rocsparse_direction_iiiiii21rocsparse_index_base_PKT2_PKiS7_S2_PS3_PiS9_.has_indirect_call, 0
	.section	.AMDGPU.csdata,"",@progbits
; Kernel info:
; codeLenInByte = 2076
; TotalNumSgprs: 38
; NumVgprs: 36
; ScratchSize: 0
; MemoryBound: 0
; FloatMode: 240
; IeeeMode: 1
; LDSByteSize: 8200 bytes/workgroup (compile time only)
; SGPRBlocks: 0
; VGPRBlocks: 2
; NumSGPRsForWavesPerEU: 38
; NumVGPRsForWavesPerEU: 36
; NamedBarCnt: 0
; Occupancy: 16
; WaveLimiterHint : 0
; COMPUTE_PGM_RSRC2:SCRATCH_EN: 0
; COMPUTE_PGM_RSRC2:USER_SGPR: 2
; COMPUTE_PGM_RSRC2:TRAP_HANDLER: 0
; COMPUTE_PGM_RSRC2:TGID_X_EN: 1
; COMPUTE_PGM_RSRC2:TGID_Y_EN: 0
; COMPUTE_PGM_RSRC2:TGID_Z_EN: 0
; COMPUTE_PGM_RSRC2:TIDIG_COMP_CNT: 0
	.section	.text._ZN9rocsparseL40csr2gebsr_block_per_row_multipass_kernelILj256ELj32ELj64EdEEv20rocsparse_direction_iiiiii21rocsparse_index_base_PKT2_PKiS7_S2_PS3_PiS9_,"axG",@progbits,_ZN9rocsparseL40csr2gebsr_block_per_row_multipass_kernelILj256ELj32ELj64EdEEv20rocsparse_direction_iiiiii21rocsparse_index_base_PKT2_PKiS7_S2_PS3_PiS9_,comdat
	.globl	_ZN9rocsparseL40csr2gebsr_block_per_row_multipass_kernelILj256ELj32ELj64EdEEv20rocsparse_direction_iiiiii21rocsparse_index_base_PKT2_PKiS7_S2_PS3_PiS9_ ; -- Begin function _ZN9rocsparseL40csr2gebsr_block_per_row_multipass_kernelILj256ELj32ELj64EdEEv20rocsparse_direction_iiiiii21rocsparse_index_base_PKT2_PKiS7_S2_PS3_PiS9_
	.p2align	8
	.type	_ZN9rocsparseL40csr2gebsr_block_per_row_multipass_kernelILj256ELj32ELj64EdEEv20rocsparse_direction_iiiiii21rocsparse_index_base_PKT2_PKiS7_S2_PS3_PiS9_,@function
_ZN9rocsparseL40csr2gebsr_block_per_row_multipass_kernelILj256ELj32ELj64EdEEv20rocsparse_direction_iiiiii21rocsparse_index_base_PKT2_PKiS7_S2_PS3_PiS9_: ; @_ZN9rocsparseL40csr2gebsr_block_per_row_multipass_kernelILj256ELj32ELj64EdEEv20rocsparse_direction_iiiiii21rocsparse_index_base_PKT2_PKiS7_S2_PS3_PiS9_
; %bb.0:
	s_clause 0x1
	s_load_b128 s[12:15], s[0:1], 0x10
	s_load_b64 s[28:29], s[0:1], 0x0
	s_bfe_u32 s2, ttmp6, 0x4000c
	s_and_b32 s3, ttmp6, 15
	s_add_co_i32 s2, s2, 1
	s_getreg_b32 s4, hwreg(HW_REG_IB_STS2, 6, 4)
	s_mul_i32 s2, ttmp9, s2
	v_dual_mov_b32 v30, 0 :: v_dual_lshrrev_b32 v1, 3, v0
	s_add_co_i32 s3, s3, s2
	s_cmp_eq_u32 s4, 0
	s_load_b64 s[6:7], s[0:1], 0x28
	s_cselect_b32 s4, ttmp9, s3
	v_mov_b32_e32 v38, 0
	s_wait_kmcnt 0x0
	v_mad_u32 v2, s13, s4, v1
	v_cmp_gt_i32_e32 vcc_lo, s13, v1
	s_delay_alu instid0(VALU_DEP_2) | instskip(SKIP_1) | instid1(SALU_CYCLE_1)
	v_cmp_gt_i32_e64 s2, s29, v2
	s_and_b32 s2, vcc_lo, s2
	s_and_saveexec_b32 s3, s2
	s_cbranch_execnz .LBB116_3
; %bb.1:
	s_or_b32 exec_lo, exec_lo, s3
	s_and_saveexec_b32 s3, s2
	s_cbranch_execnz .LBB116_4
.LBB116_2:
	s_or_b32 exec_lo, exec_lo, s3
	s_cmp_lt_i32 s12, 1
	s_cbranch_scc0 .LBB116_5
	s_branch .LBB116_73
.LBB116_3:
	global_load_b32 v3, v2, s[6:7] scale_offset
	s_wait_loadcnt 0x0
	v_subrev_nc_u32_e32 v38, s15, v3
	s_or_b32 exec_lo, exec_lo, s3
	s_and_saveexec_b32 s3, s2
	s_cbranch_execz .LBB116_2
.LBB116_4:
	global_load_b32 v2, v2, s[6:7] offset:4 scale_offset
	s_wait_loadcnt 0x0
	v_subrev_nc_u32_e32 v30, s15, v2
	s_or_b32 exec_lo, exec_lo, s3
	s_cmp_lt_i32 s12, 1
	s_cbranch_scc1 .LBB116_73
.LBB116_5:
	s_clause 0x3
	s_load_b128 s[8:11], s[0:1], 0x40
	s_load_b64 s[20:21], s[0:1], 0x50
	s_load_b96 s[16:18], s[0:1], 0x30
	s_load_b64 s[22:23], s[0:1], 0x20
	v_mbcnt_lo_u32_b32 v5, -1, 0
	s_ashr_i32 s5, s4, 31
	v_dual_lshlrev_b32 v32, 9, v1 :: v_dual_bitop2_b32 v31, 7, v0 bitop3:0x40
	s_lshl_b64 s[4:5], s[4:5], 2
	v_dual_mov_b32 v3, 0 :: v_dual_lshlrev_b32 v2, 3, v1
	v_mul_lo_u32 v4, s14, v1
	v_dual_lshlrev_b32 v33, 2, v0 :: v_dual_bitop2_b32 v1, 4, v5 bitop3:0x14
	v_dual_lshlrev_b32 v22, 3, v31 :: v_dual_bitop2_b32 v6, 2, v5 bitop3:0x14
	v_mul_lo_u32 v8, v31, s13
	v_lshl_or_b32 v34, v5, 2, 28
	s_delay_alu instid0(VALU_DEP_4)
	v_cmp_gt_i32_e64 s6, 32, v1
	s_wait_xcnt 0x0
	v_cmp_gt_u32_e64 s0, 0x80, v0
	s_wait_kmcnt 0x0
	s_add_nc_u64 s[4:5], s[10:11], s[4:5]
	v_cmp_gt_u32_e64 s1, 64, v0
	s_load_b32 s7, s[4:5], 0x0
	v_cndmask_b32_e64 v1, v5, v1, s6
	v_cmp_gt_i32_e64 s6, 32, v6
	v_xor_b32_e32 v7, 1, v5
	v_cmp_gt_u32_e64 s2, 32, v0
	v_cmp_gt_u32_e64 s3, 16, v0
	s_wait_xcnt 0x0
	v_cmp_gt_u32_e64 s4, 8, v0
	v_cndmask_b32_e64 v6, v5, v6, s6
	v_cmp_gt_i32_e64 s6, 32, v7
	v_cmp_gt_u32_e64 s5, 4, v0
	v_mov_b32_e32 v23, v3
	s_mov_b32 s25, 0
	v_dual_lshlrev_b32 v36, 2, v6 :: v_dual_cndmask_b32 v7, v5, v7, s6
	v_ashrrev_i32_e32 v5, 31, v4
	v_cmp_gt_u32_e64 s6, 2, v0
	v_lshlrev_b32_e32 v35, 2, v1
	s_mov_b32 s24, s13
	v_dual_lshlrev_b32 v37, 2, v7 :: v_dual_mov_b32 v9, v3
	s_wait_kmcnt 0x0
	s_sub_co_i32 s10, s7, s18
	s_cmp_lg_u32 s28, 0
	v_cmp_eq_u32_e64 s7, 0, v0
	v_or_b32_e32 v0, 16, v31
	v_lshl_add_u64 v[6:7], v[4:5], 3, s[8:9]
	v_add_nc_u64_e32 v[4:5], s[8:9], v[2:3]
	s_cselect_b32 s19, -1, 0
	v_cmp_gt_u32_e64 s8, s14, v31
	s_lshl_b32 s11, s13, 3
	v_or_b32_e32 v1, 8, v31
	s_mov_b32 s26, s14
	s_ashr_i32 s27, s14, 31
	v_cmp_gt_u32_e64 s9, s14, v0
	v_add_nc_u32_e32 v0, s11, v8
	s_mul_u64 s[28:29], s[26:27], s[24:25]
	s_and_b32 s26, vcc_lo, s8
	v_cmp_gt_u32_e64 s8, s14, v1
	s_delay_alu instid0(VALU_DEP_2) | instskip(SKIP_3) | instid1(VALU_DEP_2)
	v_dual_add_nc_u32 v10, s11, v0 :: v_dual_bitop2_b32 v1, 24, v31 bitop3:0x54
	s_abs_i32 s33, s14
	v_dual_mov_b32 v11, v3 :: v_dual_bitop2_b32 v2, 32, v31 bitop3:0x54
	s_and_b32 s13, vcc_lo, s8
	v_cmp_gt_u32_e64 s8, s14, v1
	s_cvt_f32_u32 s24, s33
	v_dual_add_nc_u32 v12, s11, v10 :: v_dual_bitop2_b32 v14, 40, v31 bitop3:0x54
	s_and_b32 s30, vcc_lo, s9
	s_and_b32 s31, vcc_lo, s8
	v_cmp_gt_u32_e64 s8, s14, v2
	v_rcp_iflag_f32_e32 v2, s24
	v_mov_b32_e32 v13, v3
	v_cmp_gt_u32_e64 s9, s14, v14
	v_dual_add_nc_u32 v14, s11, v12 :: v_dual_bitop2_b32 v17, 48, v31 bitop3:0x54
	v_mov_b32_e32 v15, v3
	s_and_b32 s34, vcc_lo, s8
	s_delay_alu instid0(TRANS32_DEP_1) | instskip(NEXT) | instid1(VALU_DEP_3)
	v_readfirstlane_b32 s24, v2
	v_add_nc_u32_e32 v16, s11, v14
	v_cmp_gt_u32_e64 s8, s14, v17
	v_dual_mov_b32 v17, v3 :: v_dual_bitop2_b32 v2, 56, v31 bitop3:0x54
	s_mul_f32 s24, s24, 0x4f7ffffe
	v_dual_mov_b32 v19, v3 :: v_dual_add_nc_u32 v18, s11, v16
	v_add_nc_u64_e32 v[6:7], v[6:7], v[22:23]
	s_delay_alu instid0(SALU_CYCLE_1) | instskip(SKIP_1) | instid1(VALU_DEP_2)
	s_cvt_u32_f32 s24, s24
	s_and_b32 s35, vcc_lo, s8
	v_add_nc_u32_e32 v20, s11, v18
	s_sub_co_i32 s11, 0, s33
	v_cmp_gt_u32_e64 s8, s14, v2
	v_dual_mov_b32 v21, v3 :: v_dual_add_nc_u32 v39, v22, v32
	v_mov_b64_e32 v[22:23], 0
	s_mul_i32 s11, s11, s24
	v_dual_mov_b32 v1, v3 :: v_dual_mov_b32 v40, 1
	v_mov_b32_e32 v26, 0
	s_mul_hi_u32 s11, s24, s11
	s_and_b32 s9, vcc_lo, s9
	s_and_b32 s36, vcc_lo, s8
	s_add_co_i32 s24, s24, s11
	s_branch .LBB116_7
.LBB116_6:                              ;   in Loop: Header=BB116_7 Depth=1
	s_or_b32 exec_lo, exec_lo, s11
	s_wait_dscnt 0x0
	s_barrier_signal -1
	s_barrier_wait -1
	ds_load_b32 v26, v3
	s_add_co_i32 s10, s8, s10
	s_wait_dscnt 0x0
	s_barrier_signal -1
	s_barrier_wait -1
	v_cmp_gt_i32_e32 vcc_lo, s12, v26
	s_cbranch_vccz .LBB116_73
.LBB116_7:                              ; =>This Loop Header: Depth=1
                                        ;     Child Loop BB116_10 Depth 2
	v_dual_mov_b32 v41, s12 :: v_dual_add_nc_u32 v24, v38, v31
	v_mov_b32_e32 v25, v30
	s_mov_b32 s11, exec_lo
	ds_store_b8 v3, v3 offset:16384
	ds_store_2addr_b64 v39, v[22:23], v[22:23] offset1:8
	ds_store_2addr_b64 v39, v[22:23], v[22:23] offset0:16 offset1:24
	ds_store_2addr_b64 v39, v[22:23], v[22:23] offset0:32 offset1:40
	;; [unrolled: 1-line block ×3, first 2 shown]
	s_wait_dscnt 0x0
	s_barrier_signal -1
	s_barrier_wait -1
	v_cmpx_lt_i32_e64 v24, v30
	s_cbranch_execz .LBB116_15
; %bb.8:                                ;   in Loop: Header=BB116_7 Depth=1
	v_mul_lo_u32 v27, v26, s14
	v_dual_mov_b32 v41, s12 :: v_dual_mov_b32 v25, v30
	s_mov_b32 s37, 0
	s_branch .LBB116_10
.LBB116_9:                              ;   in Loop: Header=BB116_10 Depth=2
	s_wait_xcnt 0x0
	s_or_b32 exec_lo, exec_lo, s8
	v_add_nc_u32_e32 v24, 8, v24
	s_xor_b32 s38, vcc_lo, -1
	s_delay_alu instid0(VALU_DEP_1) | instskip(SKIP_1) | instid1(SALU_CYCLE_1)
	v_cmp_ge_i32_e64 s8, v24, v30
	s_or_b32 s8, s38, s8
	s_and_b32 s8, exec_lo, s8
	s_delay_alu instid0(SALU_CYCLE_1) | instskip(NEXT) | instid1(SALU_CYCLE_1)
	s_or_b32 s37, s8, s37
	s_and_not1_b32 exec_lo, exec_lo, s37
	s_cbranch_execz .LBB116_14
.LBB116_10:                             ;   Parent Loop BB116_7 Depth=1
                                        ; =>  This Inner Loop Header: Depth=2
	global_load_b32 v2, v24, s[16:17] scale_offset
	s_wait_loadcnt 0x0
	v_subrev_nc_u32_e32 v28, s15, v2
	s_delay_alu instid0(VALU_DEP_1) | instskip(NEXT) | instid1(VALU_DEP_1)
	v_sub_nc_u32_e32 v2, 0, v28
	v_max_i32_e32 v2, v28, v2
	s_delay_alu instid0(VALU_DEP_1) | instskip(SKIP_1) | instid1(VALU_DEP_1)
	v_mul_u64_e32 v[42:43], s[24:25], v[2:3]
	v_ashrrev_i32_e32 v42, 31, v28
	v_xor_b32_e32 v42, s27, v42
	s_delay_alu instid0(VALU_DEP_3) | instskip(NEXT) | instid1(VALU_DEP_1)
	v_mul_lo_u32 v29, v43, s33
	v_dual_sub_nc_u32 v2, v2, v29 :: v_dual_add_nc_u32 v29, 1, v43
	s_delay_alu instid0(VALU_DEP_1) | instskip(SKIP_1) | instid1(VALU_DEP_2)
	v_subrev_nc_u32_e32 v38, s33, v2
	v_cmp_le_u32_e32 vcc_lo, s33, v2
	v_dual_cndmask_b32 v29, v43, v29 :: v_dual_cndmask_b32 v2, v2, v38
	s_delay_alu instid0(VALU_DEP_1) | instskip(NEXT) | instid1(VALU_DEP_2)
	v_add_nc_u32_e32 v38, 1, v29
	v_cmp_le_u32_e32 vcc_lo, s33, v2
	s_delay_alu instid0(VALU_DEP_2) | instskip(NEXT) | instid1(VALU_DEP_1)
	v_cndmask_b32_e32 v2, v29, v38, vcc_lo
	v_xor_b32_e32 v2, v2, v42
	s_delay_alu instid0(VALU_DEP_1) | instskip(NEXT) | instid1(VALU_DEP_1)
	v_dual_mov_b32 v2, v25 :: v_dual_sub_nc_u32 v29, v2, v42
	v_cmp_ne_u32_e64 s8, v29, v26
	v_cmp_eq_u32_e32 vcc_lo, v29, v26
	s_wait_xcnt 0x0
	s_and_saveexec_b32 s38, s8
	s_delay_alu instid0(SALU_CYCLE_1)
	s_xor_b32 s8, exec_lo, s38
; %bb.11:                               ;   in Loop: Header=BB116_10 Depth=2
	v_min_i32_e32 v41, v29, v41
                                        ; implicit-def: $vgpr28
                                        ; implicit-def: $vgpr2
; %bb.12:                               ;   in Loop: Header=BB116_10 Depth=2
	s_or_saveexec_b32 s8, s8
	v_mov_b32_e32 v25, v24
	s_xor_b32 exec_lo, exec_lo, s8
	s_cbranch_execz .LBB116_9
; %bb.13:                               ;   in Loop: Header=BB116_10 Depth=2
	v_ashrrev_i32_e32 v25, 31, v24
	s_delay_alu instid0(VALU_DEP_1)
	v_lshl_add_u64 v[42:43], v[24:25], 3, s[22:23]
	v_sub_nc_u32_e32 v25, v28, v27
	global_load_b64 v[42:43], v[42:43], off
	v_lshl_add_u32 v28, v25, 3, v32
	v_mov_b32_e32 v25, v2
	ds_store_b8 v3, v40 offset:16384
	s_wait_loadcnt 0x0
	ds_store_b64 v28, v[42:43]
	s_branch .LBB116_9
.LBB116_14:                             ;   in Loop: Header=BB116_7 Depth=1
	s_or_b32 exec_lo, exec_lo, s37
.LBB116_15:                             ;   in Loop: Header=BB116_7 Depth=1
	s_delay_alu instid0(SALU_CYCLE_1)
	s_or_b32 exec_lo, exec_lo, s11
	ds_bpermute_b32 v2, v35, v25
	s_wait_dscnt 0x0
	s_barrier_signal -1
	s_barrier_wait -1
	s_mov_b32 s8, 0
	v_min_i32_e32 v2, v2, v25
	ds_load_u8 v25, v3 offset:16384
	ds_bpermute_b32 v24, v36, v2
	s_wait_dscnt 0x0
	v_min_i32_e32 v2, v24, v2
	ds_bpermute_b32 v24, v37, v2
	s_wait_dscnt 0x0
	v_min_i32_e32 v2, v24, v2
	ds_bpermute_b32 v38, v34, v2
	v_and_b32_e32 v2, 1, v25
	s_delay_alu instid0(VALU_DEP_1)
	v_cmp_eq_u32_e32 vcc_lo, 0, v2
	s_cbranch_vccnz .LBB116_49
; %bb.16:                               ;   in Loop: Header=BB116_7 Depth=1
	s_ashr_i32 s11, s10, 31
	v_dual_add_nc_u32 v2, s18, v26 :: v_dual_mov_b32 v28, s10
	s_mul_u64 s[38:39], s[28:29], s[10:11]
	s_delay_alu instid0(SALU_CYCLE_1) | instskip(NEXT) | instid1(SALU_CYCLE_1)
	s_lshl_b64 s[38:39], s[38:39], 3
	v_add_nc_u64_e32 v[26:27], s[38:39], v[4:5]
	v_add_nc_u64_e32 v[24:25], s[38:39], v[6:7]
	global_store_b32 v28, v2, s[20:21] scale_offset
	s_wait_xcnt 0x0
	s_and_saveexec_b32 s8, s26
	s_cbranch_execz .LBB116_20
; %bb.17:                               ;   in Loop: Header=BB116_7 Depth=1
	ds_load_b64 v[28:29], v39
	s_and_b32 vcc_lo, exec_lo, s19
	s_cbranch_vccz .LBB116_65
; %bb.18:                               ;   in Loop: Header=BB116_7 Depth=1
	v_lshl_add_u64 v[42:43], v[8:9], 3, v[26:27]
	s_wait_dscnt 0x0
	global_store_b64 v[42:43], v[28:29], off
	s_cbranch_execnz .LBB116_20
.LBB116_19:                             ;   in Loop: Header=BB116_7 Depth=1
	s_wait_dscnt 0x0
	global_store_b64 v[24:25], v[28:29], off
.LBB116_20:                             ;   in Loop: Header=BB116_7 Depth=1
	s_wait_xcnt 0x0
	s_or_b32 exec_lo, exec_lo, s8
	s_and_saveexec_b32 s8, s13
	s_cbranch_execz .LBB116_24
; %bb.21:                               ;   in Loop: Header=BB116_7 Depth=1
	s_wait_dscnt 0x0
	ds_load_b64 v[28:29], v39 offset:64
	s_and_not1_b32 vcc_lo, exec_lo, s19
	s_cbranch_vccnz .LBB116_66
; %bb.22:                               ;   in Loop: Header=BB116_7 Depth=1
	v_lshl_add_u64 v[42:43], v[0:1], 3, v[26:27]
	s_wait_dscnt 0x0
	global_store_b64 v[42:43], v[28:29], off
	s_cbranch_execnz .LBB116_24
.LBB116_23:                             ;   in Loop: Header=BB116_7 Depth=1
	s_wait_dscnt 0x0
	global_store_b64 v[24:25], v[28:29], off offset:64
.LBB116_24:                             ;   in Loop: Header=BB116_7 Depth=1
	s_wait_xcnt 0x0
	s_or_b32 exec_lo, exec_lo, s8
	s_and_saveexec_b32 s8, s30
	s_cbranch_execz .LBB116_28
; %bb.25:                               ;   in Loop: Header=BB116_7 Depth=1
	s_wait_dscnt 0x0
	ds_load_b64 v[28:29], v39 offset:128
	s_and_not1_b32 vcc_lo, exec_lo, s19
	s_cbranch_vccnz .LBB116_67
; %bb.26:                               ;   in Loop: Header=BB116_7 Depth=1
	v_lshl_add_u64 v[42:43], v[10:11], 3, v[26:27]
	s_wait_dscnt 0x0
	global_store_b64 v[42:43], v[28:29], off
	s_cbranch_execnz .LBB116_28
.LBB116_27:                             ;   in Loop: Header=BB116_7 Depth=1
	s_wait_dscnt 0x0
	global_store_b64 v[24:25], v[28:29], off offset:128
.LBB116_28:                             ;   in Loop: Header=BB116_7 Depth=1
	s_wait_xcnt 0x0
	s_or_b32 exec_lo, exec_lo, s8
	s_and_saveexec_b32 s8, s31
	s_cbranch_execz .LBB116_32
; %bb.29:                               ;   in Loop: Header=BB116_7 Depth=1
	s_wait_dscnt 0x0
	ds_load_b64 v[28:29], v39 offset:192
	s_and_not1_b32 vcc_lo, exec_lo, s19
	s_cbranch_vccnz .LBB116_68
; %bb.30:                               ;   in Loop: Header=BB116_7 Depth=1
	v_lshl_add_u64 v[42:43], v[12:13], 3, v[26:27]
	s_wait_dscnt 0x0
	global_store_b64 v[42:43], v[28:29], off
	s_cbranch_execnz .LBB116_32
.LBB116_31:                             ;   in Loop: Header=BB116_7 Depth=1
	s_wait_dscnt 0x0
	global_store_b64 v[24:25], v[28:29], off offset:192
.LBB116_32:                             ;   in Loop: Header=BB116_7 Depth=1
	s_wait_xcnt 0x0
	s_or_b32 exec_lo, exec_lo, s8
	s_and_saveexec_b32 s8, s34
	s_cbranch_execz .LBB116_36
; %bb.33:                               ;   in Loop: Header=BB116_7 Depth=1
	s_wait_dscnt 0x0
	ds_load_b64 v[28:29], v39 offset:256
	s_and_not1_b32 vcc_lo, exec_lo, s19
	s_cbranch_vccnz .LBB116_69
; %bb.34:                               ;   in Loop: Header=BB116_7 Depth=1
	v_lshl_add_u64 v[42:43], v[14:15], 3, v[26:27]
	s_wait_dscnt 0x0
	global_store_b64 v[42:43], v[28:29], off
	s_cbranch_execnz .LBB116_36
.LBB116_35:                             ;   in Loop: Header=BB116_7 Depth=1
	s_wait_dscnt 0x0
	global_store_b64 v[24:25], v[28:29], off offset:256
.LBB116_36:                             ;   in Loop: Header=BB116_7 Depth=1
	s_wait_xcnt 0x0
	s_or_b32 exec_lo, exec_lo, s8
	s_and_saveexec_b32 s8, s9
	s_cbranch_execz .LBB116_40
; %bb.37:                               ;   in Loop: Header=BB116_7 Depth=1
	s_wait_dscnt 0x0
	ds_load_b64 v[28:29], v39 offset:320
	s_and_not1_b32 vcc_lo, exec_lo, s19
	s_cbranch_vccnz .LBB116_70
; %bb.38:                               ;   in Loop: Header=BB116_7 Depth=1
	v_lshl_add_u64 v[42:43], v[16:17], 3, v[26:27]
	s_wait_dscnt 0x0
	global_store_b64 v[42:43], v[28:29], off
	s_cbranch_execnz .LBB116_40
.LBB116_39:                             ;   in Loop: Header=BB116_7 Depth=1
	s_wait_dscnt 0x0
	global_store_b64 v[24:25], v[28:29], off offset:320
.LBB116_40:                             ;   in Loop: Header=BB116_7 Depth=1
	s_wait_xcnt 0x0
	s_or_b32 exec_lo, exec_lo, s8
	s_and_saveexec_b32 s8, s35
	s_cbranch_execz .LBB116_44
; %bb.41:                               ;   in Loop: Header=BB116_7 Depth=1
	s_wait_dscnt 0x0
	ds_load_b64 v[28:29], v39 offset:384
	s_and_not1_b32 vcc_lo, exec_lo, s19
	s_cbranch_vccnz .LBB116_71
; %bb.42:                               ;   in Loop: Header=BB116_7 Depth=1
	v_lshl_add_u64 v[42:43], v[18:19], 3, v[26:27]
	s_wait_dscnt 0x0
	global_store_b64 v[42:43], v[28:29], off
	s_cbranch_execnz .LBB116_44
.LBB116_43:                             ;   in Loop: Header=BB116_7 Depth=1
	s_wait_dscnt 0x0
	global_store_b64 v[24:25], v[28:29], off offset:384
.LBB116_44:                             ;   in Loop: Header=BB116_7 Depth=1
	s_wait_xcnt 0x0
	s_or_b32 exec_lo, exec_lo, s8
	s_and_saveexec_b32 s8, s36
	s_cbranch_execz .LBB116_48
; %bb.45:                               ;   in Loop: Header=BB116_7 Depth=1
	s_wait_dscnt 0x0
	ds_load_b64 v[28:29], v39 offset:448
	s_and_not1_b32 vcc_lo, exec_lo, s19
	s_cbranch_vccnz .LBB116_72
; %bb.46:                               ;   in Loop: Header=BB116_7 Depth=1
	v_lshl_add_u64 v[26:27], v[20:21], 3, v[26:27]
	s_wait_dscnt 0x0
	global_store_b64 v[26:27], v[28:29], off
	s_cbranch_execnz .LBB116_48
.LBB116_47:                             ;   in Loop: Header=BB116_7 Depth=1
	s_wait_dscnt 0x0
	global_store_b64 v[24:25], v[28:29], off offset:448
.LBB116_48:                             ;   in Loop: Header=BB116_7 Depth=1
	s_wait_xcnt 0x0
	s_or_b32 exec_lo, exec_lo, s8
	s_mov_b32 s8, 1
.LBB116_49:                             ;   in Loop: Header=BB116_7 Depth=1
	s_wait_storecnt_dscnt 0x0
	s_barrier_signal -1
	s_barrier_wait -1
	ds_store_b32 v33, v41
	s_wait_dscnt 0x0
	s_barrier_signal -1
	s_barrier_wait -1
	s_and_saveexec_b32 s11, s0
	s_cbranch_execz .LBB116_51
; %bb.50:                               ;   in Loop: Header=BB116_7 Depth=1
	ds_load_2addr_stride64_b32 v[24:25], v33 offset1:2
	s_wait_dscnt 0x0
	v_min_i32_e32 v2, v25, v24
	ds_store_b32 v33, v2
.LBB116_51:                             ;   in Loop: Header=BB116_7 Depth=1
	s_or_b32 exec_lo, exec_lo, s11
	s_wait_dscnt 0x0
	s_barrier_signal -1
	s_barrier_wait -1
	s_and_saveexec_b32 s11, s1
	s_cbranch_execz .LBB116_53
; %bb.52:                               ;   in Loop: Header=BB116_7 Depth=1
	ds_load_2addr_stride64_b32 v[24:25], v33 offset1:1
	s_wait_dscnt 0x0
	v_min_i32_e32 v2, v25, v24
	ds_store_b32 v33, v2
.LBB116_53:                             ;   in Loop: Header=BB116_7 Depth=1
	s_or_b32 exec_lo, exec_lo, s11
	s_wait_dscnt 0x0
	s_barrier_signal -1
	s_barrier_wait -1
	s_and_saveexec_b32 s11, s2
	s_cbranch_execz .LBB116_55
; %bb.54:                               ;   in Loop: Header=BB116_7 Depth=1
	ds_load_2addr_b32 v[24:25], v33 offset1:32
	s_wait_dscnt 0x0
	v_min_i32_e32 v2, v25, v24
	ds_store_b32 v33, v2
.LBB116_55:                             ;   in Loop: Header=BB116_7 Depth=1
	s_or_b32 exec_lo, exec_lo, s11
	s_wait_dscnt 0x0
	s_barrier_signal -1
	s_barrier_wait -1
	s_and_saveexec_b32 s11, s3
	s_cbranch_execz .LBB116_57
; %bb.56:                               ;   in Loop: Header=BB116_7 Depth=1
	ds_load_2addr_b32 v[24:25], v33 offset1:16
	s_wait_dscnt 0x0
	v_min_i32_e32 v2, v25, v24
	ds_store_b32 v33, v2
.LBB116_57:                             ;   in Loop: Header=BB116_7 Depth=1
	s_or_b32 exec_lo, exec_lo, s11
	s_wait_dscnt 0x0
	s_barrier_signal -1
	s_barrier_wait -1
	s_and_saveexec_b32 s11, s4
	s_cbranch_execz .LBB116_59
; %bb.58:                               ;   in Loop: Header=BB116_7 Depth=1
	ds_load_2addr_b32 v[24:25], v33 offset1:8
	s_wait_dscnt 0x0
	v_min_i32_e32 v2, v25, v24
	ds_store_b32 v33, v2
.LBB116_59:                             ;   in Loop: Header=BB116_7 Depth=1
	s_or_b32 exec_lo, exec_lo, s11
	s_wait_dscnt 0x0
	s_barrier_signal -1
	s_barrier_wait -1
	s_and_saveexec_b32 s11, s5
	s_cbranch_execz .LBB116_61
; %bb.60:                               ;   in Loop: Header=BB116_7 Depth=1
	ds_load_2addr_b32 v[24:25], v33 offset1:4
	s_wait_dscnt 0x0
	v_min_i32_e32 v2, v25, v24
	ds_store_b32 v33, v2
.LBB116_61:                             ;   in Loop: Header=BB116_7 Depth=1
	s_or_b32 exec_lo, exec_lo, s11
	s_wait_dscnt 0x0
	s_barrier_signal -1
	s_barrier_wait -1
	s_and_saveexec_b32 s11, s6
	s_cbranch_execz .LBB116_63
; %bb.62:                               ;   in Loop: Header=BB116_7 Depth=1
	ds_load_2addr_b32 v[24:25], v33 offset1:2
	s_wait_dscnt 0x0
	v_min_i32_e32 v2, v25, v24
	ds_store_b32 v33, v2
.LBB116_63:                             ;   in Loop: Header=BB116_7 Depth=1
	s_or_b32 exec_lo, exec_lo, s11
	s_wait_dscnt 0x0
	s_barrier_signal -1
	s_barrier_wait -1
	s_and_saveexec_b32 s11, s7
	s_cbranch_execz .LBB116_6
; %bb.64:                               ;   in Loop: Header=BB116_7 Depth=1
	ds_load_b64 v[24:25], v3
	s_wait_dscnt 0x0
	v_min_i32_e32 v2, v25, v24
	ds_store_b32 v3, v2
	s_branch .LBB116_6
.LBB116_65:                             ;   in Loop: Header=BB116_7 Depth=1
	s_branch .LBB116_19
.LBB116_66:                             ;   in Loop: Header=BB116_7 Depth=1
	s_branch .LBB116_23
.LBB116_67:                             ;   in Loop: Header=BB116_7 Depth=1
	s_branch .LBB116_27
.LBB116_68:                             ;   in Loop: Header=BB116_7 Depth=1
	s_branch .LBB116_31
.LBB116_69:                             ;   in Loop: Header=BB116_7 Depth=1
	s_branch .LBB116_35
.LBB116_70:                             ;   in Loop: Header=BB116_7 Depth=1
	s_branch .LBB116_39
.LBB116_71:                             ;   in Loop: Header=BB116_7 Depth=1
	s_branch .LBB116_43
.LBB116_72:                             ;   in Loop: Header=BB116_7 Depth=1
	s_branch .LBB116_47
.LBB116_73:
	s_endpgm
	.section	.rodata,"a",@progbits
	.p2align	6, 0x0
	.amdhsa_kernel _ZN9rocsparseL40csr2gebsr_block_per_row_multipass_kernelILj256ELj32ELj64EdEEv20rocsparse_direction_iiiiii21rocsparse_index_base_PKT2_PKiS7_S2_PS3_PiS9_
		.amdhsa_group_segment_fixed_size 16392
		.amdhsa_private_segment_fixed_size 0
		.amdhsa_kernarg_size 88
		.amdhsa_user_sgpr_count 2
		.amdhsa_user_sgpr_dispatch_ptr 0
		.amdhsa_user_sgpr_queue_ptr 0
		.amdhsa_user_sgpr_kernarg_segment_ptr 1
		.amdhsa_user_sgpr_dispatch_id 0
		.amdhsa_user_sgpr_kernarg_preload_length 0
		.amdhsa_user_sgpr_kernarg_preload_offset 0
		.amdhsa_user_sgpr_private_segment_size 0
		.amdhsa_wavefront_size32 1
		.amdhsa_uses_dynamic_stack 0
		.amdhsa_enable_private_segment 0
		.amdhsa_system_sgpr_workgroup_id_x 1
		.amdhsa_system_sgpr_workgroup_id_y 0
		.amdhsa_system_sgpr_workgroup_id_z 0
		.amdhsa_system_sgpr_workgroup_info 0
		.amdhsa_system_vgpr_workitem_id 0
		.amdhsa_next_free_vgpr 44
		.amdhsa_next_free_sgpr 40
		.amdhsa_named_barrier_count 0
		.amdhsa_reserve_vcc 1
		.amdhsa_float_round_mode_32 0
		.amdhsa_float_round_mode_16_64 0
		.amdhsa_float_denorm_mode_32 3
		.amdhsa_float_denorm_mode_16_64 3
		.amdhsa_fp16_overflow 0
		.amdhsa_memory_ordered 1
		.amdhsa_forward_progress 1
		.amdhsa_inst_pref_size 20
		.amdhsa_round_robin_scheduling 0
		.amdhsa_exception_fp_ieee_invalid_op 0
		.amdhsa_exception_fp_denorm_src 0
		.amdhsa_exception_fp_ieee_div_zero 0
		.amdhsa_exception_fp_ieee_overflow 0
		.amdhsa_exception_fp_ieee_underflow 0
		.amdhsa_exception_fp_ieee_inexact 0
		.amdhsa_exception_int_div_zero 0
	.end_amdhsa_kernel
	.section	.text._ZN9rocsparseL40csr2gebsr_block_per_row_multipass_kernelILj256ELj32ELj64EdEEv20rocsparse_direction_iiiiii21rocsparse_index_base_PKT2_PKiS7_S2_PS3_PiS9_,"axG",@progbits,_ZN9rocsparseL40csr2gebsr_block_per_row_multipass_kernelILj256ELj32ELj64EdEEv20rocsparse_direction_iiiiii21rocsparse_index_base_PKT2_PKiS7_S2_PS3_PiS9_,comdat
.Lfunc_end116:
	.size	_ZN9rocsparseL40csr2gebsr_block_per_row_multipass_kernelILj256ELj32ELj64EdEEv20rocsparse_direction_iiiiii21rocsparse_index_base_PKT2_PKiS7_S2_PS3_PiS9_, .Lfunc_end116-_ZN9rocsparseL40csr2gebsr_block_per_row_multipass_kernelILj256ELj32ELj64EdEEv20rocsparse_direction_iiiiii21rocsparse_index_base_PKT2_PKiS7_S2_PS3_PiS9_
                                        ; -- End function
	.set _ZN9rocsparseL40csr2gebsr_block_per_row_multipass_kernelILj256ELj32ELj64EdEEv20rocsparse_direction_iiiiii21rocsparse_index_base_PKT2_PKiS7_S2_PS3_PiS9_.num_vgpr, 44
	.set _ZN9rocsparseL40csr2gebsr_block_per_row_multipass_kernelILj256ELj32ELj64EdEEv20rocsparse_direction_iiiiii21rocsparse_index_base_PKT2_PKiS7_S2_PS3_PiS9_.num_agpr, 0
	.set _ZN9rocsparseL40csr2gebsr_block_per_row_multipass_kernelILj256ELj32ELj64EdEEv20rocsparse_direction_iiiiii21rocsparse_index_base_PKT2_PKiS7_S2_PS3_PiS9_.numbered_sgpr, 40
	.set _ZN9rocsparseL40csr2gebsr_block_per_row_multipass_kernelILj256ELj32ELj64EdEEv20rocsparse_direction_iiiiii21rocsparse_index_base_PKT2_PKiS7_S2_PS3_PiS9_.num_named_barrier, 0
	.set _ZN9rocsparseL40csr2gebsr_block_per_row_multipass_kernelILj256ELj32ELj64EdEEv20rocsparse_direction_iiiiii21rocsparse_index_base_PKT2_PKiS7_S2_PS3_PiS9_.private_seg_size, 0
	.set _ZN9rocsparseL40csr2gebsr_block_per_row_multipass_kernelILj256ELj32ELj64EdEEv20rocsparse_direction_iiiiii21rocsparse_index_base_PKT2_PKiS7_S2_PS3_PiS9_.uses_vcc, 1
	.set _ZN9rocsparseL40csr2gebsr_block_per_row_multipass_kernelILj256ELj32ELj64EdEEv20rocsparse_direction_iiiiii21rocsparse_index_base_PKT2_PKiS7_S2_PS3_PiS9_.uses_flat_scratch, 0
	.set _ZN9rocsparseL40csr2gebsr_block_per_row_multipass_kernelILj256ELj32ELj64EdEEv20rocsparse_direction_iiiiii21rocsparse_index_base_PKT2_PKiS7_S2_PS3_PiS9_.has_dyn_sized_stack, 0
	.set _ZN9rocsparseL40csr2gebsr_block_per_row_multipass_kernelILj256ELj32ELj64EdEEv20rocsparse_direction_iiiiii21rocsparse_index_base_PKT2_PKiS7_S2_PS3_PiS9_.has_recursion, 0
	.set _ZN9rocsparseL40csr2gebsr_block_per_row_multipass_kernelILj256ELj32ELj64EdEEv20rocsparse_direction_iiiiii21rocsparse_index_base_PKT2_PKiS7_S2_PS3_PiS9_.has_indirect_call, 0
	.section	.AMDGPU.csdata,"",@progbits
; Kernel info:
; codeLenInByte = 2528
; TotalNumSgprs: 42
; NumVgprs: 44
; ScratchSize: 0
; MemoryBound: 0
; FloatMode: 240
; IeeeMode: 1
; LDSByteSize: 16392 bytes/workgroup (compile time only)
; SGPRBlocks: 0
; VGPRBlocks: 2
; NumSGPRsForWavesPerEU: 42
; NumVGPRsForWavesPerEU: 44
; NamedBarCnt: 0
; Occupancy: 16
; WaveLimiterHint : 0
; COMPUTE_PGM_RSRC2:SCRATCH_EN: 0
; COMPUTE_PGM_RSRC2:USER_SGPR: 2
; COMPUTE_PGM_RSRC2:TRAP_HANDLER: 0
; COMPUTE_PGM_RSRC2:TGID_X_EN: 1
; COMPUTE_PGM_RSRC2:TGID_Y_EN: 0
; COMPUTE_PGM_RSRC2:TGID_Z_EN: 0
; COMPUTE_PGM_RSRC2:TIDIG_COMP_CNT: 0
	.section	.text._ZN9rocsparseL40csr2gebsr_block_per_row_multipass_kernelILj128ELj64ELj2EdEEv20rocsparse_direction_iiiiii21rocsparse_index_base_PKT2_PKiS7_S2_PS3_PiS9_,"axG",@progbits,_ZN9rocsparseL40csr2gebsr_block_per_row_multipass_kernelILj128ELj64ELj2EdEEv20rocsparse_direction_iiiiii21rocsparse_index_base_PKT2_PKiS7_S2_PS3_PiS9_,comdat
	.globl	_ZN9rocsparseL40csr2gebsr_block_per_row_multipass_kernelILj128ELj64ELj2EdEEv20rocsparse_direction_iiiiii21rocsparse_index_base_PKT2_PKiS7_S2_PS3_PiS9_ ; -- Begin function _ZN9rocsparseL40csr2gebsr_block_per_row_multipass_kernelILj128ELj64ELj2EdEEv20rocsparse_direction_iiiiii21rocsparse_index_base_PKT2_PKiS7_S2_PS3_PiS9_
	.p2align	8
	.type	_ZN9rocsparseL40csr2gebsr_block_per_row_multipass_kernelILj128ELj64ELj2EdEEv20rocsparse_direction_iiiiii21rocsparse_index_base_PKT2_PKiS7_S2_PS3_PiS9_,@function
_ZN9rocsparseL40csr2gebsr_block_per_row_multipass_kernelILj128ELj64ELj2EdEEv20rocsparse_direction_iiiiii21rocsparse_index_base_PKT2_PKiS7_S2_PS3_PiS9_: ; @_ZN9rocsparseL40csr2gebsr_block_per_row_multipass_kernelILj128ELj64ELj2EdEEv20rocsparse_direction_iiiiii21rocsparse_index_base_PKT2_PKiS7_S2_PS3_PiS9_
; %bb.0:
	s_clause 0x1
	s_load_b128 s[8:11], s[0:1], 0x10
	s_load_b64 s[6:7], s[0:1], 0x0
	s_bfe_u32 s2, ttmp6, 0x4000c
	s_and_b32 s3, ttmp6, 15
	s_add_co_i32 s2, s2, 1
	s_getreg_b32 s4, hwreg(HW_REG_IB_STS2, 6, 4)
	s_mul_i32 s2, ttmp9, s2
	v_dual_lshrrev_b32 v4, 1, v0 :: v_dual_mov_b32 v10, 0
	s_add_co_i32 s3, s3, s2
	s_cmp_eq_u32 s4, 0
	s_load_b64 s[12:13], s[0:1], 0x28
	s_cselect_b32 s4, ttmp9, s3
	v_mov_b32_e32 v18, 0
	s_wait_kmcnt 0x0
	v_mad_u32 v1, s9, s4, v4
	v_cmp_gt_i32_e32 vcc_lo, s9, v4
	s_delay_alu instid0(VALU_DEP_2) | instskip(SKIP_1) | instid1(SALU_CYCLE_1)
	v_cmp_gt_i32_e64 s2, s7, v1
	s_and_b32 s2, vcc_lo, s2
	s_and_saveexec_b32 s3, s2
	s_cbranch_execnz .LBB117_3
; %bb.1:
	s_or_b32 exec_lo, exec_lo, s3
	s_and_saveexec_b32 s3, s2
	s_cbranch_execnz .LBB117_4
.LBB117_2:
	s_or_b32 exec_lo, exec_lo, s3
	s_cmp_lt_i32 s8, 1
	s_cbranch_scc0 .LBB117_5
	s_branch .LBB117_36
.LBB117_3:
	global_load_b32 v2, v1, s[12:13] scale_offset
	s_wait_loadcnt 0x0
	v_subrev_nc_u32_e32 v18, s11, v2
	s_or_b32 exec_lo, exec_lo, s3
	s_and_saveexec_b32 s3, s2
	s_cbranch_execz .LBB117_2
.LBB117_4:
	global_load_b32 v1, v1, s[12:13] offset:4 scale_offset
	s_wait_loadcnt 0x0
	v_subrev_nc_u32_e32 v10, s11, v1
	s_or_b32 exec_lo, exec_lo, s3
	s_cmp_lt_i32 s8, 1
	s_cbranch_scc1 .LBB117_36
.LBB117_5:
	s_load_b128 s[12:15], s[0:1], 0x40
	s_ashr_i32 s5, s4, 31
	v_dual_lshlrev_b32 v12, 3, v0 :: v_dual_bitop2_b32 v11, 1, v0 bitop3:0x40
	s_lshl_b64 s[2:3], s[4:5], 2
	s_mov_b32 s22, s9
	v_mul_lo_u32 v6, s10, v4
	s_delay_alu instid0(VALU_DEP_2)
	v_cmp_gt_u32_e64 s4, s10, v11
	v_mul_lo_u32 v2, s9, v11
	v_and_b32_e32 v5, 0x7e, v0
	v_mbcnt_lo_u32_b32 v15, -1, 0
	v_dual_mov_b32 v3, 0 :: v_dual_lshlrev_b32 v16, 2, v0
	s_and_b32 s19, vcc_lo, s4
	s_delay_alu instid0(VALU_DEP_3) | instskip(NEXT) | instid1(VALU_DEP_3)
	v_dual_mov_b32 v13, 1 :: v_dual_lshlrev_b32 v14, 3, v5
	v_dual_ashrrev_i32 v7, 31, v6 :: v_dual_bitop2_b32 v5, 1, v15 bitop3:0x14
	v_cmp_gt_u32_e64 s4, 4, v0
	v_mov_b32_e32 v20, 0
	s_wait_kmcnt 0x0
	s_add_nc_u64 s[2:3], s[14:15], s[2:3]
	s_load_b96 s[16:18], s[0:1], 0x30
	s_load_b32 s5, s[2:3], 0x0
	s_clause 0x1
	s_load_b64 s[14:15], s[0:1], 0x50
	s_load_b64 s[20:21], s[0:1], 0x20
	v_lshl_add_u64 v[8:9], v[2:3], 3, s[12:13]
	v_cmp_gt_i32_e32 vcc_lo, 32, v5
	v_lshlrev_b32_e32 v2, 3, v4
	v_lshl_add_u64 v[6:7], v[6:7], 3, s[12:13]
	s_wait_xcnt 0x0
	v_cmp_gt_u32_e64 s0, 64, v0
	v_cmp_gt_u32_e64 s1, 32, v0
	;; [unrolled: 1-line block ×4, first 2 shown]
	s_mov_b32 s23, 0
	s_mov_b32 s24, s10
	s_wait_kmcnt 0x0
	s_sub_co_i32 s26, s5, s18
	s_cmp_lg_u32 s6, 0
	v_cmp_gt_u32_e64 s5, 2, v0
	s_cselect_b32 s9, -1, 0
	s_abs_i32 s30, s10
	v_cmp_eq_u32_e64 s6, 0, v0
	s_cvt_f32_u32 s7, s30
	s_sub_co_i32 s12, 0, s30
	v_mov_b64_e32 v[0:1], 0
	s_ashr_i32 s25, s10, 31
	v_rcp_iflag_f32_e32 v17, s7
	v_nop
	s_delay_alu instid0(TRANS32_DEP_1)
	v_readfirstlane_b32 s7, v17
	v_cndmask_b32_e32 v17, v15, v5, vcc_lo
	v_add_nc_u64_e32 v[4:5], v[8:9], v[2:3]
	v_dual_lshlrev_b32 v2, 3, v11 :: v_dual_sub_nc_u32 v8, 0, v16
	s_mul_f32 s7, s7, 0x4f7ffffe
	v_lshl_or_b32 v15, v15, 2, 4
	v_lshlrev_b32_e32 v16, 2, v17
	s_delay_alu instid0(VALU_DEP_3) | instskip(SKIP_2) | instid1(SALU_CYCLE_2)
	v_add_nc_u64_e32 v[6:7], v[6:7], v[2:3]
	s_cvt_u32_f32 s7, s7
	v_add_nc_u32_e32 v17, v12, v8
	s_mul_i32 s12, s12, s7
	s_delay_alu instid0(SALU_CYCLE_1)
	s_mul_hi_u32 s27, s7, s12
	s_mul_u64 s[12:13], s[24:25], s[22:23]
	s_add_co_i32 s22, s7, s27
	s_branch .LBB117_7
.LBB117_6:                              ;   in Loop: Header=BB117_7 Depth=1
	s_or_b32 exec_lo, exec_lo, s24
	s_wait_dscnt 0x0
	s_barrier_signal -1
	s_barrier_wait -1
	ds_load_b32 v20, v3
	s_add_co_i32 s26, s7, s26
	s_wait_dscnt 0x0
	s_barrier_signal -1
	s_barrier_wait -1
	v_cmp_gt_i32_e32 vcc_lo, s8, v20
	s_cbranch_vccz .LBB117_36
.LBB117_7:                              ; =>This Loop Header: Depth=1
                                        ;     Child Loop BB117_10 Depth 2
	v_dual_mov_b32 v19, s8 :: v_dual_add_nc_u32 v8, v18, v11
	v_mov_b32_e32 v9, v10
	s_mov_b32 s24, exec_lo
	ds_store_b8 v3, v3 offset:1024
	ds_store_b64 v12, v[0:1]
	s_wait_dscnt 0x0
	s_barrier_signal -1
	s_barrier_wait -1
	v_cmpx_lt_i32_e64 v8, v10
	s_cbranch_execz .LBB117_15
; %bb.8:                                ;   in Loop: Header=BB117_7 Depth=1
	v_mul_lo_u32 v18, v20, s10
	v_dual_mov_b32 v19, s8 :: v_dual_mov_b32 v9, v10
	s_mov_b32 s27, 0
	s_branch .LBB117_10
.LBB117_9:                              ;   in Loop: Header=BB117_10 Depth=2
	s_wait_xcnt 0x0
	s_or_b32 exec_lo, exec_lo, s7
	v_add_nc_u32_e32 v8, 2, v8
	s_xor_b32 s28, vcc_lo, -1
	s_delay_alu instid0(VALU_DEP_1) | instskip(SKIP_1) | instid1(SALU_CYCLE_1)
	v_cmp_ge_i32_e64 s7, v8, v10
	s_or_b32 s7, s28, s7
	s_and_b32 s7, exec_lo, s7
	s_delay_alu instid0(SALU_CYCLE_1) | instskip(NEXT) | instid1(SALU_CYCLE_1)
	s_or_b32 s27, s7, s27
	s_and_not1_b32 exec_lo, exec_lo, s27
	s_cbranch_execz .LBB117_14
.LBB117_10:                             ;   Parent Loop BB117_7 Depth=1
                                        ; =>  This Inner Loop Header: Depth=2
	global_load_b32 v2, v8, s[16:17] scale_offset
	s_wait_loadcnt 0x0
	v_subrev_nc_u32_e32 v21, s11, v2
	s_delay_alu instid0(VALU_DEP_1) | instskip(NEXT) | instid1(VALU_DEP_1)
	v_sub_nc_u32_e32 v2, 0, v21
	v_max_i32_e32 v2, v21, v2
	s_delay_alu instid0(VALU_DEP_1) | instskip(NEXT) | instid1(VALU_DEP_1)
	v_mul_u64_e32 v[22:23], s[22:23], v[2:3]
	v_mul_lo_u32 v22, v23, s30
	s_delay_alu instid0(VALU_DEP_1) | instskip(NEXT) | instid1(VALU_DEP_1)
	v_dual_sub_nc_u32 v2, v2, v22 :: v_dual_add_nc_u32 v22, 1, v23
	v_cmp_le_u32_e32 vcc_lo, s30, v2
	s_delay_alu instid0(VALU_DEP_2) | instskip(SKIP_1) | instid1(VALU_DEP_1)
	v_cndmask_b32_e32 v22, v23, v22, vcc_lo
	v_subrev_nc_u32_e32 v24, s30, v2
	v_dual_cndmask_b32 v2, v2, v24 :: v_dual_ashrrev_i32 v23, 31, v21
	s_delay_alu instid0(VALU_DEP_3) | instskip(NEXT) | instid1(VALU_DEP_2)
	v_add_nc_u32_e32 v24, 1, v22
	v_cmp_le_u32_e32 vcc_lo, s30, v2
	s_delay_alu instid0(VALU_DEP_2) | instskip(NEXT) | instid1(VALU_DEP_1)
	v_dual_cndmask_b32 v2, v22, v24, vcc_lo :: v_dual_bitop2_b32 v23, s25, v23 bitop3:0x14
	v_xor_b32_e32 v2, v2, v23
	s_delay_alu instid0(VALU_DEP_1) | instskip(NEXT) | instid1(VALU_DEP_1)
	v_dual_sub_nc_u32 v22, v2, v23 :: v_dual_mov_b32 v2, v9
	v_cmp_ne_u32_e64 s7, v22, v20
	v_cmp_eq_u32_e32 vcc_lo, v22, v20
	s_wait_xcnt 0x0
	s_and_saveexec_b32 s28, s7
	s_delay_alu instid0(SALU_CYCLE_1)
	s_xor_b32 s7, exec_lo, s28
; %bb.11:                               ;   in Loop: Header=BB117_10 Depth=2
	v_min_i32_e32 v19, v22, v19
                                        ; implicit-def: $vgpr21
                                        ; implicit-def: $vgpr2
; %bb.12:                               ;   in Loop: Header=BB117_10 Depth=2
	s_or_saveexec_b32 s7, s7
	v_mov_b32_e32 v9, v8
	s_xor_b32 exec_lo, exec_lo, s7
	s_cbranch_execz .LBB117_9
; %bb.13:                               ;   in Loop: Header=BB117_10 Depth=2
	v_ashrrev_i32_e32 v9, 31, v8
	s_delay_alu instid0(VALU_DEP_1)
	v_lshl_add_u64 v[22:23], v[8:9], 3, s[20:21]
	v_sub_nc_u32_e32 v9, v21, v18
	global_load_b64 v[22:23], v[22:23], off
	v_lshl_add_u32 v21, v9, 3, v14
	v_mov_b32_e32 v9, v2
	ds_store_b8 v3, v13 offset:1024
	s_wait_loadcnt 0x0
	ds_store_b64 v21, v[22:23]
	s_branch .LBB117_9
.LBB117_14:                             ;   in Loop: Header=BB117_7 Depth=1
	s_or_b32 exec_lo, exec_lo, s27
.LBB117_15:                             ;   in Loop: Header=BB117_7 Depth=1
	s_delay_alu instid0(SALU_CYCLE_1)
	s_or_b32 exec_lo, exec_lo, s24
	ds_bpermute_b32 v2, v16, v9
	s_wait_dscnt 0x0
	s_barrier_signal -1
	s_barrier_wait -1
	ds_load_u8 v8, v3 offset:1024
	s_mov_b32 s7, 0
	v_min_i32_e32 v2, v2, v9
	ds_bpermute_b32 v18, v15, v2
	s_wait_dscnt 0x1
	v_and_b32_e32 v2, 1, v8
	s_delay_alu instid0(VALU_DEP_1)
	v_cmp_eq_u32_e32 vcc_lo, 0, v2
	s_cbranch_vccnz .LBB117_21
; %bb.16:                               ;   in Loop: Header=BB117_7 Depth=1
	v_dual_add_nc_u32 v2, s18, v20 :: v_dual_mov_b32 v8, s26
	global_store_b32 v8, v2, s[14:15] scale_offset
	s_wait_xcnt 0x0
	s_and_saveexec_b32 s7, s19
	s_cbranch_execz .LBB117_20
; %bb.17:                               ;   in Loop: Header=BB117_7 Depth=1
	ds_load_b64 v[8:9], v12
	s_ashr_i32 s27, s26, 31
	s_and_b32 vcc_lo, exec_lo, s9
	s_mul_u64 s[28:29], s[12:13], s[26:27]
	s_cbranch_vccz .LBB117_35
; %bb.18:                               ;   in Loop: Header=BB117_7 Depth=1
	v_lshl_add_u64 v[20:21], s[28:29], 3, v[4:5]
	s_wait_dscnt 0x0
	global_store_b64 v[20:21], v[8:9], off
	s_cbranch_execnz .LBB117_20
.LBB117_19:                             ;   in Loop: Header=BB117_7 Depth=1
	s_wait_xcnt 0x0
	v_lshl_add_u64 v[20:21], s[28:29], 3, v[6:7]
	s_wait_dscnt 0x0
	global_store_b64 v[20:21], v[8:9], off
.LBB117_20:                             ;   in Loop: Header=BB117_7 Depth=1
	s_wait_xcnt 0x0
	s_or_b32 exec_lo, exec_lo, s7
	s_mov_b32 s7, 1
.LBB117_21:                             ;   in Loop: Header=BB117_7 Depth=1
	s_wait_storecnt_dscnt 0x0
	s_barrier_signal -1
	s_barrier_wait -1
	ds_store_b32 v17, v19
	s_wait_dscnt 0x0
	s_barrier_signal -1
	s_barrier_wait -1
	s_and_saveexec_b32 s24, s0
	s_cbranch_execz .LBB117_23
; %bb.22:                               ;   in Loop: Header=BB117_7 Depth=1
	ds_load_2addr_stride64_b32 v[8:9], v17 offset1:1
	s_wait_dscnt 0x0
	v_min_i32_e32 v2, v9, v8
	ds_store_b32 v17, v2
.LBB117_23:                             ;   in Loop: Header=BB117_7 Depth=1
	s_or_b32 exec_lo, exec_lo, s24
	s_wait_dscnt 0x0
	s_barrier_signal -1
	s_barrier_wait -1
	s_and_saveexec_b32 s24, s1
	s_cbranch_execz .LBB117_25
; %bb.24:                               ;   in Loop: Header=BB117_7 Depth=1
	ds_load_2addr_b32 v[8:9], v17 offset1:32
	s_wait_dscnt 0x0
	v_min_i32_e32 v2, v9, v8
	ds_store_b32 v17, v2
.LBB117_25:                             ;   in Loop: Header=BB117_7 Depth=1
	s_or_b32 exec_lo, exec_lo, s24
	s_wait_dscnt 0x0
	s_barrier_signal -1
	s_barrier_wait -1
	s_and_saveexec_b32 s24, s2
	s_cbranch_execz .LBB117_27
; %bb.26:                               ;   in Loop: Header=BB117_7 Depth=1
	ds_load_2addr_b32 v[8:9], v17 offset1:16
	s_wait_dscnt 0x0
	v_min_i32_e32 v2, v9, v8
	ds_store_b32 v17, v2
.LBB117_27:                             ;   in Loop: Header=BB117_7 Depth=1
	;; [unrolled: 12-line block ×5, first 2 shown]
	s_or_b32 exec_lo, exec_lo, s24
	s_wait_dscnt 0x0
	s_barrier_signal -1
	s_barrier_wait -1
	s_and_saveexec_b32 s24, s6
	s_cbranch_execz .LBB117_6
; %bb.34:                               ;   in Loop: Header=BB117_7 Depth=1
	ds_load_b64 v[8:9], v3
	s_wait_dscnt 0x0
	v_min_i32_e32 v2, v9, v8
	ds_store_b32 v3, v2
	s_branch .LBB117_6
.LBB117_35:                             ;   in Loop: Header=BB117_7 Depth=1
	s_branch .LBB117_19
.LBB117_36:
	s_endpgm
	.section	.rodata,"a",@progbits
	.p2align	6, 0x0
	.amdhsa_kernel _ZN9rocsparseL40csr2gebsr_block_per_row_multipass_kernelILj128ELj64ELj2EdEEv20rocsparse_direction_iiiiii21rocsparse_index_base_PKT2_PKiS7_S2_PS3_PiS9_
		.amdhsa_group_segment_fixed_size 1032
		.amdhsa_private_segment_fixed_size 0
		.amdhsa_kernarg_size 88
		.amdhsa_user_sgpr_count 2
		.amdhsa_user_sgpr_dispatch_ptr 0
		.amdhsa_user_sgpr_queue_ptr 0
		.amdhsa_user_sgpr_kernarg_segment_ptr 1
		.amdhsa_user_sgpr_dispatch_id 0
		.amdhsa_user_sgpr_kernarg_preload_length 0
		.amdhsa_user_sgpr_kernarg_preload_offset 0
		.amdhsa_user_sgpr_private_segment_size 0
		.amdhsa_wavefront_size32 1
		.amdhsa_uses_dynamic_stack 0
		.amdhsa_enable_private_segment 0
		.amdhsa_system_sgpr_workgroup_id_x 1
		.amdhsa_system_sgpr_workgroup_id_y 0
		.amdhsa_system_sgpr_workgroup_id_z 0
		.amdhsa_system_sgpr_workgroup_info 0
		.amdhsa_system_vgpr_workitem_id 0
		.amdhsa_next_free_vgpr 25
		.amdhsa_next_free_sgpr 31
		.amdhsa_named_barrier_count 0
		.amdhsa_reserve_vcc 1
		.amdhsa_float_round_mode_32 0
		.amdhsa_float_round_mode_16_64 0
		.amdhsa_float_denorm_mode_32 3
		.amdhsa_float_denorm_mode_16_64 3
		.amdhsa_fp16_overflow 0
		.amdhsa_memory_ordered 1
		.amdhsa_forward_progress 1
		.amdhsa_inst_pref_size 13
		.amdhsa_round_robin_scheduling 0
		.amdhsa_exception_fp_ieee_invalid_op 0
		.amdhsa_exception_fp_denorm_src 0
		.amdhsa_exception_fp_ieee_div_zero 0
		.amdhsa_exception_fp_ieee_overflow 0
		.amdhsa_exception_fp_ieee_underflow 0
		.amdhsa_exception_fp_ieee_inexact 0
		.amdhsa_exception_int_div_zero 0
	.end_amdhsa_kernel
	.section	.text._ZN9rocsparseL40csr2gebsr_block_per_row_multipass_kernelILj128ELj64ELj2EdEEv20rocsparse_direction_iiiiii21rocsparse_index_base_PKT2_PKiS7_S2_PS3_PiS9_,"axG",@progbits,_ZN9rocsparseL40csr2gebsr_block_per_row_multipass_kernelILj128ELj64ELj2EdEEv20rocsparse_direction_iiiiii21rocsparse_index_base_PKT2_PKiS7_S2_PS3_PiS9_,comdat
.Lfunc_end117:
	.size	_ZN9rocsparseL40csr2gebsr_block_per_row_multipass_kernelILj128ELj64ELj2EdEEv20rocsparse_direction_iiiiii21rocsparse_index_base_PKT2_PKiS7_S2_PS3_PiS9_, .Lfunc_end117-_ZN9rocsparseL40csr2gebsr_block_per_row_multipass_kernelILj128ELj64ELj2EdEEv20rocsparse_direction_iiiiii21rocsparse_index_base_PKT2_PKiS7_S2_PS3_PiS9_
                                        ; -- End function
	.set _ZN9rocsparseL40csr2gebsr_block_per_row_multipass_kernelILj128ELj64ELj2EdEEv20rocsparse_direction_iiiiii21rocsparse_index_base_PKT2_PKiS7_S2_PS3_PiS9_.num_vgpr, 25
	.set _ZN9rocsparseL40csr2gebsr_block_per_row_multipass_kernelILj128ELj64ELj2EdEEv20rocsparse_direction_iiiiii21rocsparse_index_base_PKT2_PKiS7_S2_PS3_PiS9_.num_agpr, 0
	.set _ZN9rocsparseL40csr2gebsr_block_per_row_multipass_kernelILj128ELj64ELj2EdEEv20rocsparse_direction_iiiiii21rocsparse_index_base_PKT2_PKiS7_S2_PS3_PiS9_.numbered_sgpr, 31
	.set _ZN9rocsparseL40csr2gebsr_block_per_row_multipass_kernelILj128ELj64ELj2EdEEv20rocsparse_direction_iiiiii21rocsparse_index_base_PKT2_PKiS7_S2_PS3_PiS9_.num_named_barrier, 0
	.set _ZN9rocsparseL40csr2gebsr_block_per_row_multipass_kernelILj128ELj64ELj2EdEEv20rocsparse_direction_iiiiii21rocsparse_index_base_PKT2_PKiS7_S2_PS3_PiS9_.private_seg_size, 0
	.set _ZN9rocsparseL40csr2gebsr_block_per_row_multipass_kernelILj128ELj64ELj2EdEEv20rocsparse_direction_iiiiii21rocsparse_index_base_PKT2_PKiS7_S2_PS3_PiS9_.uses_vcc, 1
	.set _ZN9rocsparseL40csr2gebsr_block_per_row_multipass_kernelILj128ELj64ELj2EdEEv20rocsparse_direction_iiiiii21rocsparse_index_base_PKT2_PKiS7_S2_PS3_PiS9_.uses_flat_scratch, 0
	.set _ZN9rocsparseL40csr2gebsr_block_per_row_multipass_kernelILj128ELj64ELj2EdEEv20rocsparse_direction_iiiiii21rocsparse_index_base_PKT2_PKiS7_S2_PS3_PiS9_.has_dyn_sized_stack, 0
	.set _ZN9rocsparseL40csr2gebsr_block_per_row_multipass_kernelILj128ELj64ELj2EdEEv20rocsparse_direction_iiiiii21rocsparse_index_base_PKT2_PKiS7_S2_PS3_PiS9_.has_recursion, 0
	.set _ZN9rocsparseL40csr2gebsr_block_per_row_multipass_kernelILj128ELj64ELj2EdEEv20rocsparse_direction_iiiiii21rocsparse_index_base_PKT2_PKiS7_S2_PS3_PiS9_.has_indirect_call, 0
	.section	.AMDGPU.csdata,"",@progbits
; Kernel info:
; codeLenInByte = 1600
; TotalNumSgprs: 33
; NumVgprs: 25
; ScratchSize: 0
; MemoryBound: 0
; FloatMode: 240
; IeeeMode: 1
; LDSByteSize: 1032 bytes/workgroup (compile time only)
; SGPRBlocks: 0
; VGPRBlocks: 1
; NumSGPRsForWavesPerEU: 33
; NumVGPRsForWavesPerEU: 25
; NamedBarCnt: 0
; Occupancy: 16
; WaveLimiterHint : 0
; COMPUTE_PGM_RSRC2:SCRATCH_EN: 0
; COMPUTE_PGM_RSRC2:USER_SGPR: 2
; COMPUTE_PGM_RSRC2:TRAP_HANDLER: 0
; COMPUTE_PGM_RSRC2:TGID_X_EN: 1
; COMPUTE_PGM_RSRC2:TGID_Y_EN: 0
; COMPUTE_PGM_RSRC2:TGID_Z_EN: 0
; COMPUTE_PGM_RSRC2:TIDIG_COMP_CNT: 0
	.section	.text._ZN9rocsparseL40csr2gebsr_block_per_row_multipass_kernelILj256ELj64ELj4EdEEv20rocsparse_direction_iiiiii21rocsparse_index_base_PKT2_PKiS7_S2_PS3_PiS9_,"axG",@progbits,_ZN9rocsparseL40csr2gebsr_block_per_row_multipass_kernelILj256ELj64ELj4EdEEv20rocsparse_direction_iiiiii21rocsparse_index_base_PKT2_PKiS7_S2_PS3_PiS9_,comdat
	.globl	_ZN9rocsparseL40csr2gebsr_block_per_row_multipass_kernelILj256ELj64ELj4EdEEv20rocsparse_direction_iiiiii21rocsparse_index_base_PKT2_PKiS7_S2_PS3_PiS9_ ; -- Begin function _ZN9rocsparseL40csr2gebsr_block_per_row_multipass_kernelILj256ELj64ELj4EdEEv20rocsparse_direction_iiiiii21rocsparse_index_base_PKT2_PKiS7_S2_PS3_PiS9_
	.p2align	8
	.type	_ZN9rocsparseL40csr2gebsr_block_per_row_multipass_kernelILj256ELj64ELj4EdEEv20rocsparse_direction_iiiiii21rocsparse_index_base_PKT2_PKiS7_S2_PS3_PiS9_,@function
_ZN9rocsparseL40csr2gebsr_block_per_row_multipass_kernelILj256ELj64ELj4EdEEv20rocsparse_direction_iiiiii21rocsparse_index_base_PKT2_PKiS7_S2_PS3_PiS9_: ; @_ZN9rocsparseL40csr2gebsr_block_per_row_multipass_kernelILj256ELj64ELj4EdEEv20rocsparse_direction_iiiiii21rocsparse_index_base_PKT2_PKiS7_S2_PS3_PiS9_
; %bb.0:
	s_clause 0x1
	s_load_b128 s[12:15], s[0:1], 0x10
	s_load_b64 s[30:31], s[0:1], 0x0
	s_bfe_u32 s2, ttmp6, 0x4000c
	s_and_b32 s3, ttmp6, 15
	s_add_co_i32 s2, s2, 1
	s_getreg_b32 s4, hwreg(HW_REG_IB_STS2, 6, 4)
	s_mul_i32 s2, ttmp9, s2
	v_dual_lshrrev_b32 v4, 2, v0 :: v_dual_mov_b32 v10, 0
	s_add_co_i32 s3, s3, s2
	s_cmp_eq_u32 s4, 0
	s_load_b64 s[6:7], s[0:1], 0x28
	s_cselect_b32 s4, ttmp9, s3
	v_mov_b32_e32 v19, 0
	s_wait_kmcnt 0x0
	v_mad_u32 v1, s13, s4, v4
	v_cmp_gt_i32_e32 vcc_lo, s13, v4
	s_delay_alu instid0(VALU_DEP_2) | instskip(SKIP_1) | instid1(SALU_CYCLE_1)
	v_cmp_gt_i32_e64 s2, s31, v1
	s_and_b32 s2, vcc_lo, s2
	s_and_saveexec_b32 s3, s2
	s_cbranch_execnz .LBB118_3
; %bb.1:
	s_or_b32 exec_lo, exec_lo, s3
	s_and_saveexec_b32 s3, s2
	s_cbranch_execnz .LBB118_4
.LBB118_2:
	s_or_b32 exec_lo, exec_lo, s3
	s_cmp_lt_i32 s12, 1
	s_cbranch_scc0 .LBB118_5
	s_branch .LBB118_38
.LBB118_3:
	global_load_b32 v2, v1, s[6:7] scale_offset
	s_wait_loadcnt 0x0
	v_subrev_nc_u32_e32 v19, s15, v2
	s_or_b32 exec_lo, exec_lo, s3
	s_and_saveexec_b32 s3, s2
	s_cbranch_execz .LBB118_2
.LBB118_4:
	global_load_b32 v1, v1, s[6:7] offset:4 scale_offset
	s_wait_loadcnt 0x0
	v_subrev_nc_u32_e32 v10, s15, v1
	s_or_b32 exec_lo, exec_lo, s3
	s_cmp_lt_i32 s12, 1
	s_cbranch_scc1 .LBB118_38
.LBB118_5:
	s_clause 0x1
	s_load_b128 s[16:19], s[0:1], 0x40
	s_load_b64 s[10:11], s[0:1], 0x50
	s_ashr_i32 s5, s4, 31
	s_clause 0x1
	s_load_b96 s[20:22], s[0:1], 0x30
	s_load_b64 s[24:25], s[0:1], 0x20
	s_wait_xcnt 0x0
	s_lshl_b64 s[0:1], s[4:5], 2
	v_dual_lshlrev_b32 v12, 3, v0 :: v_dual_bitop2_b32 v11, 3, v0 bitop3:0x40
	v_and_b32_e32 v5, 0xfc, v0
	v_mbcnt_lo_u32_b32 v16, -1, 0
	v_dual_mov_b32 v1, 0 :: v_dual_lshlrev_b32 v17, 2, v0
	s_delay_alu instid0(VALU_DEP_4)
	v_cmp_gt_u32_e64 s8, s14, v11
	v_cmp_gt_u32_e64 s2, 32, v0
	;; [unrolled: 1-line block ×5, first 2 shown]
	s_and_b32 s23, vcc_lo, s8
	v_cmp_gt_u32_e64 s6, 2, v0
	v_cmp_eq_u32_e64 s7, 0, v0
	v_mul_lo_u32 v6, s14, v4
	s_wait_kmcnt 0x0
	s_add_nc_u64 s[0:1], s[18:19], s[0:1]
	s_mov_b32 s18, s13
	s_load_b32 s9, s[0:1], 0x0
	s_wait_xcnt 0x0
	v_cmp_gt_u32_e64 s0, 0x80, v0
	v_cmp_gt_u32_e64 s1, 64, v0
	v_mul_lo_u32 v0, s13, v11
	v_dual_mov_b32 v13, 1 :: v_dual_bitop2_b32 v7, 2, v16 bitop3:0x14
	v_dual_lshlrev_b32 v14, 3, v5 :: v_dual_bitop2_b32 v5, 1, v16 bitop3:0x14
	v_mov_b64_e32 v[2:3], 0
	v_lshl_or_b32 v15, v16, 2, 12
	s_delay_alu instid0(VALU_DEP_4)
	v_cmp_gt_i32_e32 vcc_lo, 32, v7
	s_mov_b32 s19, 0
	s_mov_b32 s26, s14
	v_mov_b32_e32 v21, 0
	v_lshl_add_u64 v[8:9], v[0:1], 3, s[16:17]
	v_dual_cndmask_b32 v20, v16, v7 :: v_dual_ashrrev_i32 v7, 31, v6
	v_cmp_gt_i32_e32 vcc_lo, 32, v5
	v_lshlrev_b32_e32 v0, 3, v4
	s_wait_kmcnt 0x0
	s_sub_co_i32 s28, s9, s22
	s_cmp_lg_u32 s30, 0
	v_lshl_add_u64 v[6:7], v[6:7], 3, s[16:17]
	s_cselect_b32 s13, -1, 0
	s_abs_i32 s30, s14
	s_ashr_i32 s27, s14, 31
	s_cvt_f32_u32 s8, s30
	s_sub_co_i32 s9, 0, s30
	s_mul_u64 s[16:17], s[26:27], s[18:19]
	s_delay_alu instid0(SALU_CYCLE_1) | instskip(SKIP_1) | instid1(TRANS32_DEP_1)
	v_rcp_iflag_f32_e32 v18, s8
	v_nop
	v_readfirstlane_b32 s8, v18
	v_cndmask_b32_e32 v18, v16, v5, vcc_lo
	v_add_nc_u64_e32 v[4:5], v[8:9], v[0:1]
	v_dual_lshlrev_b32 v0, 3, v11 :: v_dual_sub_nc_u32 v8, 0, v17
	s_mul_f32 s8, s8, 0x4f7ffffe
	s_delay_alu instid0(VALU_DEP_3) | instskip(NEXT) | instid1(VALU_DEP_2)
	v_dual_lshlrev_b32 v16, 2, v20 :: v_dual_lshlrev_b32 v17, 2, v18
	v_add_nc_u64_e32 v[6:7], v[6:7], v[0:1]
	s_delay_alu instid0(SALU_CYCLE_1) | instskip(SKIP_1) | instid1(SALU_CYCLE_2)
	s_cvt_u32_f32 s8, s8
	v_add_nc_u32_e32 v18, v12, v8
	s_mul_i32 s9, s9, s8
	s_delay_alu instid0(SALU_CYCLE_1) | instskip(NEXT) | instid1(SALU_CYCLE_1)
	s_mul_hi_u32 s9, s8, s9
	s_add_co_i32 s18, s8, s9
	s_branch .LBB118_7
.LBB118_6:                              ;   in Loop: Header=BB118_7 Depth=1
	s_or_b32 exec_lo, exec_lo, s9
	s_wait_dscnt 0x0
	s_barrier_signal -1
	s_barrier_wait -1
	ds_load_b32 v21, v1
	s_add_co_i32 s28, s8, s28
	s_wait_dscnt 0x0
	s_barrier_signal -1
	s_barrier_wait -1
	v_cmp_gt_i32_e32 vcc_lo, s12, v21
	s_cbranch_vccz .LBB118_38
.LBB118_7:                              ; =>This Loop Header: Depth=1
                                        ;     Child Loop BB118_10 Depth 2
	v_dual_add_nc_u32 v8, v19, v11 :: v_dual_mov_b32 v20, s12
	v_mov_b32_e32 v9, v10
	s_mov_b32 s9, exec_lo
	ds_store_b8 v1, v1 offset:2048
	ds_store_b64 v12, v[2:3]
	s_wait_dscnt 0x0
	s_barrier_signal -1
	s_barrier_wait -1
	v_cmpx_lt_i32_e64 v8, v10
	s_cbranch_execz .LBB118_15
; %bb.8:                                ;   in Loop: Header=BB118_7 Depth=1
	v_mul_lo_u32 v19, v21, s14
	v_dual_mov_b32 v20, s12 :: v_dual_mov_b32 v9, v10
	s_mov_b32 s26, 0
	s_branch .LBB118_10
.LBB118_9:                              ;   in Loop: Header=BB118_10 Depth=2
	s_wait_xcnt 0x0
	s_or_b32 exec_lo, exec_lo, s8
	v_add_nc_u32_e32 v8, 4, v8
	s_xor_b32 s29, vcc_lo, -1
	s_delay_alu instid0(VALU_DEP_1) | instskip(SKIP_1) | instid1(SALU_CYCLE_1)
	v_cmp_ge_i32_e64 s8, v8, v10
	s_or_b32 s8, s29, s8
	s_and_b32 s8, exec_lo, s8
	s_delay_alu instid0(SALU_CYCLE_1) | instskip(NEXT) | instid1(SALU_CYCLE_1)
	s_or_b32 s26, s8, s26
	s_and_not1_b32 exec_lo, exec_lo, s26
	s_cbranch_execz .LBB118_14
.LBB118_10:                             ;   Parent Loop BB118_7 Depth=1
                                        ; =>  This Inner Loop Header: Depth=2
	global_load_b32 v0, v8, s[20:21] scale_offset
	s_wait_loadcnt 0x0
	v_subrev_nc_u32_e32 v22, s15, v0
	s_delay_alu instid0(VALU_DEP_1) | instskip(NEXT) | instid1(VALU_DEP_1)
	v_sub_nc_u32_e32 v0, 0, v22
	v_max_i32_e32 v0, v22, v0
	s_delay_alu instid0(VALU_DEP_1) | instskip(NEXT) | instid1(VALU_DEP_1)
	v_mul_u64_e32 v[24:25], s[18:19], v[0:1]
	v_mul_lo_u32 v23, v25, s30
	s_delay_alu instid0(VALU_DEP_1) | instskip(NEXT) | instid1(VALU_DEP_1)
	v_dual_sub_nc_u32 v0, v0, v23 :: v_dual_add_nc_u32 v23, 1, v25
	v_cmp_le_u32_e32 vcc_lo, s30, v0
	s_delay_alu instid0(VALU_DEP_2) | instskip(SKIP_1) | instid1(VALU_DEP_1)
	v_dual_cndmask_b32 v23, v25, v23, vcc_lo :: v_dual_ashrrev_i32 v25, 31, v22
	v_subrev_nc_u32_e32 v24, s30, v0
	v_dual_cndmask_b32 v0, v0, v24, vcc_lo :: v_dual_add_nc_u32 v24, 1, v23
	s_delay_alu instid0(VALU_DEP_1) | instskip(NEXT) | instid1(VALU_DEP_2)
	v_cmp_le_u32_e32 vcc_lo, s30, v0
	v_dual_cndmask_b32 v0, v23, v24, vcc_lo :: v_dual_bitop2_b32 v25, s27, v25 bitop3:0x14
	s_delay_alu instid0(VALU_DEP_1) | instskip(NEXT) | instid1(VALU_DEP_1)
	v_xor_b32_e32 v0, v0, v25
	v_dual_mov_b32 v0, v9 :: v_dual_sub_nc_u32 v23, v0, v25
	s_delay_alu instid0(VALU_DEP_1) | instskip(SKIP_3) | instid1(SALU_CYCLE_1)
	v_cmp_ne_u32_e64 s8, v23, v21
	v_cmp_eq_u32_e32 vcc_lo, v23, v21
	s_wait_xcnt 0x0
	s_and_saveexec_b32 s29, s8
	s_xor_b32 s8, exec_lo, s29
; %bb.11:                               ;   in Loop: Header=BB118_10 Depth=2
	v_min_i32_e32 v20, v23, v20
                                        ; implicit-def: $vgpr22
                                        ; implicit-def: $vgpr0
; %bb.12:                               ;   in Loop: Header=BB118_10 Depth=2
	s_or_saveexec_b32 s8, s8
	v_mov_b32_e32 v9, v8
	s_xor_b32 exec_lo, exec_lo, s8
	s_cbranch_execz .LBB118_9
; %bb.13:                               ;   in Loop: Header=BB118_10 Depth=2
	v_ashrrev_i32_e32 v9, 31, v8
	s_delay_alu instid0(VALU_DEP_1)
	v_lshl_add_u64 v[24:25], v[8:9], 3, s[24:25]
	v_sub_nc_u32_e32 v9, v22, v19
	global_load_b64 v[24:25], v[24:25], off
	v_lshl_add_u32 v22, v9, 3, v14
	v_mov_b32_e32 v9, v0
	ds_store_b8 v1, v13 offset:2048
	s_wait_loadcnt 0x0
	ds_store_b64 v22, v[24:25]
	s_branch .LBB118_9
.LBB118_14:                             ;   in Loop: Header=BB118_7 Depth=1
	s_or_b32 exec_lo, exec_lo, s26
.LBB118_15:                             ;   in Loop: Header=BB118_7 Depth=1
	s_delay_alu instid0(SALU_CYCLE_1)
	s_or_b32 exec_lo, exec_lo, s9
	ds_bpermute_b32 v0, v16, v9
	s_wait_dscnt 0x0
	s_barrier_signal -1
	s_barrier_wait -1
	s_mov_b32 s8, 0
	v_min_i32_e32 v0, v0, v9
	ds_load_u8 v9, v1 offset:2048
	ds_bpermute_b32 v8, v17, v0
	s_wait_dscnt 0x0
	v_min_i32_e32 v0, v8, v0
	ds_bpermute_b32 v19, v15, v0
	v_and_b32_e32 v0, 1, v9
	s_delay_alu instid0(VALU_DEP_1)
	v_cmp_eq_u32_e32 vcc_lo, 0, v0
	s_cbranch_vccnz .LBB118_21
; %bb.16:                               ;   in Loop: Header=BB118_7 Depth=1
	v_dual_add_nc_u32 v0, s22, v21 :: v_dual_mov_b32 v8, s28
	global_store_b32 v8, v0, s[10:11] scale_offset
	s_wait_xcnt 0x0
	s_and_saveexec_b32 s26, s23
	s_cbranch_execz .LBB118_20
; %bb.17:                               ;   in Loop: Header=BB118_7 Depth=1
	ds_load_b64 v[8:9], v12
	s_ashr_i32 s29, s28, 31
	s_and_b32 vcc_lo, exec_lo, s13
	s_mul_u64 s[8:9], s[16:17], s[28:29]
	s_cbranch_vccz .LBB118_37
; %bb.18:                               ;   in Loop: Header=BB118_7 Depth=1
	v_lshl_add_u64 v[22:23], s[8:9], 3, v[4:5]
	s_wait_dscnt 0x0
	global_store_b64 v[22:23], v[8:9], off
	s_cbranch_execnz .LBB118_20
.LBB118_19:                             ;   in Loop: Header=BB118_7 Depth=1
	s_wait_xcnt 0x0
	v_lshl_add_u64 v[22:23], s[8:9], 3, v[6:7]
	s_wait_dscnt 0x0
	global_store_b64 v[22:23], v[8:9], off
.LBB118_20:                             ;   in Loop: Header=BB118_7 Depth=1
	s_wait_xcnt 0x0
	s_or_b32 exec_lo, exec_lo, s26
	s_mov_b32 s8, 1
.LBB118_21:                             ;   in Loop: Header=BB118_7 Depth=1
	s_wait_storecnt_dscnt 0x0
	s_barrier_signal -1
	s_barrier_wait -1
	ds_store_b32 v18, v20
	s_wait_dscnt 0x0
	s_barrier_signal -1
	s_barrier_wait -1
	s_and_saveexec_b32 s9, s0
	s_cbranch_execz .LBB118_23
; %bb.22:                               ;   in Loop: Header=BB118_7 Depth=1
	ds_load_2addr_stride64_b32 v[8:9], v18 offset1:2
	s_wait_dscnt 0x0
	v_min_i32_e32 v0, v9, v8
	ds_store_b32 v18, v0
.LBB118_23:                             ;   in Loop: Header=BB118_7 Depth=1
	s_or_b32 exec_lo, exec_lo, s9
	s_wait_dscnt 0x0
	s_barrier_signal -1
	s_barrier_wait -1
	s_and_saveexec_b32 s9, s1
	s_cbranch_execz .LBB118_25
; %bb.24:                               ;   in Loop: Header=BB118_7 Depth=1
	ds_load_2addr_stride64_b32 v[8:9], v18 offset1:1
	s_wait_dscnt 0x0
	v_min_i32_e32 v0, v9, v8
	ds_store_b32 v18, v0
.LBB118_25:                             ;   in Loop: Header=BB118_7 Depth=1
	s_or_b32 exec_lo, exec_lo, s9
	s_wait_dscnt 0x0
	s_barrier_signal -1
	s_barrier_wait -1
	s_and_saveexec_b32 s9, s2
	s_cbranch_execz .LBB118_27
; %bb.26:                               ;   in Loop: Header=BB118_7 Depth=1
	ds_load_2addr_b32 v[8:9], v18 offset1:32
	s_wait_dscnt 0x0
	v_min_i32_e32 v0, v9, v8
	ds_store_b32 v18, v0
.LBB118_27:                             ;   in Loop: Header=BB118_7 Depth=1
	s_or_b32 exec_lo, exec_lo, s9
	s_wait_dscnt 0x0
	s_barrier_signal -1
	s_barrier_wait -1
	s_and_saveexec_b32 s9, s3
	s_cbranch_execz .LBB118_29
; %bb.28:                               ;   in Loop: Header=BB118_7 Depth=1
	ds_load_2addr_b32 v[8:9], v18 offset1:16
	s_wait_dscnt 0x0
	v_min_i32_e32 v0, v9, v8
	ds_store_b32 v18, v0
.LBB118_29:                             ;   in Loop: Header=BB118_7 Depth=1
	;; [unrolled: 12-line block ×5, first 2 shown]
	s_or_b32 exec_lo, exec_lo, s9
	s_wait_dscnt 0x0
	s_barrier_signal -1
	s_barrier_wait -1
	s_and_saveexec_b32 s9, s7
	s_cbranch_execz .LBB118_6
; %bb.36:                               ;   in Loop: Header=BB118_7 Depth=1
	ds_load_b64 v[8:9], v1
	s_wait_dscnt 0x0
	v_min_i32_e32 v0, v9, v8
	ds_store_b32 v1, v0
	s_branch .LBB118_6
.LBB118_37:                             ;   in Loop: Header=BB118_7 Depth=1
	s_branch .LBB118_19
.LBB118_38:
	s_endpgm
	.section	.rodata,"a",@progbits
	.p2align	6, 0x0
	.amdhsa_kernel _ZN9rocsparseL40csr2gebsr_block_per_row_multipass_kernelILj256ELj64ELj4EdEEv20rocsparse_direction_iiiiii21rocsparse_index_base_PKT2_PKiS7_S2_PS3_PiS9_
		.amdhsa_group_segment_fixed_size 2056
		.amdhsa_private_segment_fixed_size 0
		.amdhsa_kernarg_size 88
		.amdhsa_user_sgpr_count 2
		.amdhsa_user_sgpr_dispatch_ptr 0
		.amdhsa_user_sgpr_queue_ptr 0
		.amdhsa_user_sgpr_kernarg_segment_ptr 1
		.amdhsa_user_sgpr_dispatch_id 0
		.amdhsa_user_sgpr_kernarg_preload_length 0
		.amdhsa_user_sgpr_kernarg_preload_offset 0
		.amdhsa_user_sgpr_private_segment_size 0
		.amdhsa_wavefront_size32 1
		.amdhsa_uses_dynamic_stack 0
		.amdhsa_enable_private_segment 0
		.amdhsa_system_sgpr_workgroup_id_x 1
		.amdhsa_system_sgpr_workgroup_id_y 0
		.amdhsa_system_sgpr_workgroup_id_z 0
		.amdhsa_system_sgpr_workgroup_info 0
		.amdhsa_system_vgpr_workitem_id 0
		.amdhsa_next_free_vgpr 26
		.amdhsa_next_free_sgpr 32
		.amdhsa_named_barrier_count 0
		.amdhsa_reserve_vcc 1
		.amdhsa_float_round_mode_32 0
		.amdhsa_float_round_mode_16_64 0
		.amdhsa_float_denorm_mode_32 3
		.amdhsa_float_denorm_mode_16_64 3
		.amdhsa_fp16_overflow 0
		.amdhsa_memory_ordered 1
		.amdhsa_forward_progress 1
		.amdhsa_inst_pref_size 14
		.amdhsa_round_robin_scheduling 0
		.amdhsa_exception_fp_ieee_invalid_op 0
		.amdhsa_exception_fp_denorm_src 0
		.amdhsa_exception_fp_ieee_div_zero 0
		.amdhsa_exception_fp_ieee_overflow 0
		.amdhsa_exception_fp_ieee_underflow 0
		.amdhsa_exception_fp_ieee_inexact 0
		.amdhsa_exception_int_div_zero 0
	.end_amdhsa_kernel
	.section	.text._ZN9rocsparseL40csr2gebsr_block_per_row_multipass_kernelILj256ELj64ELj4EdEEv20rocsparse_direction_iiiiii21rocsparse_index_base_PKT2_PKiS7_S2_PS3_PiS9_,"axG",@progbits,_ZN9rocsparseL40csr2gebsr_block_per_row_multipass_kernelILj256ELj64ELj4EdEEv20rocsparse_direction_iiiiii21rocsparse_index_base_PKT2_PKiS7_S2_PS3_PiS9_,comdat
.Lfunc_end118:
	.size	_ZN9rocsparseL40csr2gebsr_block_per_row_multipass_kernelILj256ELj64ELj4EdEEv20rocsparse_direction_iiiiii21rocsparse_index_base_PKT2_PKiS7_S2_PS3_PiS9_, .Lfunc_end118-_ZN9rocsparseL40csr2gebsr_block_per_row_multipass_kernelILj256ELj64ELj4EdEEv20rocsparse_direction_iiiiii21rocsparse_index_base_PKT2_PKiS7_S2_PS3_PiS9_
                                        ; -- End function
	.set _ZN9rocsparseL40csr2gebsr_block_per_row_multipass_kernelILj256ELj64ELj4EdEEv20rocsparse_direction_iiiiii21rocsparse_index_base_PKT2_PKiS7_S2_PS3_PiS9_.num_vgpr, 26
	.set _ZN9rocsparseL40csr2gebsr_block_per_row_multipass_kernelILj256ELj64ELj4EdEEv20rocsparse_direction_iiiiii21rocsparse_index_base_PKT2_PKiS7_S2_PS3_PiS9_.num_agpr, 0
	.set _ZN9rocsparseL40csr2gebsr_block_per_row_multipass_kernelILj256ELj64ELj4EdEEv20rocsparse_direction_iiiiii21rocsparse_index_base_PKT2_PKiS7_S2_PS3_PiS9_.numbered_sgpr, 32
	.set _ZN9rocsparseL40csr2gebsr_block_per_row_multipass_kernelILj256ELj64ELj4EdEEv20rocsparse_direction_iiiiii21rocsparse_index_base_PKT2_PKiS7_S2_PS3_PiS9_.num_named_barrier, 0
	.set _ZN9rocsparseL40csr2gebsr_block_per_row_multipass_kernelILj256ELj64ELj4EdEEv20rocsparse_direction_iiiiii21rocsparse_index_base_PKT2_PKiS7_S2_PS3_PiS9_.private_seg_size, 0
	.set _ZN9rocsparseL40csr2gebsr_block_per_row_multipass_kernelILj256ELj64ELj4EdEEv20rocsparse_direction_iiiiii21rocsparse_index_base_PKT2_PKiS7_S2_PS3_PiS9_.uses_vcc, 1
	.set _ZN9rocsparseL40csr2gebsr_block_per_row_multipass_kernelILj256ELj64ELj4EdEEv20rocsparse_direction_iiiiii21rocsparse_index_base_PKT2_PKiS7_S2_PS3_PiS9_.uses_flat_scratch, 0
	.set _ZN9rocsparseL40csr2gebsr_block_per_row_multipass_kernelILj256ELj64ELj4EdEEv20rocsparse_direction_iiiiii21rocsparse_index_base_PKT2_PKiS7_S2_PS3_PiS9_.has_dyn_sized_stack, 0
	.set _ZN9rocsparseL40csr2gebsr_block_per_row_multipass_kernelILj256ELj64ELj4EdEEv20rocsparse_direction_iiiiii21rocsparse_index_base_PKT2_PKiS7_S2_PS3_PiS9_.has_recursion, 0
	.set _ZN9rocsparseL40csr2gebsr_block_per_row_multipass_kernelILj256ELj64ELj4EdEEv20rocsparse_direction_iiiiii21rocsparse_index_base_PKT2_PKiS7_S2_PS3_PiS9_.has_indirect_call, 0
	.section	.AMDGPU.csdata,"",@progbits
; Kernel info:
; codeLenInByte = 1712
; TotalNumSgprs: 34
; NumVgprs: 26
; ScratchSize: 0
; MemoryBound: 0
; FloatMode: 240
; IeeeMode: 1
; LDSByteSize: 2056 bytes/workgroup (compile time only)
; SGPRBlocks: 0
; VGPRBlocks: 1
; NumSGPRsForWavesPerEU: 34
; NumVGPRsForWavesPerEU: 26
; NamedBarCnt: 0
; Occupancy: 16
; WaveLimiterHint : 0
; COMPUTE_PGM_RSRC2:SCRATCH_EN: 0
; COMPUTE_PGM_RSRC2:USER_SGPR: 2
; COMPUTE_PGM_RSRC2:TRAP_HANDLER: 0
; COMPUTE_PGM_RSRC2:TGID_X_EN: 1
; COMPUTE_PGM_RSRC2:TGID_Y_EN: 0
; COMPUTE_PGM_RSRC2:TGID_Z_EN: 0
; COMPUTE_PGM_RSRC2:TIDIG_COMP_CNT: 0
	.section	.text._ZN9rocsparseL40csr2gebsr_block_per_row_multipass_kernelILj256ELj64ELj8EdEEv20rocsparse_direction_iiiiii21rocsparse_index_base_PKT2_PKiS7_S2_PS3_PiS9_,"axG",@progbits,_ZN9rocsparseL40csr2gebsr_block_per_row_multipass_kernelILj256ELj64ELj8EdEEv20rocsparse_direction_iiiiii21rocsparse_index_base_PKT2_PKiS7_S2_PS3_PiS9_,comdat
	.globl	_ZN9rocsparseL40csr2gebsr_block_per_row_multipass_kernelILj256ELj64ELj8EdEEv20rocsparse_direction_iiiiii21rocsparse_index_base_PKT2_PKiS7_S2_PS3_PiS9_ ; -- Begin function _ZN9rocsparseL40csr2gebsr_block_per_row_multipass_kernelILj256ELj64ELj8EdEEv20rocsparse_direction_iiiiii21rocsparse_index_base_PKT2_PKiS7_S2_PS3_PiS9_
	.p2align	8
	.type	_ZN9rocsparseL40csr2gebsr_block_per_row_multipass_kernelILj256ELj64ELj8EdEEv20rocsparse_direction_iiiiii21rocsparse_index_base_PKT2_PKiS7_S2_PS3_PiS9_,@function
_ZN9rocsparseL40csr2gebsr_block_per_row_multipass_kernelILj256ELj64ELj8EdEEv20rocsparse_direction_iiiiii21rocsparse_index_base_PKT2_PKiS7_S2_PS3_PiS9_: ; @_ZN9rocsparseL40csr2gebsr_block_per_row_multipass_kernelILj256ELj64ELj8EdEEv20rocsparse_direction_iiiiii21rocsparse_index_base_PKT2_PKiS7_S2_PS3_PiS9_
; %bb.0:
	s_clause 0x1
	s_load_b128 s[12:15], s[0:1], 0x10
	s_load_b64 s[8:9], s[0:1], 0x0
	s_bfe_u32 s2, ttmp6, 0x4000c
	s_and_b32 s3, ttmp6, 15
	s_add_co_i32 s2, s2, 1
	s_getreg_b32 s4, hwreg(HW_REG_IB_STS2, 6, 4)
	s_mul_i32 s2, ttmp9, s2
	v_dual_mov_b32 v18, 0 :: v_dual_lshrrev_b32 v1, 2, v0
	s_add_co_i32 s3, s3, s2
	s_cmp_eq_u32 s4, 0
	s_load_b64 s[6:7], s[0:1], 0x28
	s_cselect_b32 s4, ttmp9, s3
	v_mov_b32_e32 v27, 0
	s_wait_kmcnt 0x0
	v_mad_u32 v2, s13, s4, v1
	v_cmp_gt_i32_e32 vcc_lo, s13, v1
	s_delay_alu instid0(VALU_DEP_2) | instskip(SKIP_1) | instid1(SALU_CYCLE_1)
	v_cmp_gt_i32_e64 s2, s9, v2
	s_and_b32 s2, vcc_lo, s2
	s_and_saveexec_b32 s3, s2
	s_cbranch_execnz .LBB119_3
; %bb.1:
	s_or_b32 exec_lo, exec_lo, s3
	s_and_saveexec_b32 s3, s2
	s_cbranch_execnz .LBB119_4
.LBB119_2:
	s_or_b32 exec_lo, exec_lo, s3
	s_cmp_lt_i32 s12, 1
	s_cbranch_scc0 .LBB119_5
	s_branch .LBB119_43
.LBB119_3:
	global_load_b32 v3, v2, s[6:7] scale_offset
	s_wait_loadcnt 0x0
	v_subrev_nc_u32_e32 v27, s15, v3
	s_or_b32 exec_lo, exec_lo, s3
	s_and_saveexec_b32 s3, s2
	s_cbranch_execz .LBB119_2
.LBB119_4:
	global_load_b32 v2, v2, s[6:7] offset:4 scale_offset
	s_wait_loadcnt 0x0
	v_subrev_nc_u32_e32 v18, s15, v2
	s_or_b32 exec_lo, exec_lo, s3
	s_cmp_lt_i32 s12, 1
	s_cbranch_scc1 .LBB119_43
.LBB119_5:
	s_clause 0x3
	s_load_b128 s[16:19], s[0:1], 0x40
	s_load_b64 s[10:11], s[0:1], 0x50
	s_load_b96 s[20:22], s[0:1], 0x30
	s_load_b64 s[24:25], s[0:1], 0x20
	s_ashr_i32 s5, s4, 31
	v_dual_lshlrev_b32 v20, 6, v1 :: v_dual_bitop2_b32 v19, 3, v0 bitop3:0x40
	s_wait_xcnt 0x0
	s_lshl_b64 s[0:1], s[4:5], 2
	v_mbcnt_lo_u32_b32 v6, -1, 0
	v_dual_mov_b32 v3, 0 :: v_dual_lshlrev_b32 v2, 3, v1
	v_lshlrev_b32_e32 v10, 3, v19
	v_mul_lo_u32 v8, s14, v1
	s_delay_alu instid0(VALU_DEP_4) | instskip(NEXT) | instid1(VALU_DEP_4)
	v_xor_b32_e32 v9, 2, v6
	v_dual_mov_b32 v11, v3 :: v_dual_bitop2_b32 v12, 1, v6 bitop3:0x14
	v_mul_lo_u32 v4, v19, s13
	v_lshl_or_b32 v23, v6, 2, 12
	v_dual_mov_b32 v5, v3 :: v_dual_bitop2_b32 v13, 4, v19 bitop3:0x54
	s_wait_kmcnt 0x0
	s_add_nc_u64 s[0:1], s[18:19], s[0:1]
	s_mov_b32 s26, s13
	s_load_b32 s9, s[0:1], 0x0
	v_dual_mov_b32 v22, 1 :: v_dual_lshlrev_b32 v21, 2, v0
	s_wait_xcnt 0x0
	v_cmp_gt_u32_e64 s0, 0x80, v0
	v_cmp_gt_u32_e64 s1, 64, v0
	;; [unrolled: 1-line block ×7, first 2 shown]
	v_cmp_eq_u32_e64 s7, 0, v0
	v_mov_b64_e32 v[0:1], 0
	v_add_nc_u32_e32 v24, v10, v20
	s_mov_b32 s27, 0
	s_mov_b32 s18, s14
	s_wait_kmcnt 0x0
	s_sub_co_i32 s28, s9, s22
	s_cmp_lg_u32 s8, 0
	v_cmp_gt_u32_e64 s8, s14, v19
	s_cselect_b32 s23, -1, 0
	s_abs_i32 s30, s14
	s_delay_alu instid0(SALU_CYCLE_1) | instskip(NEXT) | instid1(SALU_CYCLE_3)
	s_cvt_f32_u32 s9, s30
	v_rcp_iflag_f32_e32 v14, s9
	v_cmp_gt_i32_e64 s9, 32, v9
	s_delay_alu instid0(VALU_DEP_1) | instskip(SKIP_1) | instid1(TRANS32_DEP_1)
	v_dual_mov_b32 v7, v3 :: v_dual_cndmask_b32 v15, v6, v9, s9
	v_cmp_gt_i32_e64 s9, 32, v12
	v_readfirstlane_b32 s19, v14
	s_delay_alu instid0(VALU_DEP_3) | instskip(NEXT) | instid1(VALU_DEP_3)
	v_dual_mov_b32 v14, 0 :: v_dual_lshlrev_b32 v25, 2, v15
	v_cndmask_b32_e64 v6, v6, v12, s9
	v_ashrrev_i32_e32 v9, 31, v8
	v_cmp_gt_u32_e64 s9, s14, v13
	s_delay_alu instid0(VALU_DEP_3)
	v_lshlrev_b32_e32 v26, 2, v6
	v_lshl_add_u32 v6, s13, 2, v4
	s_mul_f32 s13, s19, 0x4f7ffffe
	v_lshl_add_u64 v[12:13], v[8:9], 3, s[16:17]
	v_add_nc_u64_e32 v[8:9], s[16:17], v[2:3]
	s_ashr_i32 s19, s14, 31
	s_cvt_u32_f32 s29, s13
	s_and_b32 s13, vcc_lo, s8
	s_sub_co_i32 s8, 0, s30
	v_add_nc_u64_e32 v[10:11], v[12:13], v[10:11]
	s_mul_i32 s8, s8, s29
	s_mul_u64 s[16:17], s[18:19], s[26:27]
	s_mul_hi_u32 s8, s29, s8
	s_and_b32 s9, vcc_lo, s9
	s_add_co_i32 s26, s29, s8
	s_branch .LBB119_7
.LBB119_6:                              ;   in Loop: Header=BB119_7 Depth=1
	s_or_b32 exec_lo, exec_lo, s18
	s_wait_dscnt 0x0
	s_barrier_signal -1
	s_barrier_wait -1
	ds_load_b32 v14, v3
	s_add_co_i32 s28, s8, s28
	s_wait_dscnt 0x0
	s_barrier_signal -1
	s_barrier_wait -1
	v_cmp_gt_i32_e32 vcc_lo, s12, v14
	s_cbranch_vccz .LBB119_43
.LBB119_7:                              ; =>This Loop Header: Depth=1
                                        ;     Child Loop BB119_10 Depth 2
	v_dual_add_nc_u32 v12, v27, v19 :: v_dual_mov_b32 v28, s12
	v_mov_b32_e32 v13, v18
	s_mov_b32 s18, exec_lo
	ds_store_b8 v3, v3 offset:4096
	ds_store_2addr_b64 v24, v[0:1], v[0:1] offset1:4
	s_wait_dscnt 0x0
	s_barrier_signal -1
	s_barrier_wait -1
	v_cmpx_lt_i32_e64 v12, v18
	s_cbranch_execz .LBB119_15
; %bb.8:                                ;   in Loop: Header=BB119_7 Depth=1
	v_mul_lo_u32 v15, v14, s14
	v_dual_mov_b32 v28, s12 :: v_dual_mov_b32 v13, v18
	s_mov_b32 s29, 0
	s_branch .LBB119_10
.LBB119_9:                              ;   in Loop: Header=BB119_10 Depth=2
	s_wait_xcnt 0x0
	s_or_b32 exec_lo, exec_lo, s8
	v_add_nc_u32_e32 v12, 4, v12
	s_xor_b32 s31, vcc_lo, -1
	s_delay_alu instid0(VALU_DEP_1) | instskip(SKIP_1) | instid1(SALU_CYCLE_1)
	v_cmp_ge_i32_e64 s8, v12, v18
	s_or_b32 s8, s31, s8
	s_and_b32 s8, exec_lo, s8
	s_delay_alu instid0(SALU_CYCLE_1) | instskip(NEXT) | instid1(SALU_CYCLE_1)
	s_or_b32 s29, s8, s29
	s_and_not1_b32 exec_lo, exec_lo, s29
	s_cbranch_execz .LBB119_14
.LBB119_10:                             ;   Parent Loop BB119_7 Depth=1
                                        ; =>  This Inner Loop Header: Depth=2
	global_load_b32 v2, v12, s[20:21] scale_offset
	s_wait_loadcnt 0x0
	v_subrev_nc_u32_e32 v16, s15, v2
	s_delay_alu instid0(VALU_DEP_1) | instskip(NEXT) | instid1(VALU_DEP_1)
	v_dual_sub_nc_u32 v2, 0, v16 :: v_dual_ashrrev_i32 v29, 31, v16
	v_max_i32_e32 v2, v16, v2
	s_delay_alu instid0(VALU_DEP_1) | instskip(NEXT) | instid1(VALU_DEP_1)
	v_mul_u64_e32 v[30:31], s[26:27], v[2:3]
	v_mul_lo_u32 v17, v31, s30
	s_delay_alu instid0(VALU_DEP_1) | instskip(NEXT) | instid1(VALU_DEP_1)
	v_dual_sub_nc_u32 v2, v2, v17 :: v_dual_add_nc_u32 v17, 1, v31
	v_subrev_nc_u32_e32 v27, s30, v2
	v_cmp_le_u32_e32 vcc_lo, s30, v2
	s_delay_alu instid0(VALU_DEP_2) | instskip(NEXT) | instid1(VALU_DEP_1)
	v_dual_cndmask_b32 v17, v31, v17 :: v_dual_cndmask_b32 v2, v2, v27
	v_add_nc_u32_e32 v27, 1, v17
	s_delay_alu instid0(VALU_DEP_2) | instskip(NEXT) | instid1(VALU_DEP_2)
	v_cmp_le_u32_e32 vcc_lo, s30, v2
	v_dual_cndmask_b32 v2, v17, v27, vcc_lo :: v_dual_bitop2_b32 v29, s19, v29 bitop3:0x14
	s_delay_alu instid0(VALU_DEP_1) | instskip(NEXT) | instid1(VALU_DEP_1)
	v_xor_b32_e32 v2, v2, v29
	v_dual_mov_b32 v2, v13 :: v_dual_sub_nc_u32 v17, v2, v29
	s_delay_alu instid0(VALU_DEP_1) | instskip(SKIP_3) | instid1(SALU_CYCLE_1)
	v_cmp_ne_u32_e64 s8, v17, v14
	v_cmp_eq_u32_e32 vcc_lo, v17, v14
	s_wait_xcnt 0x0
	s_and_saveexec_b32 s31, s8
	s_xor_b32 s8, exec_lo, s31
; %bb.11:                               ;   in Loop: Header=BB119_10 Depth=2
	v_min_i32_e32 v28, v17, v28
                                        ; implicit-def: $vgpr16
                                        ; implicit-def: $vgpr2
; %bb.12:                               ;   in Loop: Header=BB119_10 Depth=2
	s_or_saveexec_b32 s8, s8
	v_mov_b32_e32 v13, v12
	s_xor_b32 exec_lo, exec_lo, s8
	s_cbranch_execz .LBB119_9
; %bb.13:                               ;   in Loop: Header=BB119_10 Depth=2
	v_ashrrev_i32_e32 v13, 31, v12
	s_delay_alu instid0(VALU_DEP_1)
	v_lshl_add_u64 v[30:31], v[12:13], 3, s[24:25]
	v_sub_nc_u32_e32 v13, v16, v15
	global_load_b64 v[30:31], v[30:31], off
	v_lshl_add_u32 v16, v13, 3, v20
	v_mov_b32_e32 v13, v2
	ds_store_b8 v3, v22 offset:4096
	s_wait_loadcnt 0x0
	ds_store_b64 v16, v[30:31]
	s_branch .LBB119_9
.LBB119_14:                             ;   in Loop: Header=BB119_7 Depth=1
	s_or_b32 exec_lo, exec_lo, s29
.LBB119_15:                             ;   in Loop: Header=BB119_7 Depth=1
	s_delay_alu instid0(SALU_CYCLE_1)
	s_or_b32 exec_lo, exec_lo, s18
	ds_bpermute_b32 v2, v25, v13
	s_wait_dscnt 0x0
	s_barrier_signal -1
	s_barrier_wait -1
	s_mov_b32 s8, 0
	v_min_i32_e32 v2, v2, v13
	ds_load_u8 v13, v3 offset:4096
	ds_bpermute_b32 v12, v26, v2
	s_wait_dscnt 0x0
	v_min_i32_e32 v2, v12, v2
	ds_bpermute_b32 v27, v23, v2
	v_and_b32_e32 v2, 1, v13
	s_delay_alu instid0(VALU_DEP_1)
	v_cmp_eq_u32_e32 vcc_lo, 0, v2
	s_cbranch_vccnz .LBB119_25
; %bb.16:                               ;   in Loop: Header=BB119_7 Depth=1
	s_ashr_i32 s29, s28, 31
	v_dual_add_nc_u32 v2, s22, v14 :: v_dual_mov_b32 v16, s28
	s_mul_u64 s[34:35], s[16:17], s[28:29]
	s_delay_alu instid0(SALU_CYCLE_1) | instskip(NEXT) | instid1(SALU_CYCLE_1)
	s_lshl_b64 s[34:35], s[34:35], 3
	v_add_nc_u64_e32 v[14:15], s[34:35], v[8:9]
	v_add_nc_u64_e32 v[12:13], s[34:35], v[10:11]
	global_store_b32 v16, v2, s[10:11] scale_offset
	s_wait_xcnt 0x0
	s_and_saveexec_b32 s8, s13
	s_cbranch_execz .LBB119_20
; %bb.17:                               ;   in Loop: Header=BB119_7 Depth=1
	ds_load_b64 v[16:17], v24
	s_and_b32 vcc_lo, exec_lo, s23
	s_cbranch_vccz .LBB119_41
; %bb.18:                               ;   in Loop: Header=BB119_7 Depth=1
	v_lshl_add_u64 v[30:31], v[4:5], 3, v[14:15]
	s_wait_dscnt 0x0
	global_store_b64 v[30:31], v[16:17], off
	s_cbranch_execnz .LBB119_20
.LBB119_19:                             ;   in Loop: Header=BB119_7 Depth=1
	s_wait_dscnt 0x0
	global_store_b64 v[12:13], v[16:17], off
.LBB119_20:                             ;   in Loop: Header=BB119_7 Depth=1
	s_wait_xcnt 0x0
	s_or_b32 exec_lo, exec_lo, s8
	s_and_saveexec_b32 s8, s9
	s_cbranch_execz .LBB119_24
; %bb.21:                               ;   in Loop: Header=BB119_7 Depth=1
	s_wait_dscnt 0x0
	ds_load_b64 v[16:17], v24 offset:32
	s_and_not1_b32 vcc_lo, exec_lo, s23
	s_cbranch_vccnz .LBB119_42
; %bb.22:                               ;   in Loop: Header=BB119_7 Depth=1
	v_lshl_add_u64 v[14:15], v[6:7], 3, v[14:15]
	s_wait_dscnt 0x0
	global_store_b64 v[14:15], v[16:17], off
	s_cbranch_execnz .LBB119_24
.LBB119_23:                             ;   in Loop: Header=BB119_7 Depth=1
	s_wait_dscnt 0x0
	global_store_b64 v[12:13], v[16:17], off offset:32
.LBB119_24:                             ;   in Loop: Header=BB119_7 Depth=1
	s_wait_xcnt 0x0
	s_or_b32 exec_lo, exec_lo, s8
	s_mov_b32 s8, 1
.LBB119_25:                             ;   in Loop: Header=BB119_7 Depth=1
	s_wait_storecnt_dscnt 0x0
	s_barrier_signal -1
	s_barrier_wait -1
	ds_store_b32 v21, v28
	s_wait_dscnt 0x0
	s_barrier_signal -1
	s_barrier_wait -1
	s_and_saveexec_b32 s18, s0
	s_cbranch_execz .LBB119_27
; %bb.26:                               ;   in Loop: Header=BB119_7 Depth=1
	ds_load_2addr_stride64_b32 v[12:13], v21 offset1:2
	s_wait_dscnt 0x0
	v_min_i32_e32 v2, v13, v12
	ds_store_b32 v21, v2
.LBB119_27:                             ;   in Loop: Header=BB119_7 Depth=1
	s_or_b32 exec_lo, exec_lo, s18
	s_wait_dscnt 0x0
	s_barrier_signal -1
	s_barrier_wait -1
	s_and_saveexec_b32 s18, s1
	s_cbranch_execz .LBB119_29
; %bb.28:                               ;   in Loop: Header=BB119_7 Depth=1
	ds_load_2addr_stride64_b32 v[12:13], v21 offset1:1
	s_wait_dscnt 0x0
	v_min_i32_e32 v2, v13, v12
	ds_store_b32 v21, v2
.LBB119_29:                             ;   in Loop: Header=BB119_7 Depth=1
	s_or_b32 exec_lo, exec_lo, s18
	s_wait_dscnt 0x0
	s_barrier_signal -1
	s_barrier_wait -1
	s_and_saveexec_b32 s18, s2
	s_cbranch_execz .LBB119_31
; %bb.30:                               ;   in Loop: Header=BB119_7 Depth=1
	ds_load_2addr_b32 v[12:13], v21 offset1:32
	s_wait_dscnt 0x0
	v_min_i32_e32 v2, v13, v12
	ds_store_b32 v21, v2
.LBB119_31:                             ;   in Loop: Header=BB119_7 Depth=1
	s_or_b32 exec_lo, exec_lo, s18
	s_wait_dscnt 0x0
	s_barrier_signal -1
	s_barrier_wait -1
	s_and_saveexec_b32 s18, s3
	s_cbranch_execz .LBB119_33
; %bb.32:                               ;   in Loop: Header=BB119_7 Depth=1
	ds_load_2addr_b32 v[12:13], v21 offset1:16
	s_wait_dscnt 0x0
	v_min_i32_e32 v2, v13, v12
	ds_store_b32 v21, v2
.LBB119_33:                             ;   in Loop: Header=BB119_7 Depth=1
	;; [unrolled: 12-line block ×5, first 2 shown]
	s_or_b32 exec_lo, exec_lo, s18
	s_wait_dscnt 0x0
	s_barrier_signal -1
	s_barrier_wait -1
	s_and_saveexec_b32 s18, s7
	s_cbranch_execz .LBB119_6
; %bb.40:                               ;   in Loop: Header=BB119_7 Depth=1
	ds_load_b64 v[12:13], v3
	s_wait_dscnt 0x0
	v_min_i32_e32 v2, v13, v12
	ds_store_b32 v3, v2
	s_branch .LBB119_6
.LBB119_41:                             ;   in Loop: Header=BB119_7 Depth=1
	s_branch .LBB119_19
.LBB119_42:                             ;   in Loop: Header=BB119_7 Depth=1
	s_branch .LBB119_23
.LBB119_43:
	s_endpgm
	.section	.rodata,"a",@progbits
	.p2align	6, 0x0
	.amdhsa_kernel _ZN9rocsparseL40csr2gebsr_block_per_row_multipass_kernelILj256ELj64ELj8EdEEv20rocsparse_direction_iiiiii21rocsparse_index_base_PKT2_PKiS7_S2_PS3_PiS9_
		.amdhsa_group_segment_fixed_size 4104
		.amdhsa_private_segment_fixed_size 0
		.amdhsa_kernarg_size 88
		.amdhsa_user_sgpr_count 2
		.amdhsa_user_sgpr_dispatch_ptr 0
		.amdhsa_user_sgpr_queue_ptr 0
		.amdhsa_user_sgpr_kernarg_segment_ptr 1
		.amdhsa_user_sgpr_dispatch_id 0
		.amdhsa_user_sgpr_kernarg_preload_length 0
		.amdhsa_user_sgpr_kernarg_preload_offset 0
		.amdhsa_user_sgpr_private_segment_size 0
		.amdhsa_wavefront_size32 1
		.amdhsa_uses_dynamic_stack 0
		.amdhsa_enable_private_segment 0
		.amdhsa_system_sgpr_workgroup_id_x 1
		.amdhsa_system_sgpr_workgroup_id_y 0
		.amdhsa_system_sgpr_workgroup_id_z 0
		.amdhsa_system_sgpr_workgroup_info 0
		.amdhsa_system_vgpr_workitem_id 0
		.amdhsa_next_free_vgpr 32
		.amdhsa_next_free_sgpr 36
		.amdhsa_named_barrier_count 0
		.amdhsa_reserve_vcc 1
		.amdhsa_float_round_mode_32 0
		.amdhsa_float_round_mode_16_64 0
		.amdhsa_float_denorm_mode_32 3
		.amdhsa_float_denorm_mode_16_64 3
		.amdhsa_fp16_overflow 0
		.amdhsa_memory_ordered 1
		.amdhsa_forward_progress 1
		.amdhsa_inst_pref_size 15
		.amdhsa_round_robin_scheduling 0
		.amdhsa_exception_fp_ieee_invalid_op 0
		.amdhsa_exception_fp_denorm_src 0
		.amdhsa_exception_fp_ieee_div_zero 0
		.amdhsa_exception_fp_ieee_overflow 0
		.amdhsa_exception_fp_ieee_underflow 0
		.amdhsa_exception_fp_ieee_inexact 0
		.amdhsa_exception_int_div_zero 0
	.end_amdhsa_kernel
	.section	.text._ZN9rocsparseL40csr2gebsr_block_per_row_multipass_kernelILj256ELj64ELj8EdEEv20rocsparse_direction_iiiiii21rocsparse_index_base_PKT2_PKiS7_S2_PS3_PiS9_,"axG",@progbits,_ZN9rocsparseL40csr2gebsr_block_per_row_multipass_kernelILj256ELj64ELj8EdEEv20rocsparse_direction_iiiiii21rocsparse_index_base_PKT2_PKiS7_S2_PS3_PiS9_,comdat
.Lfunc_end119:
	.size	_ZN9rocsparseL40csr2gebsr_block_per_row_multipass_kernelILj256ELj64ELj8EdEEv20rocsparse_direction_iiiiii21rocsparse_index_base_PKT2_PKiS7_S2_PS3_PiS9_, .Lfunc_end119-_ZN9rocsparseL40csr2gebsr_block_per_row_multipass_kernelILj256ELj64ELj8EdEEv20rocsparse_direction_iiiiii21rocsparse_index_base_PKT2_PKiS7_S2_PS3_PiS9_
                                        ; -- End function
	.set _ZN9rocsparseL40csr2gebsr_block_per_row_multipass_kernelILj256ELj64ELj8EdEEv20rocsparse_direction_iiiiii21rocsparse_index_base_PKT2_PKiS7_S2_PS3_PiS9_.num_vgpr, 32
	.set _ZN9rocsparseL40csr2gebsr_block_per_row_multipass_kernelILj256ELj64ELj8EdEEv20rocsparse_direction_iiiiii21rocsparse_index_base_PKT2_PKiS7_S2_PS3_PiS9_.num_agpr, 0
	.set _ZN9rocsparseL40csr2gebsr_block_per_row_multipass_kernelILj256ELj64ELj8EdEEv20rocsparse_direction_iiiiii21rocsparse_index_base_PKT2_PKiS7_S2_PS3_PiS9_.numbered_sgpr, 36
	.set _ZN9rocsparseL40csr2gebsr_block_per_row_multipass_kernelILj256ELj64ELj8EdEEv20rocsparse_direction_iiiiii21rocsparse_index_base_PKT2_PKiS7_S2_PS3_PiS9_.num_named_barrier, 0
	.set _ZN9rocsparseL40csr2gebsr_block_per_row_multipass_kernelILj256ELj64ELj8EdEEv20rocsparse_direction_iiiiii21rocsparse_index_base_PKT2_PKiS7_S2_PS3_PiS9_.private_seg_size, 0
	.set _ZN9rocsparseL40csr2gebsr_block_per_row_multipass_kernelILj256ELj64ELj8EdEEv20rocsparse_direction_iiiiii21rocsparse_index_base_PKT2_PKiS7_S2_PS3_PiS9_.uses_vcc, 1
	.set _ZN9rocsparseL40csr2gebsr_block_per_row_multipass_kernelILj256ELj64ELj8EdEEv20rocsparse_direction_iiiiii21rocsparse_index_base_PKT2_PKiS7_S2_PS3_PiS9_.uses_flat_scratch, 0
	.set _ZN9rocsparseL40csr2gebsr_block_per_row_multipass_kernelILj256ELj64ELj8EdEEv20rocsparse_direction_iiiiii21rocsparse_index_base_PKT2_PKiS7_S2_PS3_PiS9_.has_dyn_sized_stack, 0
	.set _ZN9rocsparseL40csr2gebsr_block_per_row_multipass_kernelILj256ELj64ELj8EdEEv20rocsparse_direction_iiiiii21rocsparse_index_base_PKT2_PKiS7_S2_PS3_PiS9_.has_recursion, 0
	.set _ZN9rocsparseL40csr2gebsr_block_per_row_multipass_kernelILj256ELj64ELj8EdEEv20rocsparse_direction_iiiiii21rocsparse_index_base_PKT2_PKiS7_S2_PS3_PiS9_.has_indirect_call, 0
	.section	.AMDGPU.csdata,"",@progbits
; Kernel info:
; codeLenInByte = 1796
; TotalNumSgprs: 38
; NumVgprs: 32
; ScratchSize: 0
; MemoryBound: 0
; FloatMode: 240
; IeeeMode: 1
; LDSByteSize: 4104 bytes/workgroup (compile time only)
; SGPRBlocks: 0
; VGPRBlocks: 1
; NumSGPRsForWavesPerEU: 38
; NumVGPRsForWavesPerEU: 32
; NamedBarCnt: 0
; Occupancy: 16
; WaveLimiterHint : 0
; COMPUTE_PGM_RSRC2:SCRATCH_EN: 0
; COMPUTE_PGM_RSRC2:USER_SGPR: 2
; COMPUTE_PGM_RSRC2:TRAP_HANDLER: 0
; COMPUTE_PGM_RSRC2:TGID_X_EN: 1
; COMPUTE_PGM_RSRC2:TGID_Y_EN: 0
; COMPUTE_PGM_RSRC2:TGID_Z_EN: 0
; COMPUTE_PGM_RSRC2:TIDIG_COMP_CNT: 0
	.section	.text._ZN9rocsparseL40csr2gebsr_block_per_row_multipass_kernelILj256ELj64ELj16EdEEv20rocsparse_direction_iiiiii21rocsparse_index_base_PKT2_PKiS7_S2_PS3_PiS9_,"axG",@progbits,_ZN9rocsparseL40csr2gebsr_block_per_row_multipass_kernelILj256ELj64ELj16EdEEv20rocsparse_direction_iiiiii21rocsparse_index_base_PKT2_PKiS7_S2_PS3_PiS9_,comdat
	.globl	_ZN9rocsparseL40csr2gebsr_block_per_row_multipass_kernelILj256ELj64ELj16EdEEv20rocsparse_direction_iiiiii21rocsparse_index_base_PKT2_PKiS7_S2_PS3_PiS9_ ; -- Begin function _ZN9rocsparseL40csr2gebsr_block_per_row_multipass_kernelILj256ELj64ELj16EdEEv20rocsparse_direction_iiiiii21rocsparse_index_base_PKT2_PKiS7_S2_PS3_PiS9_
	.p2align	8
	.type	_ZN9rocsparseL40csr2gebsr_block_per_row_multipass_kernelILj256ELj64ELj16EdEEv20rocsparse_direction_iiiiii21rocsparse_index_base_PKT2_PKiS7_S2_PS3_PiS9_,@function
_ZN9rocsparseL40csr2gebsr_block_per_row_multipass_kernelILj256ELj64ELj16EdEEv20rocsparse_direction_iiiiii21rocsparse_index_base_PKT2_PKiS7_S2_PS3_PiS9_: ; @_ZN9rocsparseL40csr2gebsr_block_per_row_multipass_kernelILj256ELj64ELj16EdEEv20rocsparse_direction_iiiiii21rocsparse_index_base_PKT2_PKiS7_S2_PS3_PiS9_
; %bb.0:
	s_clause 0x1
	s_load_b128 s[12:15], s[0:1], 0x10
	s_load_b64 s[30:31], s[0:1], 0x0
	s_bfe_u32 s2, ttmp6, 0x4000c
	s_and_b32 s3, ttmp6, 15
	s_add_co_i32 s2, s2, 1
	s_getreg_b32 s4, hwreg(HW_REG_IB_STS2, 6, 4)
	s_mul_i32 s2, ttmp9, s2
	v_dual_mov_b32 v22, 0 :: v_dual_lshrrev_b32 v1, 2, v0
	s_add_co_i32 s3, s3, s2
	s_cmp_eq_u32 s4, 0
	s_load_b64 s[6:7], s[0:1], 0x28
	s_cselect_b32 s4, ttmp9, s3
	v_mov_b32_e32 v29, 0
	s_wait_kmcnt 0x0
	v_mad_u32 v2, s13, s4, v1
	v_cmp_gt_i32_e32 vcc_lo, s13, v1
	s_delay_alu instid0(VALU_DEP_2) | instskip(SKIP_1) | instid1(SALU_CYCLE_1)
	v_cmp_gt_i32_e64 s2, s31, v2
	s_and_b32 s2, vcc_lo, s2
	s_and_saveexec_b32 s3, s2
	s_cbranch_execnz .LBB120_3
; %bb.1:
	s_or_b32 exec_lo, exec_lo, s3
	s_and_saveexec_b32 s3, s2
	s_cbranch_execnz .LBB120_4
.LBB120_2:
	s_or_b32 exec_lo, exec_lo, s3
	s_cmp_lt_i32 s12, 1
	s_cbranch_scc0 .LBB120_5
	s_branch .LBB120_53
.LBB120_3:
	global_load_b32 v3, v2, s[6:7] scale_offset
	s_wait_loadcnt 0x0
	v_subrev_nc_u32_e32 v29, s15, v3
	s_or_b32 exec_lo, exec_lo, s3
	s_and_saveexec_b32 s3, s2
	s_cbranch_execz .LBB120_2
.LBB120_4:
	global_load_b32 v2, v2, s[6:7] offset:4 scale_offset
	s_wait_loadcnt 0x0
	v_subrev_nc_u32_e32 v22, s15, v2
	s_or_b32 exec_lo, exec_lo, s3
	s_cmp_lt_i32 s12, 1
	s_cbranch_scc1 .LBB120_53
.LBB120_5:
	s_clause 0x3
	s_load_b128 s[16:19], s[0:1], 0x40
	s_load_b64 s[10:11], s[0:1], 0x50
	s_load_b96 s[20:22], s[0:1], 0x30
	s_load_b64 s[24:25], s[0:1], 0x20
	s_ashr_i32 s5, s4, 31
	v_mbcnt_lo_u32_b32 v4, -1, 0
	s_lshl_b64 s[4:5], s[4:5], 2
	v_mul_lo_u32 v6, s14, v1
	v_dual_lshlrev_b32 v24, 7, v1 :: v_dual_bitop2_b32 v23, 3, v0 bitop3:0x40
	v_dual_mov_b32 v3, 0 :: v_dual_lshlrev_b32 v2, 3, v1
	v_xor_b32_e32 v1, 2, v4
	v_lshl_or_b32 v26, v4, 2, 12
	s_mov_b32 s26, s13
	v_dual_lshlrev_b32 v25, 2, v0 :: v_dual_lshlrev_b32 v14, 3, v23
	v_mov_b32_e32 v15, v3
	v_cmp_gt_i32_e64 s6, 32, v1
	v_xor_b32_e32 v5, 1, v4
	s_wait_kmcnt 0x0
	s_add_nc_u64 s[4:5], s[18:19], s[4:5]
	v_cmp_gt_u32_e64 s0, 0x80, v0
	s_load_b32 s7, s[4:5], 0x0
	v_cndmask_b32_e64 v1, v4, v1, s6
	v_cmp_gt_i32_e64 s6, 32, v5
	v_dual_ashrrev_i32 v7, 31, v6 :: v_dual_bitop2_b32 v10, 4, v23 bitop3:0x54
	v_cmp_gt_u32_e64 s1, 64, v0
	s_delay_alu instid0(VALU_DEP_4) | instskip(NEXT) | instid1(VALU_DEP_4)
	v_lshlrev_b32_e32 v27, 2, v1
	v_cndmask_b32_e64 v5, v4, v5, s6
	s_delay_alu instid0(VALU_DEP_4)
	v_lshl_add_u64 v[8:9], v[6:7], 3, s[16:17]
	v_add_nc_u64_e32 v[6:7], s[16:17], v[2:3]
	v_mul_lo_u32 v4, v23, s13
	v_cmp_gt_u32_e64 s2, 32, v0
	v_cmp_gt_u32_e64 s3, 16, v0
	s_wait_xcnt 0x0
	v_cmp_gt_u32_e64 s4, 8, v0
	v_cmp_gt_u32_e64 s5, 4, v0
	;; [unrolled: 1-line block ×4, first 2 shown]
	s_mov_b32 s27, 0
	s_mov_b32 s28, s14
	v_cmp_gt_u32_e64 s9, s14, v10
	s_wait_kmcnt 0x0
	s_sub_co_i32 s16, s7, s22
	s_cmp_lg_u32 s30, 0
	v_cmp_eq_u32_e64 s7, 0, v0
	s_cselect_b32 s23, -1, 0
	s_abs_i32 s30, s14
	s_ashr_i32 s29, s14, 31
	s_cvt_f32_u32 s17, s30
	s_mul_u64 s[18:19], s[28:29], s[26:27]
	s_and_b32 s28, vcc_lo, s8
	v_add_nc_u64_e32 v[8:9], v[8:9], v[14:15]
	v_rcp_iflag_f32_e32 v1, s17
	s_lshl_b32 s17, s13, 2
	s_delay_alu instid0(SALU_CYCLE_1) | instskip(SKIP_2) | instid1(TRANS32_DEP_1)
	v_dual_add_nc_u32 v0, s17, v4 :: v_dual_bitop2_b32 v2, 8, v23 bitop3:0x54
	v_dual_mov_b32 v31, 1 :: v_dual_add_nc_u32 v30, v14, v24
	v_mov_b32_e32 v11, v3
	v_readfirstlane_b32 s13, v1
	s_delay_alu instid0(VALU_DEP_4)
	v_add_nc_u32_e32 v10, s17, v0
	v_cmp_gt_u32_e64 s8, s14, v2
	v_dual_mov_b32 v1, v3 :: v_dual_bitop2_b32 v2, 12, v23 bitop3:0x54
	s_mul_f32 s26, s13, 0x4f7ffffe
	v_dual_mov_b32 v13, v3 :: v_dual_add_nc_u32 v12, s17, v10
	s_sub_co_i32 s17, 0, s30
	s_delay_alu instid0(SALU_CYCLE_1)
	s_cvt_u32_f32 s26, s26
	s_and_b32 s13, vcc_lo, s8
	v_cmp_gt_u32_e64 s8, s14, v2
	v_mov_b64_e32 v[14:15], 0
	s_mul_i32 s17, s17, s26
	v_dual_mov_b32 v5, v3 :: v_dual_lshlrev_b32 v28, 2, v5
	v_mov_b32_e32 v18, 0
	s_mul_hi_u32 s17, s26, s17
	s_and_b32 s9, vcc_lo, s9
	s_and_b32 s31, vcc_lo, s8
	s_add_co_i32 s26, s26, s17
	s_branch .LBB120_7
.LBB120_6:                              ;   in Loop: Header=BB120_7 Depth=1
	s_or_b32 exec_lo, exec_lo, s17
	s_wait_dscnt 0x0
	s_barrier_signal -1
	s_barrier_wait -1
	ds_load_b32 v18, v3
	s_add_co_i32 s16, s8, s16
	s_wait_dscnt 0x0
	s_barrier_signal -1
	s_barrier_wait -1
	v_cmp_gt_i32_e32 vcc_lo, s12, v18
	s_cbranch_vccz .LBB120_53
.LBB120_7:                              ; =>This Loop Header: Depth=1
                                        ;     Child Loop BB120_10 Depth 2
	v_dual_add_nc_u32 v16, v29, v23 :: v_dual_mov_b32 v32, s12
	v_mov_b32_e32 v17, v22
	s_mov_b32 s17, exec_lo
	ds_store_b8 v3, v3 offset:8192
	ds_store_2addr_b64 v30, v[14:15], v[14:15] offset1:4
	ds_store_2addr_b64 v30, v[14:15], v[14:15] offset0:8 offset1:12
	s_wait_dscnt 0x0
	s_barrier_signal -1
	s_barrier_wait -1
	v_cmpx_lt_i32_e64 v16, v22
	s_cbranch_execz .LBB120_15
; %bb.8:                                ;   in Loop: Header=BB120_7 Depth=1
	v_mul_lo_u32 v19, v18, s14
	v_dual_mov_b32 v32, s12 :: v_dual_mov_b32 v17, v22
	s_mov_b32 s33, 0
	s_branch .LBB120_10
.LBB120_9:                              ;   in Loop: Header=BB120_10 Depth=2
	s_wait_xcnt 0x0
	s_or_b32 exec_lo, exec_lo, s8
	v_add_nc_u32_e32 v16, 4, v16
	s_xor_b32 s34, vcc_lo, -1
	s_delay_alu instid0(VALU_DEP_1) | instskip(SKIP_1) | instid1(SALU_CYCLE_1)
	v_cmp_ge_i32_e64 s8, v16, v22
	s_or_b32 s8, s34, s8
	s_and_b32 s8, exec_lo, s8
	s_delay_alu instid0(SALU_CYCLE_1) | instskip(NEXT) | instid1(SALU_CYCLE_1)
	s_or_b32 s33, s8, s33
	s_and_not1_b32 exec_lo, exec_lo, s33
	s_cbranch_execz .LBB120_14
.LBB120_10:                             ;   Parent Loop BB120_7 Depth=1
                                        ; =>  This Inner Loop Header: Depth=2
	global_load_b32 v2, v16, s[20:21] scale_offset
	s_wait_loadcnt 0x0
	v_subrev_nc_u32_e32 v20, s15, v2
	s_delay_alu instid0(VALU_DEP_1) | instskip(NEXT) | instid1(VALU_DEP_1)
	v_dual_sub_nc_u32 v2, 0, v20 :: v_dual_ashrrev_i32 v33, 31, v20
	v_max_i32_e32 v2, v20, v2
	s_delay_alu instid0(VALU_DEP_2) | instskip(NEXT) | instid1(VALU_DEP_2)
	v_xor_b32_e32 v33, s29, v33
	v_mul_u64_e32 v[34:35], s[26:27], v[2:3]
	s_delay_alu instid0(VALU_DEP_1) | instskip(NEXT) | instid1(VALU_DEP_1)
	v_mul_lo_u32 v21, v35, s30
	v_dual_sub_nc_u32 v2, v2, v21 :: v_dual_add_nc_u32 v21, 1, v35
	s_delay_alu instid0(VALU_DEP_1) | instskip(SKIP_1) | instid1(VALU_DEP_3)
	v_subrev_nc_u32_e32 v29, s30, v2
	v_cmp_le_u32_e32 vcc_lo, s30, v2
	v_cndmask_b32_e32 v21, v35, v21, vcc_lo
	s_delay_alu instid0(VALU_DEP_3) | instskip(NEXT) | instid1(VALU_DEP_2)
	v_cndmask_b32_e32 v2, v2, v29, vcc_lo
	v_add_nc_u32_e32 v29, 1, v21
	s_delay_alu instid0(VALU_DEP_2) | instskip(NEXT) | instid1(VALU_DEP_2)
	v_cmp_le_u32_e32 vcc_lo, s30, v2
	v_cndmask_b32_e32 v2, v21, v29, vcc_lo
	s_delay_alu instid0(VALU_DEP_1) | instskip(NEXT) | instid1(VALU_DEP_1)
	v_xor_b32_e32 v2, v2, v33
	v_dual_mov_b32 v2, v17 :: v_dual_sub_nc_u32 v21, v2, v33
	s_delay_alu instid0(VALU_DEP_1) | instskip(SKIP_3) | instid1(SALU_CYCLE_1)
	v_cmp_ne_u32_e64 s8, v21, v18
	v_cmp_eq_u32_e32 vcc_lo, v21, v18
	s_wait_xcnt 0x0
	s_and_saveexec_b32 s34, s8
	s_xor_b32 s8, exec_lo, s34
; %bb.11:                               ;   in Loop: Header=BB120_10 Depth=2
	v_min_i32_e32 v32, v21, v32
                                        ; implicit-def: $vgpr20
                                        ; implicit-def: $vgpr2
; %bb.12:                               ;   in Loop: Header=BB120_10 Depth=2
	s_or_saveexec_b32 s8, s8
	v_mov_b32_e32 v17, v16
	s_xor_b32 exec_lo, exec_lo, s8
	s_cbranch_execz .LBB120_9
; %bb.13:                               ;   in Loop: Header=BB120_10 Depth=2
	v_ashrrev_i32_e32 v17, 31, v16
	s_delay_alu instid0(VALU_DEP_1)
	v_lshl_add_u64 v[34:35], v[16:17], 3, s[24:25]
	v_sub_nc_u32_e32 v17, v20, v19
	global_load_b64 v[34:35], v[34:35], off
	v_lshl_add_u32 v20, v17, 3, v24
	v_mov_b32_e32 v17, v2
	ds_store_b8 v3, v31 offset:8192
	s_wait_loadcnt 0x0
	ds_store_b64 v20, v[34:35]
	s_branch .LBB120_9
.LBB120_14:                             ;   in Loop: Header=BB120_7 Depth=1
	s_or_b32 exec_lo, exec_lo, s33
.LBB120_15:                             ;   in Loop: Header=BB120_7 Depth=1
	s_delay_alu instid0(SALU_CYCLE_1)
	s_or_b32 exec_lo, exec_lo, s17
	ds_bpermute_b32 v2, v27, v17
	s_wait_dscnt 0x0
	s_barrier_signal -1
	s_barrier_wait -1
	s_mov_b32 s8, 0
	v_min_i32_e32 v2, v2, v17
	ds_load_u8 v17, v3 offset:8192
	ds_bpermute_b32 v16, v28, v2
	s_wait_dscnt 0x0
	v_min_i32_e32 v2, v16, v2
	ds_bpermute_b32 v29, v26, v2
	v_and_b32_e32 v2, 1, v17
	s_delay_alu instid0(VALU_DEP_1)
	v_cmp_eq_u32_e32 vcc_lo, 0, v2
	s_cbranch_vccnz .LBB120_33
; %bb.16:                               ;   in Loop: Header=BB120_7 Depth=1
	s_ashr_i32 s17, s16, 31
	v_dual_add_nc_u32 v2, s22, v18 :: v_dual_mov_b32 v20, s16
	s_mul_u64 s[34:35], s[18:19], s[16:17]
	s_delay_alu instid0(SALU_CYCLE_1) | instskip(NEXT) | instid1(SALU_CYCLE_1)
	s_lshl_b64 s[34:35], s[34:35], 3
	v_add_nc_u64_e32 v[18:19], s[34:35], v[6:7]
	v_add_nc_u64_e32 v[16:17], s[34:35], v[8:9]
	global_store_b32 v20, v2, s[10:11] scale_offset
	s_wait_xcnt 0x0
	s_and_saveexec_b32 s8, s28
	s_cbranch_execz .LBB120_20
; %bb.17:                               ;   in Loop: Header=BB120_7 Depth=1
	ds_load_b64 v[20:21], v30
	s_and_b32 vcc_lo, exec_lo, s23
	s_cbranch_vccz .LBB120_49
; %bb.18:                               ;   in Loop: Header=BB120_7 Depth=1
	v_lshl_add_u64 v[34:35], v[4:5], 3, v[18:19]
	s_wait_dscnt 0x0
	global_store_b64 v[34:35], v[20:21], off
	s_cbranch_execnz .LBB120_20
.LBB120_19:                             ;   in Loop: Header=BB120_7 Depth=1
	s_wait_dscnt 0x0
	global_store_b64 v[16:17], v[20:21], off
.LBB120_20:                             ;   in Loop: Header=BB120_7 Depth=1
	s_wait_xcnt 0x0
	s_or_b32 exec_lo, exec_lo, s8
	s_and_saveexec_b32 s8, s9
	s_cbranch_execz .LBB120_24
; %bb.21:                               ;   in Loop: Header=BB120_7 Depth=1
	s_wait_dscnt 0x0
	ds_load_b64 v[20:21], v30 offset:32
	s_and_not1_b32 vcc_lo, exec_lo, s23
	s_cbranch_vccnz .LBB120_50
; %bb.22:                               ;   in Loop: Header=BB120_7 Depth=1
	v_lshl_add_u64 v[34:35], v[0:1], 3, v[18:19]
	s_wait_dscnt 0x0
	global_store_b64 v[34:35], v[20:21], off
	s_cbranch_execnz .LBB120_24
.LBB120_23:                             ;   in Loop: Header=BB120_7 Depth=1
	s_wait_dscnt 0x0
	global_store_b64 v[16:17], v[20:21], off offset:32
.LBB120_24:                             ;   in Loop: Header=BB120_7 Depth=1
	s_wait_xcnt 0x0
	s_or_b32 exec_lo, exec_lo, s8
	s_and_saveexec_b32 s8, s13
	s_cbranch_execz .LBB120_28
; %bb.25:                               ;   in Loop: Header=BB120_7 Depth=1
	s_wait_dscnt 0x0
	ds_load_b64 v[20:21], v30 offset:64
	s_and_not1_b32 vcc_lo, exec_lo, s23
	s_cbranch_vccnz .LBB120_51
; %bb.26:                               ;   in Loop: Header=BB120_7 Depth=1
	v_lshl_add_u64 v[34:35], v[10:11], 3, v[18:19]
	s_wait_dscnt 0x0
	global_store_b64 v[34:35], v[20:21], off
	s_cbranch_execnz .LBB120_28
.LBB120_27:                             ;   in Loop: Header=BB120_7 Depth=1
	s_wait_dscnt 0x0
	global_store_b64 v[16:17], v[20:21], off offset:64
.LBB120_28:                             ;   in Loop: Header=BB120_7 Depth=1
	s_wait_xcnt 0x0
	s_or_b32 exec_lo, exec_lo, s8
	s_and_saveexec_b32 s8, s31
	s_cbranch_execz .LBB120_32
; %bb.29:                               ;   in Loop: Header=BB120_7 Depth=1
	s_wait_dscnt 0x0
	ds_load_b64 v[20:21], v30 offset:96
	s_and_not1_b32 vcc_lo, exec_lo, s23
	s_cbranch_vccnz .LBB120_52
; %bb.30:                               ;   in Loop: Header=BB120_7 Depth=1
	v_lshl_add_u64 v[18:19], v[12:13], 3, v[18:19]
	s_wait_dscnt 0x0
	global_store_b64 v[18:19], v[20:21], off
	s_cbranch_execnz .LBB120_32
.LBB120_31:                             ;   in Loop: Header=BB120_7 Depth=1
	s_wait_dscnt 0x0
	global_store_b64 v[16:17], v[20:21], off offset:96
.LBB120_32:                             ;   in Loop: Header=BB120_7 Depth=1
	s_wait_xcnt 0x0
	s_or_b32 exec_lo, exec_lo, s8
	s_mov_b32 s8, 1
.LBB120_33:                             ;   in Loop: Header=BB120_7 Depth=1
	s_wait_storecnt_dscnt 0x0
	s_barrier_signal -1
	s_barrier_wait -1
	ds_store_b32 v25, v32
	s_wait_dscnt 0x0
	s_barrier_signal -1
	s_barrier_wait -1
	s_and_saveexec_b32 s17, s0
	s_cbranch_execz .LBB120_35
; %bb.34:                               ;   in Loop: Header=BB120_7 Depth=1
	ds_load_2addr_stride64_b32 v[16:17], v25 offset1:2
	s_wait_dscnt 0x0
	v_min_i32_e32 v2, v17, v16
	ds_store_b32 v25, v2
.LBB120_35:                             ;   in Loop: Header=BB120_7 Depth=1
	s_or_b32 exec_lo, exec_lo, s17
	s_wait_dscnt 0x0
	s_barrier_signal -1
	s_barrier_wait -1
	s_and_saveexec_b32 s17, s1
	s_cbranch_execz .LBB120_37
; %bb.36:                               ;   in Loop: Header=BB120_7 Depth=1
	ds_load_2addr_stride64_b32 v[16:17], v25 offset1:1
	s_wait_dscnt 0x0
	v_min_i32_e32 v2, v17, v16
	ds_store_b32 v25, v2
.LBB120_37:                             ;   in Loop: Header=BB120_7 Depth=1
	s_or_b32 exec_lo, exec_lo, s17
	s_wait_dscnt 0x0
	s_barrier_signal -1
	s_barrier_wait -1
	s_and_saveexec_b32 s17, s2
	s_cbranch_execz .LBB120_39
; %bb.38:                               ;   in Loop: Header=BB120_7 Depth=1
	ds_load_2addr_b32 v[16:17], v25 offset1:32
	s_wait_dscnt 0x0
	v_min_i32_e32 v2, v17, v16
	ds_store_b32 v25, v2
.LBB120_39:                             ;   in Loop: Header=BB120_7 Depth=1
	s_or_b32 exec_lo, exec_lo, s17
	s_wait_dscnt 0x0
	s_barrier_signal -1
	s_barrier_wait -1
	s_and_saveexec_b32 s17, s3
	s_cbranch_execz .LBB120_41
; %bb.40:                               ;   in Loop: Header=BB120_7 Depth=1
	ds_load_2addr_b32 v[16:17], v25 offset1:16
	s_wait_dscnt 0x0
	v_min_i32_e32 v2, v17, v16
	ds_store_b32 v25, v2
.LBB120_41:                             ;   in Loop: Header=BB120_7 Depth=1
	;; [unrolled: 12-line block ×5, first 2 shown]
	s_or_b32 exec_lo, exec_lo, s17
	s_wait_dscnt 0x0
	s_barrier_signal -1
	s_barrier_wait -1
	s_and_saveexec_b32 s17, s7
	s_cbranch_execz .LBB120_6
; %bb.48:                               ;   in Loop: Header=BB120_7 Depth=1
	ds_load_b64 v[16:17], v3
	s_wait_dscnt 0x0
	v_min_i32_e32 v2, v17, v16
	ds_store_b32 v3, v2
	s_branch .LBB120_6
.LBB120_49:                             ;   in Loop: Header=BB120_7 Depth=1
	s_branch .LBB120_19
.LBB120_50:                             ;   in Loop: Header=BB120_7 Depth=1
	s_branch .LBB120_23
.LBB120_51:                             ;   in Loop: Header=BB120_7 Depth=1
	s_branch .LBB120_27
.LBB120_52:                             ;   in Loop: Header=BB120_7 Depth=1
	s_branch .LBB120_31
.LBB120_53:
	s_endpgm
	.section	.rodata,"a",@progbits
	.p2align	6, 0x0
	.amdhsa_kernel _ZN9rocsparseL40csr2gebsr_block_per_row_multipass_kernelILj256ELj64ELj16EdEEv20rocsparse_direction_iiiiii21rocsparse_index_base_PKT2_PKiS7_S2_PS3_PiS9_
		.amdhsa_group_segment_fixed_size 8200
		.amdhsa_private_segment_fixed_size 0
		.amdhsa_kernarg_size 88
		.amdhsa_user_sgpr_count 2
		.amdhsa_user_sgpr_dispatch_ptr 0
		.amdhsa_user_sgpr_queue_ptr 0
		.amdhsa_user_sgpr_kernarg_segment_ptr 1
		.amdhsa_user_sgpr_dispatch_id 0
		.amdhsa_user_sgpr_kernarg_preload_length 0
		.amdhsa_user_sgpr_kernarg_preload_offset 0
		.amdhsa_user_sgpr_private_segment_size 0
		.amdhsa_wavefront_size32 1
		.amdhsa_uses_dynamic_stack 0
		.amdhsa_enable_private_segment 0
		.amdhsa_system_sgpr_workgroup_id_x 1
		.amdhsa_system_sgpr_workgroup_id_y 0
		.amdhsa_system_sgpr_workgroup_id_z 0
		.amdhsa_system_sgpr_workgroup_info 0
		.amdhsa_system_vgpr_workitem_id 0
		.amdhsa_next_free_vgpr 36
		.amdhsa_next_free_sgpr 36
		.amdhsa_named_barrier_count 0
		.amdhsa_reserve_vcc 1
		.amdhsa_float_round_mode_32 0
		.amdhsa_float_round_mode_16_64 0
		.amdhsa_float_denorm_mode_32 3
		.amdhsa_float_denorm_mode_16_64 3
		.amdhsa_fp16_overflow 0
		.amdhsa_memory_ordered 1
		.amdhsa_forward_progress 1
		.amdhsa_inst_pref_size 16
		.amdhsa_round_robin_scheduling 0
		.amdhsa_exception_fp_ieee_invalid_op 0
		.amdhsa_exception_fp_denorm_src 0
		.amdhsa_exception_fp_ieee_div_zero 0
		.amdhsa_exception_fp_ieee_overflow 0
		.amdhsa_exception_fp_ieee_underflow 0
		.amdhsa_exception_fp_ieee_inexact 0
		.amdhsa_exception_int_div_zero 0
	.end_amdhsa_kernel
	.section	.text._ZN9rocsparseL40csr2gebsr_block_per_row_multipass_kernelILj256ELj64ELj16EdEEv20rocsparse_direction_iiiiii21rocsparse_index_base_PKT2_PKiS7_S2_PS3_PiS9_,"axG",@progbits,_ZN9rocsparseL40csr2gebsr_block_per_row_multipass_kernelILj256ELj64ELj16EdEEv20rocsparse_direction_iiiiii21rocsparse_index_base_PKT2_PKiS7_S2_PS3_PiS9_,comdat
.Lfunc_end120:
	.size	_ZN9rocsparseL40csr2gebsr_block_per_row_multipass_kernelILj256ELj64ELj16EdEEv20rocsparse_direction_iiiiii21rocsparse_index_base_PKT2_PKiS7_S2_PS3_PiS9_, .Lfunc_end120-_ZN9rocsparseL40csr2gebsr_block_per_row_multipass_kernelILj256ELj64ELj16EdEEv20rocsparse_direction_iiiiii21rocsparse_index_base_PKT2_PKiS7_S2_PS3_PiS9_
                                        ; -- End function
	.set _ZN9rocsparseL40csr2gebsr_block_per_row_multipass_kernelILj256ELj64ELj16EdEEv20rocsparse_direction_iiiiii21rocsparse_index_base_PKT2_PKiS7_S2_PS3_PiS9_.num_vgpr, 36
	.set _ZN9rocsparseL40csr2gebsr_block_per_row_multipass_kernelILj256ELj64ELj16EdEEv20rocsparse_direction_iiiiii21rocsparse_index_base_PKT2_PKiS7_S2_PS3_PiS9_.num_agpr, 0
	.set _ZN9rocsparseL40csr2gebsr_block_per_row_multipass_kernelILj256ELj64ELj16EdEEv20rocsparse_direction_iiiiii21rocsparse_index_base_PKT2_PKiS7_S2_PS3_PiS9_.numbered_sgpr, 36
	.set _ZN9rocsparseL40csr2gebsr_block_per_row_multipass_kernelILj256ELj64ELj16EdEEv20rocsparse_direction_iiiiii21rocsparse_index_base_PKT2_PKiS7_S2_PS3_PiS9_.num_named_barrier, 0
	.set _ZN9rocsparseL40csr2gebsr_block_per_row_multipass_kernelILj256ELj64ELj16EdEEv20rocsparse_direction_iiiiii21rocsparse_index_base_PKT2_PKiS7_S2_PS3_PiS9_.private_seg_size, 0
	.set _ZN9rocsparseL40csr2gebsr_block_per_row_multipass_kernelILj256ELj64ELj16EdEEv20rocsparse_direction_iiiiii21rocsparse_index_base_PKT2_PKiS7_S2_PS3_PiS9_.uses_vcc, 1
	.set _ZN9rocsparseL40csr2gebsr_block_per_row_multipass_kernelILj256ELj64ELj16EdEEv20rocsparse_direction_iiiiii21rocsparse_index_base_PKT2_PKiS7_S2_PS3_PiS9_.uses_flat_scratch, 0
	.set _ZN9rocsparseL40csr2gebsr_block_per_row_multipass_kernelILj256ELj64ELj16EdEEv20rocsparse_direction_iiiiii21rocsparse_index_base_PKT2_PKiS7_S2_PS3_PiS9_.has_dyn_sized_stack, 0
	.set _ZN9rocsparseL40csr2gebsr_block_per_row_multipass_kernelILj256ELj64ELj16EdEEv20rocsparse_direction_iiiiii21rocsparse_index_base_PKT2_PKiS7_S2_PS3_PiS9_.has_recursion, 0
	.set _ZN9rocsparseL40csr2gebsr_block_per_row_multipass_kernelILj256ELj64ELj16EdEEv20rocsparse_direction_iiiiii21rocsparse_index_base_PKT2_PKiS7_S2_PS3_PiS9_.has_indirect_call, 0
	.section	.AMDGPU.csdata,"",@progbits
; Kernel info:
; codeLenInByte = 2024
; TotalNumSgprs: 38
; NumVgprs: 36
; ScratchSize: 0
; MemoryBound: 0
; FloatMode: 240
; IeeeMode: 1
; LDSByteSize: 8200 bytes/workgroup (compile time only)
; SGPRBlocks: 0
; VGPRBlocks: 2
; NumSGPRsForWavesPerEU: 38
; NumVGPRsForWavesPerEU: 36
; NamedBarCnt: 0
; Occupancy: 16
; WaveLimiterHint : 0
; COMPUTE_PGM_RSRC2:SCRATCH_EN: 0
; COMPUTE_PGM_RSRC2:USER_SGPR: 2
; COMPUTE_PGM_RSRC2:TRAP_HANDLER: 0
; COMPUTE_PGM_RSRC2:TGID_X_EN: 1
; COMPUTE_PGM_RSRC2:TGID_Y_EN: 0
; COMPUTE_PGM_RSRC2:TGID_Z_EN: 0
; COMPUTE_PGM_RSRC2:TIDIG_COMP_CNT: 0
	.section	.text._ZN9rocsparseL40csr2gebsr_block_per_row_multipass_kernelILj256ELj64ELj32EdEEv20rocsparse_direction_iiiiii21rocsparse_index_base_PKT2_PKiS7_S2_PS3_PiS9_,"axG",@progbits,_ZN9rocsparseL40csr2gebsr_block_per_row_multipass_kernelILj256ELj64ELj32EdEEv20rocsparse_direction_iiiiii21rocsparse_index_base_PKT2_PKiS7_S2_PS3_PiS9_,comdat
	.globl	_ZN9rocsparseL40csr2gebsr_block_per_row_multipass_kernelILj256ELj64ELj32EdEEv20rocsparse_direction_iiiiii21rocsparse_index_base_PKT2_PKiS7_S2_PS3_PiS9_ ; -- Begin function _ZN9rocsparseL40csr2gebsr_block_per_row_multipass_kernelILj256ELj64ELj32EdEEv20rocsparse_direction_iiiiii21rocsparse_index_base_PKT2_PKiS7_S2_PS3_PiS9_
	.p2align	8
	.type	_ZN9rocsparseL40csr2gebsr_block_per_row_multipass_kernelILj256ELj64ELj32EdEEv20rocsparse_direction_iiiiii21rocsparse_index_base_PKT2_PKiS7_S2_PS3_PiS9_,@function
_ZN9rocsparseL40csr2gebsr_block_per_row_multipass_kernelILj256ELj64ELj32EdEEv20rocsparse_direction_iiiiii21rocsparse_index_base_PKT2_PKiS7_S2_PS3_PiS9_: ; @_ZN9rocsparseL40csr2gebsr_block_per_row_multipass_kernelILj256ELj64ELj32EdEEv20rocsparse_direction_iiiiii21rocsparse_index_base_PKT2_PKiS7_S2_PS3_PiS9_
; %bb.0:
	s_clause 0x1
	s_load_b128 s[12:15], s[0:1], 0x10
	s_load_b64 s[30:31], s[0:1], 0x0
	s_bfe_u32 s2, ttmp6, 0x4000c
	s_and_b32 s3, ttmp6, 15
	s_add_co_i32 s2, s2, 1
	s_getreg_b32 s4, hwreg(HW_REG_IB_STS2, 6, 4)
	s_mul_i32 s2, ttmp9, s2
	v_dual_mov_b32 v30, 0 :: v_dual_lshrrev_b32 v1, 2, v0
	s_add_co_i32 s3, s3, s2
	s_cmp_eq_u32 s4, 0
	s_load_b64 s[6:7], s[0:1], 0x28
	s_cselect_b32 s4, ttmp9, s3
	v_mov_b32_e32 v37, 0
	s_wait_kmcnt 0x0
	v_mad_u32 v2, s13, s4, v1
	v_cmp_gt_i32_e32 vcc_lo, s13, v1
	s_delay_alu instid0(VALU_DEP_2) | instskip(SKIP_1) | instid1(SALU_CYCLE_1)
	v_cmp_gt_i32_e64 s2, s31, v2
	s_and_b32 s2, vcc_lo, s2
	s_and_saveexec_b32 s3, s2
	s_cbranch_execnz .LBB121_3
; %bb.1:
	s_or_b32 exec_lo, exec_lo, s3
	s_and_saveexec_b32 s3, s2
	s_cbranch_execnz .LBB121_4
.LBB121_2:
	s_or_b32 exec_lo, exec_lo, s3
	s_cmp_lt_i32 s12, 1
	s_cbranch_scc0 .LBB121_5
	s_branch .LBB121_73
.LBB121_3:
	global_load_b32 v3, v2, s[6:7] scale_offset
	s_wait_loadcnt 0x0
	v_subrev_nc_u32_e32 v37, s15, v3
	s_or_b32 exec_lo, exec_lo, s3
	s_and_saveexec_b32 s3, s2
	s_cbranch_execz .LBB121_2
.LBB121_4:
	global_load_b32 v2, v2, s[6:7] offset:4 scale_offset
	s_wait_loadcnt 0x0
	v_subrev_nc_u32_e32 v30, s15, v2
	s_or_b32 exec_lo, exec_lo, s3
	s_cmp_lt_i32 s12, 1
	s_cbranch_scc1 .LBB121_73
.LBB121_5:
	s_clause 0x3
	s_load_b128 s[16:19], s[0:1], 0x40
	s_load_b64 s[10:11], s[0:1], 0x50
	s_load_b96 s[20:22], s[0:1], 0x30
	s_load_b64 s[24:25], s[0:1], 0x20
	s_ashr_i32 s5, s4, 31
	v_mbcnt_lo_u32_b32 v4, -1, 0
	s_lshl_b64 s[4:5], s[4:5], 2
	v_dual_lshlrev_b32 v32, 8, v1 :: v_dual_bitop2_b32 v31, 3, v0 bitop3:0x40
	v_dual_mov_b32 v3, 0 :: v_dual_lshlrev_b32 v2, 3, v1
	v_mul_lo_u32 v6, s14, v1
	v_xor_b32_e32 v1, 2, v4
	v_lshl_or_b32 v34, v4, 2, 12
	v_dual_lshlrev_b32 v33, 2, v0 :: v_dual_lshlrev_b32 v22, 3, v31
	v_mov_b32_e32 v23, v3
	s_delay_alu instid0(VALU_DEP_4)
	v_cmp_gt_i32_e64 s7, 32, v1
	v_xor_b32_e32 v5, 1, v4
	s_wait_xcnt 0x0
	v_cmp_gt_u32_e64 s0, 0x80, v0
	s_wait_kmcnt 0x0
	s_add_nc_u64 s[4:5], s[18:19], s[4:5]
	v_cmp_gt_u32_e64 s1, 64, v0
	s_load_b32 s9, s[4:5], 0x0
	v_cndmask_b32_e64 v1, v4, v1, s7
	v_cmp_gt_i32_e64 s7, 32, v5
	v_cmp_gt_u32_e64 s2, 32, v0
	v_cmp_gt_u32_e64 s3, 16, v0
	s_wait_xcnt 0x0
	v_cmp_gt_u32_e64 s4, 8, v0
	v_cmp_gt_u32_e64 s5, 4, v0
	v_dual_cndmask_b32 v5, v4, v5, s7 :: v_dual_ashrrev_i32 v7, 31, v6
	v_mul_lo_u32 v4, v31, s13
	v_cmp_gt_u32_e64 s6, 2, v0
	v_cmp_gt_u32_e64 s8, s14, v31
	v_dual_lshlrev_b32 v35, 2, v1 :: v_dual_bitop2_b32 v10, 4, v31 bitop3:0x54
	v_lshlrev_b32_e32 v36, 2, v5
	v_cmp_eq_u32_e64 s7, 0, v0
	v_or_b32_e32 v0, 8, v31
	s_mov_b32 s27, 0
	s_mov_b32 s26, s13
	;; [unrolled: 1-line block ×3, first 2 shown]
	s_wait_kmcnt 0x0
	s_sub_co_i32 s18, s9, s22
	s_cmp_lg_u32 s30, 0
	v_lshl_add_u64 v[8:9], v[6:7], 3, s[16:17]
	s_cselect_b32 s23, -1, 0
	s_ashr_i32 s29, s14, 31
	s_lshl_b32 s19, s13, 2
	v_add_nc_u64_e32 v[6:7], s[16:17], v[2:3]
	s_mul_u64 s[16:17], s[28:29], s[26:27]
	s_and_b32 s28, vcc_lo, s8
	v_dual_mov_b32 v5, v3 :: v_dual_bitop2_b32 v1, 12, v31 bitop3:0x54
	v_cmp_gt_u32_e64 s8, s14, v10
	v_cmp_gt_u32_e64 s9, s14, v0
	v_add_nc_u32_e32 v0, s19, v4
	s_abs_i32 s33, s14
	v_mov_b32_e32 v11, v3
	s_and_b32 s13, vcc_lo, s8
	v_cmp_gt_u32_e64 s8, s14, v1
	v_dual_mov_b32 v1, v3 :: v_dual_add_nc_u32 v10, s19, v0
	v_or_b32_e32 v2, 16, v31
	s_cvt_f32_u32 s26, s33
	v_dual_mov_b32 v13, v3 :: v_dual_bitop2_b32 v14, 20, v31 bitop3:0x54
	s_delay_alu instid0(VALU_DEP_3)
	v_add_nc_u32_e32 v12, s19, v10
	s_and_b32 s31, vcc_lo, s8
	v_cmp_gt_u32_e64 s8, s14, v2
	v_rcp_iflag_f32_e32 v2, s26
	s_and_b32 s30, vcc_lo, s9
	v_cmp_gt_u32_e64 s9, s14, v14
	v_dual_add_nc_u32 v14, s19, v12 :: v_dual_bitop2_b32 v17, 24, v31 bitop3:0x54
	v_mov_b32_e32 v15, v3
	s_and_b32 s34, vcc_lo, s8
	s_delay_alu instid0(TRANS32_DEP_1) | instskip(NEXT) | instid1(VALU_DEP_3)
	v_readfirstlane_b32 s26, v2
	v_add_nc_u32_e32 v16, s19, v14
	v_cmp_gt_u32_e64 s8, s14, v17
	v_dual_mov_b32 v17, v3 :: v_dual_bitop2_b32 v2, 28, v31 bitop3:0x54
	s_mul_f32 s26, s26, 0x4f7ffffe
	v_dual_mov_b32 v19, v3 :: v_dual_add_nc_u32 v18, s19, v16
	v_add_nc_u64_e32 v[8:9], v[8:9], v[22:23]
	s_delay_alu instid0(SALU_CYCLE_1) | instskip(SKIP_1) | instid1(VALU_DEP_2)
	s_cvt_u32_f32 s26, s26
	s_and_b32 s35, vcc_lo, s8
	v_dual_mov_b32 v21, v3 :: v_dual_add_nc_u32 v20, s19, v18
	s_sub_co_i32 s19, 0, s33
	v_cmp_gt_u32_e64 s8, s14, v2
	v_dual_mov_b32 v39, 1 :: v_dual_add_nc_u32 v38, v22, v32
	v_mov_b64_e32 v[22:23], 0
	s_mul_i32 s19, s19, s26
	v_mov_b32_e32 v26, 0
	s_mul_hi_u32 s19, s26, s19
	s_and_b32 s9, vcc_lo, s9
	s_and_b32 s36, vcc_lo, s8
	s_add_co_i32 s26, s26, s19
	s_branch .LBB121_7
.LBB121_6:                              ;   in Loop: Header=BB121_7 Depth=1
	s_or_b32 exec_lo, exec_lo, s19
	s_wait_dscnt 0x0
	s_barrier_signal -1
	s_barrier_wait -1
	ds_load_b32 v26, v3
	s_add_co_i32 s18, s8, s18
	s_wait_dscnt 0x0
	s_barrier_signal -1
	s_barrier_wait -1
	v_cmp_gt_i32_e32 vcc_lo, s12, v26
	s_cbranch_vccz .LBB121_73
.LBB121_7:                              ; =>This Loop Header: Depth=1
                                        ;     Child Loop BB121_10 Depth 2
	v_dual_add_nc_u32 v24, v37, v31 :: v_dual_mov_b32 v40, s12
	v_mov_b32_e32 v25, v30
	s_mov_b32 s19, exec_lo
	ds_store_b8 v3, v3 offset:16384
	ds_store_2addr_b64 v38, v[22:23], v[22:23] offset1:4
	ds_store_2addr_b64 v38, v[22:23], v[22:23] offset0:8 offset1:12
	ds_store_2addr_b64 v38, v[22:23], v[22:23] offset0:16 offset1:20
	ds_store_2addr_b64 v38, v[22:23], v[22:23] offset0:24 offset1:28
	s_wait_dscnt 0x0
	s_barrier_signal -1
	s_barrier_wait -1
	v_cmpx_lt_i32_e64 v24, v30
	s_cbranch_execz .LBB121_15
; %bb.8:                                ;   in Loop: Header=BB121_7 Depth=1
	v_mul_lo_u32 v27, v26, s14
	v_dual_mov_b32 v40, s12 :: v_dual_mov_b32 v25, v30
	s_mov_b32 s37, 0
	s_branch .LBB121_10
.LBB121_9:                              ;   in Loop: Header=BB121_10 Depth=2
	s_wait_xcnt 0x0
	s_or_b32 exec_lo, exec_lo, s8
	v_add_nc_u32_e32 v24, 4, v24
	s_xor_b32 s38, vcc_lo, -1
	s_delay_alu instid0(VALU_DEP_1) | instskip(SKIP_1) | instid1(SALU_CYCLE_1)
	v_cmp_ge_i32_e64 s8, v24, v30
	s_or_b32 s8, s38, s8
	s_and_b32 s8, exec_lo, s8
	s_delay_alu instid0(SALU_CYCLE_1) | instskip(NEXT) | instid1(SALU_CYCLE_1)
	s_or_b32 s37, s8, s37
	s_and_not1_b32 exec_lo, exec_lo, s37
	s_cbranch_execz .LBB121_14
.LBB121_10:                             ;   Parent Loop BB121_7 Depth=1
                                        ; =>  This Inner Loop Header: Depth=2
	global_load_b32 v2, v24, s[20:21] scale_offset
	s_wait_loadcnt 0x0
	v_subrev_nc_u32_e32 v28, s15, v2
	s_delay_alu instid0(VALU_DEP_1) | instskip(NEXT) | instid1(VALU_DEP_1)
	v_dual_sub_nc_u32 v2, 0, v28 :: v_dual_ashrrev_i32 v41, 31, v28
	v_max_i32_e32 v2, v28, v2
	s_delay_alu instid0(VALU_DEP_2) | instskip(NEXT) | instid1(VALU_DEP_2)
	v_xor_b32_e32 v41, s29, v41
	v_mul_u64_e32 v[42:43], s[26:27], v[2:3]
	s_delay_alu instid0(VALU_DEP_1) | instskip(NEXT) | instid1(VALU_DEP_1)
	v_mul_lo_u32 v29, v43, s33
	v_dual_sub_nc_u32 v2, v2, v29 :: v_dual_add_nc_u32 v29, 1, v43
	s_delay_alu instid0(VALU_DEP_1) | instskip(SKIP_1) | instid1(VALU_DEP_3)
	v_subrev_nc_u32_e32 v37, s33, v2
	v_cmp_le_u32_e32 vcc_lo, s33, v2
	v_cndmask_b32_e32 v29, v43, v29, vcc_lo
	s_delay_alu instid0(VALU_DEP_3) | instskip(NEXT) | instid1(VALU_DEP_2)
	v_cndmask_b32_e32 v2, v2, v37, vcc_lo
	v_add_nc_u32_e32 v37, 1, v29
	s_delay_alu instid0(VALU_DEP_2) | instskip(NEXT) | instid1(VALU_DEP_2)
	v_cmp_le_u32_e32 vcc_lo, s33, v2
	v_cndmask_b32_e32 v2, v29, v37, vcc_lo
	s_delay_alu instid0(VALU_DEP_1) | instskip(NEXT) | instid1(VALU_DEP_1)
	v_xor_b32_e32 v2, v2, v41
	v_dual_mov_b32 v2, v25 :: v_dual_sub_nc_u32 v29, v2, v41
	s_delay_alu instid0(VALU_DEP_1) | instskip(SKIP_3) | instid1(SALU_CYCLE_1)
	v_cmp_ne_u32_e64 s8, v29, v26
	v_cmp_eq_u32_e32 vcc_lo, v29, v26
	s_wait_xcnt 0x0
	s_and_saveexec_b32 s38, s8
	s_xor_b32 s8, exec_lo, s38
; %bb.11:                               ;   in Loop: Header=BB121_10 Depth=2
	v_min_i32_e32 v40, v29, v40
                                        ; implicit-def: $vgpr28
                                        ; implicit-def: $vgpr2
; %bb.12:                               ;   in Loop: Header=BB121_10 Depth=2
	s_or_saveexec_b32 s8, s8
	v_mov_b32_e32 v25, v24
	s_xor_b32 exec_lo, exec_lo, s8
	s_cbranch_execz .LBB121_9
; %bb.13:                               ;   in Loop: Header=BB121_10 Depth=2
	v_ashrrev_i32_e32 v25, 31, v24
	s_delay_alu instid0(VALU_DEP_1)
	v_lshl_add_u64 v[42:43], v[24:25], 3, s[24:25]
	v_sub_nc_u32_e32 v25, v28, v27
	global_load_b64 v[42:43], v[42:43], off
	v_lshl_add_u32 v28, v25, 3, v32
	v_mov_b32_e32 v25, v2
	ds_store_b8 v3, v39 offset:16384
	s_wait_loadcnt 0x0
	ds_store_b64 v28, v[42:43]
	s_branch .LBB121_9
.LBB121_14:                             ;   in Loop: Header=BB121_7 Depth=1
	s_or_b32 exec_lo, exec_lo, s37
.LBB121_15:                             ;   in Loop: Header=BB121_7 Depth=1
	s_delay_alu instid0(SALU_CYCLE_1)
	s_or_b32 exec_lo, exec_lo, s19
	ds_bpermute_b32 v2, v35, v25
	s_wait_dscnt 0x0
	s_barrier_signal -1
	s_barrier_wait -1
	s_mov_b32 s8, 0
	v_min_i32_e32 v2, v2, v25
	ds_load_u8 v25, v3 offset:16384
	ds_bpermute_b32 v24, v36, v2
	s_wait_dscnt 0x0
	v_min_i32_e32 v2, v24, v2
	ds_bpermute_b32 v37, v34, v2
	v_and_b32_e32 v2, 1, v25
	s_delay_alu instid0(VALU_DEP_1)
	v_cmp_eq_u32_e32 vcc_lo, 0, v2
	s_cbranch_vccnz .LBB121_49
; %bb.16:                               ;   in Loop: Header=BB121_7 Depth=1
	s_ashr_i32 s19, s18, 31
	v_dual_add_nc_u32 v2, s22, v26 :: v_dual_mov_b32 v28, s18
	s_mul_u64 s[38:39], s[16:17], s[18:19]
	s_delay_alu instid0(SALU_CYCLE_1) | instskip(NEXT) | instid1(SALU_CYCLE_1)
	s_lshl_b64 s[38:39], s[38:39], 3
	v_add_nc_u64_e32 v[26:27], s[38:39], v[6:7]
	v_add_nc_u64_e32 v[24:25], s[38:39], v[8:9]
	global_store_b32 v28, v2, s[10:11] scale_offset
	s_wait_xcnt 0x0
	s_and_saveexec_b32 s8, s28
	s_cbranch_execz .LBB121_20
; %bb.17:                               ;   in Loop: Header=BB121_7 Depth=1
	ds_load_b64 v[28:29], v38
	s_and_b32 vcc_lo, exec_lo, s23
	s_cbranch_vccz .LBB121_65
; %bb.18:                               ;   in Loop: Header=BB121_7 Depth=1
	v_lshl_add_u64 v[42:43], v[4:5], 3, v[26:27]
	s_wait_dscnt 0x0
	global_store_b64 v[42:43], v[28:29], off
	s_cbranch_execnz .LBB121_20
.LBB121_19:                             ;   in Loop: Header=BB121_7 Depth=1
	s_wait_dscnt 0x0
	global_store_b64 v[24:25], v[28:29], off
.LBB121_20:                             ;   in Loop: Header=BB121_7 Depth=1
	s_wait_xcnt 0x0
	s_or_b32 exec_lo, exec_lo, s8
	s_and_saveexec_b32 s8, s13
	s_cbranch_execz .LBB121_24
; %bb.21:                               ;   in Loop: Header=BB121_7 Depth=1
	s_wait_dscnt 0x0
	ds_load_b64 v[28:29], v38 offset:32
	s_and_not1_b32 vcc_lo, exec_lo, s23
	s_cbranch_vccnz .LBB121_66
; %bb.22:                               ;   in Loop: Header=BB121_7 Depth=1
	v_lshl_add_u64 v[42:43], v[0:1], 3, v[26:27]
	s_wait_dscnt 0x0
	global_store_b64 v[42:43], v[28:29], off
	s_cbranch_execnz .LBB121_24
.LBB121_23:                             ;   in Loop: Header=BB121_7 Depth=1
	s_wait_dscnt 0x0
	global_store_b64 v[24:25], v[28:29], off offset:32
.LBB121_24:                             ;   in Loop: Header=BB121_7 Depth=1
	s_wait_xcnt 0x0
	s_or_b32 exec_lo, exec_lo, s8
	s_and_saveexec_b32 s8, s30
	s_cbranch_execz .LBB121_28
; %bb.25:                               ;   in Loop: Header=BB121_7 Depth=1
	s_wait_dscnt 0x0
	ds_load_b64 v[28:29], v38 offset:64
	s_and_not1_b32 vcc_lo, exec_lo, s23
	s_cbranch_vccnz .LBB121_67
; %bb.26:                               ;   in Loop: Header=BB121_7 Depth=1
	v_lshl_add_u64 v[42:43], v[10:11], 3, v[26:27]
	s_wait_dscnt 0x0
	global_store_b64 v[42:43], v[28:29], off
	s_cbranch_execnz .LBB121_28
.LBB121_27:                             ;   in Loop: Header=BB121_7 Depth=1
	s_wait_dscnt 0x0
	global_store_b64 v[24:25], v[28:29], off offset:64
.LBB121_28:                             ;   in Loop: Header=BB121_7 Depth=1
	s_wait_xcnt 0x0
	s_or_b32 exec_lo, exec_lo, s8
	s_and_saveexec_b32 s8, s31
	s_cbranch_execz .LBB121_32
; %bb.29:                               ;   in Loop: Header=BB121_7 Depth=1
	s_wait_dscnt 0x0
	ds_load_b64 v[28:29], v38 offset:96
	s_and_not1_b32 vcc_lo, exec_lo, s23
	s_cbranch_vccnz .LBB121_68
; %bb.30:                               ;   in Loop: Header=BB121_7 Depth=1
	v_lshl_add_u64 v[42:43], v[12:13], 3, v[26:27]
	s_wait_dscnt 0x0
	global_store_b64 v[42:43], v[28:29], off
	s_cbranch_execnz .LBB121_32
.LBB121_31:                             ;   in Loop: Header=BB121_7 Depth=1
	s_wait_dscnt 0x0
	global_store_b64 v[24:25], v[28:29], off offset:96
.LBB121_32:                             ;   in Loop: Header=BB121_7 Depth=1
	s_wait_xcnt 0x0
	s_or_b32 exec_lo, exec_lo, s8
	s_and_saveexec_b32 s8, s34
	s_cbranch_execz .LBB121_36
; %bb.33:                               ;   in Loop: Header=BB121_7 Depth=1
	s_wait_dscnt 0x0
	ds_load_b64 v[28:29], v38 offset:128
	s_and_not1_b32 vcc_lo, exec_lo, s23
	s_cbranch_vccnz .LBB121_69
; %bb.34:                               ;   in Loop: Header=BB121_7 Depth=1
	v_lshl_add_u64 v[42:43], v[14:15], 3, v[26:27]
	s_wait_dscnt 0x0
	global_store_b64 v[42:43], v[28:29], off
	s_cbranch_execnz .LBB121_36
.LBB121_35:                             ;   in Loop: Header=BB121_7 Depth=1
	s_wait_dscnt 0x0
	global_store_b64 v[24:25], v[28:29], off offset:128
.LBB121_36:                             ;   in Loop: Header=BB121_7 Depth=1
	s_wait_xcnt 0x0
	s_or_b32 exec_lo, exec_lo, s8
	s_and_saveexec_b32 s8, s9
	s_cbranch_execz .LBB121_40
; %bb.37:                               ;   in Loop: Header=BB121_7 Depth=1
	s_wait_dscnt 0x0
	ds_load_b64 v[28:29], v38 offset:160
	s_and_not1_b32 vcc_lo, exec_lo, s23
	s_cbranch_vccnz .LBB121_70
; %bb.38:                               ;   in Loop: Header=BB121_7 Depth=1
	v_lshl_add_u64 v[42:43], v[16:17], 3, v[26:27]
	s_wait_dscnt 0x0
	global_store_b64 v[42:43], v[28:29], off
	s_cbranch_execnz .LBB121_40
.LBB121_39:                             ;   in Loop: Header=BB121_7 Depth=1
	s_wait_dscnt 0x0
	global_store_b64 v[24:25], v[28:29], off offset:160
.LBB121_40:                             ;   in Loop: Header=BB121_7 Depth=1
	s_wait_xcnt 0x0
	s_or_b32 exec_lo, exec_lo, s8
	s_and_saveexec_b32 s8, s35
	s_cbranch_execz .LBB121_44
; %bb.41:                               ;   in Loop: Header=BB121_7 Depth=1
	s_wait_dscnt 0x0
	ds_load_b64 v[28:29], v38 offset:192
	s_and_not1_b32 vcc_lo, exec_lo, s23
	s_cbranch_vccnz .LBB121_71
; %bb.42:                               ;   in Loop: Header=BB121_7 Depth=1
	v_lshl_add_u64 v[42:43], v[18:19], 3, v[26:27]
	s_wait_dscnt 0x0
	global_store_b64 v[42:43], v[28:29], off
	s_cbranch_execnz .LBB121_44
.LBB121_43:                             ;   in Loop: Header=BB121_7 Depth=1
	s_wait_dscnt 0x0
	global_store_b64 v[24:25], v[28:29], off offset:192
.LBB121_44:                             ;   in Loop: Header=BB121_7 Depth=1
	s_wait_xcnt 0x0
	s_or_b32 exec_lo, exec_lo, s8
	s_and_saveexec_b32 s8, s36
	s_cbranch_execz .LBB121_48
; %bb.45:                               ;   in Loop: Header=BB121_7 Depth=1
	s_wait_dscnt 0x0
	ds_load_b64 v[28:29], v38 offset:224
	s_and_not1_b32 vcc_lo, exec_lo, s23
	s_cbranch_vccnz .LBB121_72
; %bb.46:                               ;   in Loop: Header=BB121_7 Depth=1
	v_lshl_add_u64 v[26:27], v[20:21], 3, v[26:27]
	s_wait_dscnt 0x0
	global_store_b64 v[26:27], v[28:29], off
	s_cbranch_execnz .LBB121_48
.LBB121_47:                             ;   in Loop: Header=BB121_7 Depth=1
	s_wait_dscnt 0x0
	global_store_b64 v[24:25], v[28:29], off offset:224
.LBB121_48:                             ;   in Loop: Header=BB121_7 Depth=1
	s_wait_xcnt 0x0
	s_or_b32 exec_lo, exec_lo, s8
	s_mov_b32 s8, 1
.LBB121_49:                             ;   in Loop: Header=BB121_7 Depth=1
	s_wait_storecnt_dscnt 0x0
	s_barrier_signal -1
	s_barrier_wait -1
	ds_store_b32 v33, v40
	s_wait_dscnt 0x0
	s_barrier_signal -1
	s_barrier_wait -1
	s_and_saveexec_b32 s19, s0
	s_cbranch_execz .LBB121_51
; %bb.50:                               ;   in Loop: Header=BB121_7 Depth=1
	ds_load_2addr_stride64_b32 v[24:25], v33 offset1:2
	s_wait_dscnt 0x0
	v_min_i32_e32 v2, v25, v24
	ds_store_b32 v33, v2
.LBB121_51:                             ;   in Loop: Header=BB121_7 Depth=1
	s_or_b32 exec_lo, exec_lo, s19
	s_wait_dscnt 0x0
	s_barrier_signal -1
	s_barrier_wait -1
	s_and_saveexec_b32 s19, s1
	s_cbranch_execz .LBB121_53
; %bb.52:                               ;   in Loop: Header=BB121_7 Depth=1
	ds_load_2addr_stride64_b32 v[24:25], v33 offset1:1
	s_wait_dscnt 0x0
	v_min_i32_e32 v2, v25, v24
	ds_store_b32 v33, v2
.LBB121_53:                             ;   in Loop: Header=BB121_7 Depth=1
	s_or_b32 exec_lo, exec_lo, s19
	s_wait_dscnt 0x0
	s_barrier_signal -1
	s_barrier_wait -1
	s_and_saveexec_b32 s19, s2
	s_cbranch_execz .LBB121_55
; %bb.54:                               ;   in Loop: Header=BB121_7 Depth=1
	ds_load_2addr_b32 v[24:25], v33 offset1:32
	s_wait_dscnt 0x0
	v_min_i32_e32 v2, v25, v24
	ds_store_b32 v33, v2
.LBB121_55:                             ;   in Loop: Header=BB121_7 Depth=1
	s_or_b32 exec_lo, exec_lo, s19
	s_wait_dscnt 0x0
	s_barrier_signal -1
	s_barrier_wait -1
	s_and_saveexec_b32 s19, s3
	s_cbranch_execz .LBB121_57
; %bb.56:                               ;   in Loop: Header=BB121_7 Depth=1
	ds_load_2addr_b32 v[24:25], v33 offset1:16
	s_wait_dscnt 0x0
	v_min_i32_e32 v2, v25, v24
	ds_store_b32 v33, v2
.LBB121_57:                             ;   in Loop: Header=BB121_7 Depth=1
	;; [unrolled: 12-line block ×5, first 2 shown]
	s_or_b32 exec_lo, exec_lo, s19
	s_wait_dscnt 0x0
	s_barrier_signal -1
	s_barrier_wait -1
	s_and_saveexec_b32 s19, s7
	s_cbranch_execz .LBB121_6
; %bb.64:                               ;   in Loop: Header=BB121_7 Depth=1
	ds_load_b64 v[24:25], v3
	s_wait_dscnt 0x0
	v_min_i32_e32 v2, v25, v24
	ds_store_b32 v3, v2
	s_branch .LBB121_6
.LBB121_65:                             ;   in Loop: Header=BB121_7 Depth=1
	s_branch .LBB121_19
.LBB121_66:                             ;   in Loop: Header=BB121_7 Depth=1
	s_branch .LBB121_23
.LBB121_67:                             ;   in Loop: Header=BB121_7 Depth=1
	s_branch .LBB121_27
.LBB121_68:                             ;   in Loop: Header=BB121_7 Depth=1
	s_branch .LBB121_31
.LBB121_69:                             ;   in Loop: Header=BB121_7 Depth=1
	s_branch .LBB121_35
.LBB121_70:                             ;   in Loop: Header=BB121_7 Depth=1
	s_branch .LBB121_39
.LBB121_71:                             ;   in Loop: Header=BB121_7 Depth=1
	s_branch .LBB121_43
.LBB121_72:                             ;   in Loop: Header=BB121_7 Depth=1
	s_branch .LBB121_47
.LBB121_73:
	s_endpgm
	.section	.rodata,"a",@progbits
	.p2align	6, 0x0
	.amdhsa_kernel _ZN9rocsparseL40csr2gebsr_block_per_row_multipass_kernelILj256ELj64ELj32EdEEv20rocsparse_direction_iiiiii21rocsparse_index_base_PKT2_PKiS7_S2_PS3_PiS9_
		.amdhsa_group_segment_fixed_size 16392
		.amdhsa_private_segment_fixed_size 0
		.amdhsa_kernarg_size 88
		.amdhsa_user_sgpr_count 2
		.amdhsa_user_sgpr_dispatch_ptr 0
		.amdhsa_user_sgpr_queue_ptr 0
		.amdhsa_user_sgpr_kernarg_segment_ptr 1
		.amdhsa_user_sgpr_dispatch_id 0
		.amdhsa_user_sgpr_kernarg_preload_length 0
		.amdhsa_user_sgpr_kernarg_preload_offset 0
		.amdhsa_user_sgpr_private_segment_size 0
		.amdhsa_wavefront_size32 1
		.amdhsa_uses_dynamic_stack 0
		.amdhsa_enable_private_segment 0
		.amdhsa_system_sgpr_workgroup_id_x 1
		.amdhsa_system_sgpr_workgroup_id_y 0
		.amdhsa_system_sgpr_workgroup_id_z 0
		.amdhsa_system_sgpr_workgroup_info 0
		.amdhsa_system_vgpr_workitem_id 0
		.amdhsa_next_free_vgpr 44
		.amdhsa_next_free_sgpr 40
		.amdhsa_named_barrier_count 0
		.amdhsa_reserve_vcc 1
		.amdhsa_float_round_mode_32 0
		.amdhsa_float_round_mode_16_64 0
		.amdhsa_float_denorm_mode_32 3
		.amdhsa_float_denorm_mode_16_64 3
		.amdhsa_fp16_overflow 0
		.amdhsa_memory_ordered 1
		.amdhsa_forward_progress 1
		.amdhsa_inst_pref_size 20
		.amdhsa_round_robin_scheduling 0
		.amdhsa_exception_fp_ieee_invalid_op 0
		.amdhsa_exception_fp_denorm_src 0
		.amdhsa_exception_fp_ieee_div_zero 0
		.amdhsa_exception_fp_ieee_overflow 0
		.amdhsa_exception_fp_ieee_underflow 0
		.amdhsa_exception_fp_ieee_inexact 0
		.amdhsa_exception_int_div_zero 0
	.end_amdhsa_kernel
	.section	.text._ZN9rocsparseL40csr2gebsr_block_per_row_multipass_kernelILj256ELj64ELj32EdEEv20rocsparse_direction_iiiiii21rocsparse_index_base_PKT2_PKiS7_S2_PS3_PiS9_,"axG",@progbits,_ZN9rocsparseL40csr2gebsr_block_per_row_multipass_kernelILj256ELj64ELj32EdEEv20rocsparse_direction_iiiiii21rocsparse_index_base_PKT2_PKiS7_S2_PS3_PiS9_,comdat
.Lfunc_end121:
	.size	_ZN9rocsparseL40csr2gebsr_block_per_row_multipass_kernelILj256ELj64ELj32EdEEv20rocsparse_direction_iiiiii21rocsparse_index_base_PKT2_PKiS7_S2_PS3_PiS9_, .Lfunc_end121-_ZN9rocsparseL40csr2gebsr_block_per_row_multipass_kernelILj256ELj64ELj32EdEEv20rocsparse_direction_iiiiii21rocsparse_index_base_PKT2_PKiS7_S2_PS3_PiS9_
                                        ; -- End function
	.set _ZN9rocsparseL40csr2gebsr_block_per_row_multipass_kernelILj256ELj64ELj32EdEEv20rocsparse_direction_iiiiii21rocsparse_index_base_PKT2_PKiS7_S2_PS3_PiS9_.num_vgpr, 44
	.set _ZN9rocsparseL40csr2gebsr_block_per_row_multipass_kernelILj256ELj64ELj32EdEEv20rocsparse_direction_iiiiii21rocsparse_index_base_PKT2_PKiS7_S2_PS3_PiS9_.num_agpr, 0
	.set _ZN9rocsparseL40csr2gebsr_block_per_row_multipass_kernelILj256ELj64ELj32EdEEv20rocsparse_direction_iiiiii21rocsparse_index_base_PKT2_PKiS7_S2_PS3_PiS9_.numbered_sgpr, 40
	.set _ZN9rocsparseL40csr2gebsr_block_per_row_multipass_kernelILj256ELj64ELj32EdEEv20rocsparse_direction_iiiiii21rocsparse_index_base_PKT2_PKiS7_S2_PS3_PiS9_.num_named_barrier, 0
	.set _ZN9rocsparseL40csr2gebsr_block_per_row_multipass_kernelILj256ELj64ELj32EdEEv20rocsparse_direction_iiiiii21rocsparse_index_base_PKT2_PKiS7_S2_PS3_PiS9_.private_seg_size, 0
	.set _ZN9rocsparseL40csr2gebsr_block_per_row_multipass_kernelILj256ELj64ELj32EdEEv20rocsparse_direction_iiiiii21rocsparse_index_base_PKT2_PKiS7_S2_PS3_PiS9_.uses_vcc, 1
	.set _ZN9rocsparseL40csr2gebsr_block_per_row_multipass_kernelILj256ELj64ELj32EdEEv20rocsparse_direction_iiiiii21rocsparse_index_base_PKT2_PKiS7_S2_PS3_PiS9_.uses_flat_scratch, 0
	.set _ZN9rocsparseL40csr2gebsr_block_per_row_multipass_kernelILj256ELj64ELj32EdEEv20rocsparse_direction_iiiiii21rocsparse_index_base_PKT2_PKiS7_S2_PS3_PiS9_.has_dyn_sized_stack, 0
	.set _ZN9rocsparseL40csr2gebsr_block_per_row_multipass_kernelILj256ELj64ELj32EdEEv20rocsparse_direction_iiiiii21rocsparse_index_base_PKT2_PKiS7_S2_PS3_PiS9_.has_recursion, 0
	.set _ZN9rocsparseL40csr2gebsr_block_per_row_multipass_kernelILj256ELj64ELj32EdEEv20rocsparse_direction_iiiiii21rocsparse_index_base_PKT2_PKiS7_S2_PS3_PiS9_.has_indirect_call, 0
	.section	.AMDGPU.csdata,"",@progbits
; Kernel info:
; codeLenInByte = 2480
; TotalNumSgprs: 42
; NumVgprs: 44
; ScratchSize: 0
; MemoryBound: 0
; FloatMode: 240
; IeeeMode: 1
; LDSByteSize: 16392 bytes/workgroup (compile time only)
; SGPRBlocks: 0
; VGPRBlocks: 2
; NumSGPRsForWavesPerEU: 42
; NumVGPRsForWavesPerEU: 44
; NamedBarCnt: 0
; Occupancy: 16
; WaveLimiterHint : 0
; COMPUTE_PGM_RSRC2:SCRATCH_EN: 0
; COMPUTE_PGM_RSRC2:USER_SGPR: 2
; COMPUTE_PGM_RSRC2:TRAP_HANDLER: 0
; COMPUTE_PGM_RSRC2:TGID_X_EN: 1
; COMPUTE_PGM_RSRC2:TGID_Y_EN: 0
; COMPUTE_PGM_RSRC2:TGID_Z_EN: 0
; COMPUTE_PGM_RSRC2:TIDIG_COMP_CNT: 0
	.section	.text._ZN9rocsparseL40csr2gebsr_block_per_row_multipass_kernelILj256ELj64ELj64EdEEv20rocsparse_direction_iiiiii21rocsparse_index_base_PKT2_PKiS7_S2_PS3_PiS9_,"axG",@progbits,_ZN9rocsparseL40csr2gebsr_block_per_row_multipass_kernelILj256ELj64ELj64EdEEv20rocsparse_direction_iiiiii21rocsparse_index_base_PKT2_PKiS7_S2_PS3_PiS9_,comdat
	.globl	_ZN9rocsparseL40csr2gebsr_block_per_row_multipass_kernelILj256ELj64ELj64EdEEv20rocsparse_direction_iiiiii21rocsparse_index_base_PKT2_PKiS7_S2_PS3_PiS9_ ; -- Begin function _ZN9rocsparseL40csr2gebsr_block_per_row_multipass_kernelILj256ELj64ELj64EdEEv20rocsparse_direction_iiiiii21rocsparse_index_base_PKT2_PKiS7_S2_PS3_PiS9_
	.p2align	8
	.type	_ZN9rocsparseL40csr2gebsr_block_per_row_multipass_kernelILj256ELj64ELj64EdEEv20rocsparse_direction_iiiiii21rocsparse_index_base_PKT2_PKiS7_S2_PS3_PiS9_,@function
_ZN9rocsparseL40csr2gebsr_block_per_row_multipass_kernelILj256ELj64ELj64EdEEv20rocsparse_direction_iiiiii21rocsparse_index_base_PKT2_PKiS7_S2_PS3_PiS9_: ; @_ZN9rocsparseL40csr2gebsr_block_per_row_multipass_kernelILj256ELj64ELj64EdEEv20rocsparse_direction_iiiiii21rocsparse_index_base_PKT2_PKiS7_S2_PS3_PiS9_
; %bb.0:
	s_clause 0x1
	s_load_b128 s[12:15], s[0:1], 0x10
	s_load_b64 s[30:31], s[0:1], 0x0
	s_bfe_u32 s2, ttmp6, 0x4000c
	s_and_b32 s3, ttmp6, 15
	s_add_co_i32 s2, s2, 1
	s_getreg_b32 s4, hwreg(HW_REG_IB_STS2, 6, 4)
	s_mul_i32 s2, ttmp9, s2
	v_dual_mov_b32 v46, 0 :: v_dual_lshrrev_b32 v1, 2, v0
	s_add_co_i32 s3, s3, s2
	s_cmp_eq_u32 s4, 0
	s_load_b64 s[6:7], s[0:1], 0x28
	s_cselect_b32 s4, ttmp9, s3
	v_mov_b32_e32 v53, 0
	s_wait_kmcnt 0x0
	v_mad_u32 v2, s13, s4, v1
	v_cmp_gt_i32_e32 vcc_lo, s13, v1
	s_delay_alu instid0(VALU_DEP_2) | instskip(SKIP_1) | instid1(SALU_CYCLE_1)
	v_cmp_gt_i32_e64 s2, s31, v2
	s_and_b32 s2, vcc_lo, s2
	s_and_saveexec_b32 s3, s2
	s_cbranch_execnz .LBB122_3
; %bb.1:
	s_or_b32 exec_lo, exec_lo, s3
	s_and_saveexec_b32 s3, s2
	s_cbranch_execnz .LBB122_4
.LBB122_2:
	s_or_b32 exec_lo, exec_lo, s3
	s_cmp_lt_i32 s12, 1
	s_cbranch_scc0 .LBB122_5
	s_branch .LBB122_113
.LBB122_3:
	global_load_b32 v3, v2, s[6:7] scale_offset
	s_wait_loadcnt 0x0
	v_subrev_nc_u32_e32 v53, s15, v3
	s_or_b32 exec_lo, exec_lo, s3
	s_and_saveexec_b32 s3, s2
	s_cbranch_execz .LBB122_2
.LBB122_4:
	global_load_b32 v2, v2, s[6:7] offset:4 scale_offset
	s_wait_loadcnt 0x0
	v_subrev_nc_u32_e32 v46, s15, v2
	s_or_b32 exec_lo, exec_lo, s3
	s_cmp_lt_i32 s12, 1
	s_cbranch_scc1 .LBB122_113
.LBB122_5:
	s_clause 0x3
	s_load_b128 s[16:19], s[0:1], 0x40
	s_load_b64 s[10:11], s[0:1], 0x50
	s_load_b96 s[20:22], s[0:1], 0x30
	s_load_b64 s[24:25], s[0:1], 0x20
	s_ashr_i32 s5, s4, 31
	v_mbcnt_lo_u32_b32 v4, -1, 0
	s_lshl_b64 s[4:5], s[4:5], 2
	v_dual_lshlrev_b32 v48, 9, v1 :: v_dual_bitop2_b32 v47, 3, v0 bitop3:0x40
	v_dual_mov_b32 v3, 0 :: v_dual_lshlrev_b32 v2, 3, v1
	v_mul_lo_u32 v6, s14, v1
	v_xor_b32_e32 v1, 2, v4
	v_lshl_or_b32 v50, v4, 2, 12
	v_dual_lshlrev_b32 v49, 2, v0 :: v_dual_lshlrev_b32 v38, 3, v47
	v_mov_b32_e32 v39, v3
	s_delay_alu instid0(VALU_DEP_4)
	v_cmp_gt_i32_e64 s7, 32, v1
	v_xor_b32_e32 v5, 1, v4
	s_wait_xcnt 0x0
	v_cmp_gt_u32_e64 s0, 0x80, v0
	s_wait_kmcnt 0x0
	s_add_nc_u64 s[4:5], s[18:19], s[4:5]
	v_cmp_gt_u32_e64 s1, 64, v0
	s_load_b32 s9, s[4:5], 0x0
	v_cndmask_b32_e64 v1, v4, v1, s7
	v_cmp_gt_i32_e64 s7, 32, v5
	v_cmp_gt_u32_e64 s2, 32, v0
	v_cmp_gt_u32_e64 s3, 16, v0
	s_wait_xcnt 0x0
	v_cmp_gt_u32_e64 s4, 8, v0
	v_cmp_gt_u32_e64 s5, 4, v0
	v_dual_cndmask_b32 v5, v4, v5, s7 :: v_dual_ashrrev_i32 v7, 31, v6
	v_mul_lo_u32 v4, v47, s13
	v_cmp_gt_u32_e64 s6, 2, v0
	v_cmp_gt_u32_e64 s8, s14, v47
	s_delay_alu instid0(VALU_DEP_4)
	v_lshlrev_b32_e32 v52, 2, v5
	v_cmp_eq_u32_e64 s7, 0, v0
	v_or_b32_e32 v0, 8, v47
	s_mov_b32 s27, 0
	s_mov_b32 s26, s13
	;; [unrolled: 1-line block ×3, first 2 shown]
	v_dual_lshlrev_b32 v51, 2, v1 :: v_dual_bitop2_b32 v10, 4, v47 bitop3:0x54
	s_wait_kmcnt 0x0
	s_sub_co_i32 s18, s9, s22
	s_cmp_lg_u32 s30, 0
	v_lshl_add_u64 v[8:9], v[6:7], 3, s[16:17]
	s_cselect_b32 s23, -1, 0
	s_ashr_i32 s29, s14, 31
	s_lshl_b32 s19, s13, 2
	v_add_nc_u64_e32 v[6:7], s[16:17], v[2:3]
	s_mul_u64 s[16:17], s[28:29], s[26:27]
	s_and_b32 s28, vcc_lo, s8
	v_mov_b32_e32 v5, v3
	v_cmp_gt_u32_e64 s8, s14, v0
	v_add_nc_u32_e32 v0, s19, v4
	v_cmp_gt_u32_e64 s9, s14, v10
	v_or_b32_e32 v12, 16, v47
	v_dual_mov_b32 v1, v3 :: v_dual_bitop2_b32 v2, 12, v47 bitop3:0x54
	s_delay_alu instid0(VALU_DEP_4) | instskip(SKIP_1) | instid1(VALU_DEP_3)
	v_add_nc_u32_e32 v10, s19, v0
	s_and_b32 s13, vcc_lo, s9
	v_cmp_gt_u32_e64 s9, s14, v12
	s_and_b32 s30, vcc_lo, s8
	v_cmp_gt_u32_e64 s8, s14, v2
	v_dual_mov_b32 v13, v3 :: v_dual_add_nc_u32 v12, s19, v10
	v_dual_mov_b32 v11, v3 :: v_dual_bitop2_b32 v2, 20, v47 bitop3:0x54
	s_and_b32 s31, vcc_lo, s8
	s_delay_alu instid0(VALU_DEP_2) | instskip(SKIP_1) | instid1(VALU_DEP_3)
	v_dual_mov_b32 v15, v3 :: v_dual_add_nc_u32 v14, s19, v12
	v_or_b32_e32 v18, 28, v47
	v_cmp_gt_u32_e64 s8, s14, v2
	s_delay_alu instid0(VALU_DEP_3) | instskip(SKIP_3) | instid1(VALU_DEP_2)
	v_dual_add_nc_u32 v16, s19, v14 :: v_dual_bitop2_b32 v2, 24, v47 bitop3:0x54
	v_mov_b32_e32 v17, v3
	s_and_b32 s33, vcc_lo, s9
	s_and_b32 s34, vcc_lo, s8
	v_cmp_gt_u32_e64 s8, s14, v2
	v_or_b32_e32 v2, 32, v47
	v_cmp_gt_u32_e64 s9, s14, v18
	v_dual_mov_b32 v19, v3 :: v_dual_add_nc_u32 v18, s19, v16
	s_and_b32 s35, vcc_lo, s8
	v_cmp_gt_u32_e64 s8, s14, v2
	v_dual_mov_b32 v21, v3 :: v_dual_bitop2_b32 v2, 36, v47 bitop3:0x54
	s_delay_alu instid0(VALU_DEP_3) | instskip(SKIP_2) | instid1(VALU_DEP_2)
	v_dual_add_nc_u32 v20, s19, v18 :: v_dual_bitop2_b32 v24, 40, v47 bitop3:0x54
	s_and_b32 s36, vcc_lo, s9
	s_and_b32 s37, vcc_lo, s8
	v_cmp_gt_u32_e64 s8, s14, v2
	s_delay_alu instid0(VALU_DEP_2) | instskip(SKIP_2) | instid1(VALU_DEP_3)
	v_add_nc_u32_e32 v22, s19, v20
	v_cmp_gt_u32_e64 s9, s14, v24
	v_dual_mov_b32 v23, v3 :: v_dual_bitop2_b32 v2, 44, v47 bitop3:0x54
	v_dual_mov_b32 v25, v3 :: v_dual_add_nc_u32 v24, s19, v22
	s_abs_i32 s41, s14
	s_and_b32 s38, vcc_lo, s8
	s_delay_alu instid0(VALU_DEP_2) | instskip(NEXT) | instid1(VALU_DEP_2)
	v_cmp_gt_u32_e64 s8, s14, v2
	v_dual_mov_b32 v27, v3 :: v_dual_add_nc_u32 v26, s19, v24
	v_or_b32_e32 v2, 48, v47
	s_cvt_f32_u32 s26, s41
	v_dual_mov_b32 v29, v3 :: v_dual_bitop2_b32 v30, 52, v47 bitop3:0x54
	s_delay_alu instid0(VALU_DEP_3)
	v_add_nc_u32_e32 v28, s19, v26
	s_and_b32 s40, vcc_lo, s8
	v_cmp_gt_u32_e64 s8, s14, v2
	v_rcp_iflag_f32_e32 v2, s26
	s_and_b32 s39, vcc_lo, s9
	v_cmp_gt_u32_e64 s9, s14, v30
	v_dual_add_nc_u32 v30, s19, v28 :: v_dual_bitop2_b32 v33, 56, v47 bitop3:0x54
	v_mov_b32_e32 v31, v3
	s_and_b32 s42, vcc_lo, s8
	s_delay_alu instid0(TRANS32_DEP_1) | instskip(NEXT) | instid1(VALU_DEP_3)
	v_readfirstlane_b32 s26, v2
	v_add_nc_u32_e32 v32, s19, v30
	v_cmp_gt_u32_e64 s8, s14, v33
	v_dual_mov_b32 v33, v3 :: v_dual_bitop2_b32 v2, 60, v47 bitop3:0x54
	s_mul_f32 s26, s26, 0x4f7ffffe
	v_dual_mov_b32 v35, v3 :: v_dual_add_nc_u32 v34, s19, v32
	v_add_nc_u64_e32 v[8:9], v[8:9], v[38:39]
	s_delay_alu instid0(SALU_CYCLE_1) | instskip(SKIP_1) | instid1(VALU_DEP_2)
	s_cvt_u32_f32 s26, s26
	s_and_b32 s43, vcc_lo, s8
	v_dual_mov_b32 v37, v3 :: v_dual_add_nc_u32 v36, s19, v34
	s_sub_co_i32 s19, 0, s41
	v_cmp_gt_u32_e64 s8, s14, v2
	v_dual_mov_b32 v55, 1 :: v_dual_add_nc_u32 v54, v38, v48
	v_mov_b64_e32 v[38:39], 0
	s_mul_i32 s19, s19, s26
	v_mov_b32_e32 v42, 0
	s_mul_hi_u32 s19, s26, s19
	s_and_b32 s9, vcc_lo, s9
	s_and_b32 s44, vcc_lo, s8
	s_add_co_i32 s26, s26, s19
	s_branch .LBB122_7
.LBB122_6:                              ;   in Loop: Header=BB122_7 Depth=1
	s_or_b32 exec_lo, exec_lo, s19
	s_wait_dscnt 0x0
	s_barrier_signal -1
	s_barrier_wait -1
	ds_load_b32 v42, v3
	s_add_co_i32 s18, s8, s18
	s_wait_dscnt 0x0
	s_barrier_signal -1
	s_barrier_wait -1
	v_cmp_gt_i32_e32 vcc_lo, s12, v42
	s_cbranch_vccz .LBB122_113
.LBB122_7:                              ; =>This Loop Header: Depth=1
                                        ;     Child Loop BB122_10 Depth 2
	v_dual_add_nc_u32 v40, v53, v47 :: v_dual_mov_b32 v56, s12
	v_mov_b32_e32 v41, v46
	s_mov_b32 s19, exec_lo
	ds_store_b8 v3, v3 offset:32768
	ds_store_2addr_b64 v54, v[38:39], v[38:39] offset1:4
	ds_store_2addr_b64 v54, v[38:39], v[38:39] offset0:8 offset1:12
	ds_store_2addr_b64 v54, v[38:39], v[38:39] offset0:16 offset1:20
	;; [unrolled: 1-line block ×7, first 2 shown]
	s_wait_dscnt 0x0
	s_barrier_signal -1
	s_barrier_wait -1
	v_cmpx_lt_i32_e64 v40, v46
	s_cbranch_execz .LBB122_15
; %bb.8:                                ;   in Loop: Header=BB122_7 Depth=1
	v_mul_lo_u32 v43, v42, s14
	v_dual_mov_b32 v56, s12 :: v_dual_mov_b32 v41, v46
	s_mov_b32 s45, 0
	s_branch .LBB122_10
.LBB122_9:                              ;   in Loop: Header=BB122_10 Depth=2
	s_wait_xcnt 0x0
	s_or_b32 exec_lo, exec_lo, s8
	v_add_nc_u32_e32 v40, 4, v40
	s_xor_b32 s46, vcc_lo, -1
	s_delay_alu instid0(VALU_DEP_1) | instskip(SKIP_1) | instid1(SALU_CYCLE_1)
	v_cmp_ge_i32_e64 s8, v40, v46
	s_or_b32 s8, s46, s8
	s_and_b32 s8, exec_lo, s8
	s_delay_alu instid0(SALU_CYCLE_1) | instskip(NEXT) | instid1(SALU_CYCLE_1)
	s_or_b32 s45, s8, s45
	s_and_not1_b32 exec_lo, exec_lo, s45
	s_cbranch_execz .LBB122_14
.LBB122_10:                             ;   Parent Loop BB122_7 Depth=1
                                        ; =>  This Inner Loop Header: Depth=2
	global_load_b32 v2, v40, s[20:21] scale_offset
	s_wait_loadcnt 0x0
	v_subrev_nc_u32_e32 v44, s15, v2
	s_delay_alu instid0(VALU_DEP_1) | instskip(NEXT) | instid1(VALU_DEP_1)
	v_dual_sub_nc_u32 v2, 0, v44 :: v_dual_ashrrev_i32 v57, 31, v44
	v_max_i32_e32 v2, v44, v2
	s_delay_alu instid0(VALU_DEP_2) | instskip(NEXT) | instid1(VALU_DEP_2)
	v_xor_b32_e32 v57, s29, v57
	v_mul_u64_e32 v[58:59], s[26:27], v[2:3]
	s_delay_alu instid0(VALU_DEP_1) | instskip(NEXT) | instid1(VALU_DEP_1)
	v_mul_lo_u32 v45, v59, s41
	v_dual_sub_nc_u32 v2, v2, v45 :: v_dual_add_nc_u32 v45, 1, v59
	s_delay_alu instid0(VALU_DEP_1) | instskip(SKIP_1) | instid1(VALU_DEP_3)
	v_subrev_nc_u32_e32 v53, s41, v2
	v_cmp_le_u32_e32 vcc_lo, s41, v2
	v_cndmask_b32_e32 v45, v59, v45, vcc_lo
	s_delay_alu instid0(VALU_DEP_3) | instskip(NEXT) | instid1(VALU_DEP_2)
	v_cndmask_b32_e32 v2, v2, v53, vcc_lo
	v_add_nc_u32_e32 v53, 1, v45
	s_delay_alu instid0(VALU_DEP_2) | instskip(NEXT) | instid1(VALU_DEP_2)
	v_cmp_le_u32_e32 vcc_lo, s41, v2
	v_cndmask_b32_e32 v2, v45, v53, vcc_lo
	s_delay_alu instid0(VALU_DEP_1) | instskip(NEXT) | instid1(VALU_DEP_1)
	v_xor_b32_e32 v2, v2, v57
	v_dual_mov_b32 v2, v41 :: v_dual_sub_nc_u32 v45, v2, v57
	s_delay_alu instid0(VALU_DEP_1) | instskip(SKIP_3) | instid1(SALU_CYCLE_1)
	v_cmp_ne_u32_e64 s8, v45, v42
	v_cmp_eq_u32_e32 vcc_lo, v45, v42
	s_wait_xcnt 0x0
	s_and_saveexec_b32 s46, s8
	s_xor_b32 s8, exec_lo, s46
; %bb.11:                               ;   in Loop: Header=BB122_10 Depth=2
	v_min_i32_e32 v56, v45, v56
                                        ; implicit-def: $vgpr44
                                        ; implicit-def: $vgpr2
; %bb.12:                               ;   in Loop: Header=BB122_10 Depth=2
	s_or_saveexec_b32 s8, s8
	v_mov_b32_e32 v41, v40
	s_xor_b32 exec_lo, exec_lo, s8
	s_cbranch_execz .LBB122_9
; %bb.13:                               ;   in Loop: Header=BB122_10 Depth=2
	v_ashrrev_i32_e32 v41, 31, v40
	s_delay_alu instid0(VALU_DEP_1)
	v_lshl_add_u64 v[58:59], v[40:41], 3, s[24:25]
	v_sub_nc_u32_e32 v41, v44, v43
	global_load_b64 v[58:59], v[58:59], off
	v_lshl_add_u32 v44, v41, 3, v48
	v_mov_b32_e32 v41, v2
	ds_store_b8 v3, v55 offset:32768
	s_wait_loadcnt 0x0
	ds_store_b64 v44, v[58:59]
	s_branch .LBB122_9
.LBB122_14:                             ;   in Loop: Header=BB122_7 Depth=1
	s_or_b32 exec_lo, exec_lo, s45
.LBB122_15:                             ;   in Loop: Header=BB122_7 Depth=1
	s_delay_alu instid0(SALU_CYCLE_1)
	s_or_b32 exec_lo, exec_lo, s19
	ds_bpermute_b32 v2, v51, v41
	s_wait_dscnt 0x0
	s_barrier_signal -1
	s_barrier_wait -1
	s_mov_b32 s8, 0
	v_min_i32_e32 v2, v2, v41
	ds_load_u8 v41, v3 offset:32768
	ds_bpermute_b32 v40, v52, v2
	s_wait_dscnt 0x0
	v_min_i32_e32 v2, v40, v2
	ds_bpermute_b32 v53, v50, v2
	v_and_b32_e32 v2, 1, v41
	s_delay_alu instid0(VALU_DEP_1)
	v_cmp_eq_u32_e32 vcc_lo, 0, v2
	s_cbranch_vccnz .LBB122_81
; %bb.16:                               ;   in Loop: Header=BB122_7 Depth=1
	s_ashr_i32 s19, s18, 31
	v_dual_add_nc_u32 v2, s22, v42 :: v_dual_mov_b32 v44, s18
	s_mul_u64 s[46:47], s[16:17], s[18:19]
	s_delay_alu instid0(SALU_CYCLE_1) | instskip(NEXT) | instid1(SALU_CYCLE_1)
	s_lshl_b64 s[46:47], s[46:47], 3
	v_add_nc_u64_e32 v[42:43], s[46:47], v[6:7]
	v_add_nc_u64_e32 v[40:41], s[46:47], v[8:9]
	global_store_b32 v44, v2, s[10:11] scale_offset
	s_wait_xcnt 0x0
	s_and_saveexec_b32 s8, s28
	s_cbranch_execz .LBB122_20
; %bb.17:                               ;   in Loop: Header=BB122_7 Depth=1
	ds_load_b64 v[44:45], v54
	s_and_b32 vcc_lo, exec_lo, s23
	s_cbranch_vccz .LBB122_97
; %bb.18:                               ;   in Loop: Header=BB122_7 Depth=1
	v_lshl_add_u64 v[58:59], v[4:5], 3, v[42:43]
	s_wait_dscnt 0x0
	global_store_b64 v[58:59], v[44:45], off
	s_cbranch_execnz .LBB122_20
.LBB122_19:                             ;   in Loop: Header=BB122_7 Depth=1
	s_wait_dscnt 0x0
	global_store_b64 v[40:41], v[44:45], off
.LBB122_20:                             ;   in Loop: Header=BB122_7 Depth=1
	s_wait_xcnt 0x0
	s_or_b32 exec_lo, exec_lo, s8
	s_and_saveexec_b32 s8, s13
	s_cbranch_execz .LBB122_24
; %bb.21:                               ;   in Loop: Header=BB122_7 Depth=1
	s_wait_dscnt 0x0
	ds_load_b64 v[44:45], v54 offset:32
	s_and_not1_b32 vcc_lo, exec_lo, s23
	s_cbranch_vccnz .LBB122_98
; %bb.22:                               ;   in Loop: Header=BB122_7 Depth=1
	v_lshl_add_u64 v[58:59], v[0:1], 3, v[42:43]
	s_wait_dscnt 0x0
	global_store_b64 v[58:59], v[44:45], off
	s_cbranch_execnz .LBB122_24
.LBB122_23:                             ;   in Loop: Header=BB122_7 Depth=1
	s_wait_dscnt 0x0
	global_store_b64 v[40:41], v[44:45], off offset:32
.LBB122_24:                             ;   in Loop: Header=BB122_7 Depth=1
	s_wait_xcnt 0x0
	s_or_b32 exec_lo, exec_lo, s8
	s_and_saveexec_b32 s8, s30
	s_cbranch_execz .LBB122_28
; %bb.25:                               ;   in Loop: Header=BB122_7 Depth=1
	s_wait_dscnt 0x0
	ds_load_b64 v[44:45], v54 offset:64
	s_and_not1_b32 vcc_lo, exec_lo, s23
	s_cbranch_vccnz .LBB122_99
; %bb.26:                               ;   in Loop: Header=BB122_7 Depth=1
	v_lshl_add_u64 v[58:59], v[10:11], 3, v[42:43]
	s_wait_dscnt 0x0
	global_store_b64 v[58:59], v[44:45], off
	s_cbranch_execnz .LBB122_28
.LBB122_27:                             ;   in Loop: Header=BB122_7 Depth=1
	s_wait_dscnt 0x0
	global_store_b64 v[40:41], v[44:45], off offset:64
.LBB122_28:                             ;   in Loop: Header=BB122_7 Depth=1
	s_wait_xcnt 0x0
	s_or_b32 exec_lo, exec_lo, s8
	s_and_saveexec_b32 s8, s31
	s_cbranch_execz .LBB122_32
; %bb.29:                               ;   in Loop: Header=BB122_7 Depth=1
	s_wait_dscnt 0x0
	ds_load_b64 v[44:45], v54 offset:96
	s_and_not1_b32 vcc_lo, exec_lo, s23
	s_cbranch_vccnz .LBB122_100
; %bb.30:                               ;   in Loop: Header=BB122_7 Depth=1
	v_lshl_add_u64 v[58:59], v[12:13], 3, v[42:43]
	s_wait_dscnt 0x0
	global_store_b64 v[58:59], v[44:45], off
	s_cbranch_execnz .LBB122_32
.LBB122_31:                             ;   in Loop: Header=BB122_7 Depth=1
	s_wait_dscnt 0x0
	global_store_b64 v[40:41], v[44:45], off offset:96
.LBB122_32:                             ;   in Loop: Header=BB122_7 Depth=1
	s_wait_xcnt 0x0
	s_or_b32 exec_lo, exec_lo, s8
	s_and_saveexec_b32 s8, s33
	s_cbranch_execz .LBB122_36
; %bb.33:                               ;   in Loop: Header=BB122_7 Depth=1
	s_wait_dscnt 0x0
	ds_load_b64 v[44:45], v54 offset:128
	s_and_not1_b32 vcc_lo, exec_lo, s23
	s_cbranch_vccnz .LBB122_101
; %bb.34:                               ;   in Loop: Header=BB122_7 Depth=1
	v_lshl_add_u64 v[58:59], v[14:15], 3, v[42:43]
	s_wait_dscnt 0x0
	global_store_b64 v[58:59], v[44:45], off
	s_cbranch_execnz .LBB122_36
.LBB122_35:                             ;   in Loop: Header=BB122_7 Depth=1
	s_wait_dscnt 0x0
	global_store_b64 v[40:41], v[44:45], off offset:128
.LBB122_36:                             ;   in Loop: Header=BB122_7 Depth=1
	s_wait_xcnt 0x0
	s_or_b32 exec_lo, exec_lo, s8
	s_and_saveexec_b32 s8, s34
	s_cbranch_execz .LBB122_40
; %bb.37:                               ;   in Loop: Header=BB122_7 Depth=1
	s_wait_dscnt 0x0
	ds_load_b64 v[44:45], v54 offset:160
	s_and_not1_b32 vcc_lo, exec_lo, s23
	s_cbranch_vccnz .LBB122_102
; %bb.38:                               ;   in Loop: Header=BB122_7 Depth=1
	v_lshl_add_u64 v[58:59], v[16:17], 3, v[42:43]
	s_wait_dscnt 0x0
	global_store_b64 v[58:59], v[44:45], off
	s_cbranch_execnz .LBB122_40
.LBB122_39:                             ;   in Loop: Header=BB122_7 Depth=1
	s_wait_dscnt 0x0
	global_store_b64 v[40:41], v[44:45], off offset:160
.LBB122_40:                             ;   in Loop: Header=BB122_7 Depth=1
	s_wait_xcnt 0x0
	s_or_b32 exec_lo, exec_lo, s8
	s_and_saveexec_b32 s8, s35
	s_cbranch_execz .LBB122_44
; %bb.41:                               ;   in Loop: Header=BB122_7 Depth=1
	s_wait_dscnt 0x0
	ds_load_b64 v[44:45], v54 offset:192
	s_and_not1_b32 vcc_lo, exec_lo, s23
	s_cbranch_vccnz .LBB122_103
; %bb.42:                               ;   in Loop: Header=BB122_7 Depth=1
	v_lshl_add_u64 v[58:59], v[18:19], 3, v[42:43]
	s_wait_dscnt 0x0
	global_store_b64 v[58:59], v[44:45], off
	s_cbranch_execnz .LBB122_44
.LBB122_43:                             ;   in Loop: Header=BB122_7 Depth=1
	s_wait_dscnt 0x0
	global_store_b64 v[40:41], v[44:45], off offset:192
.LBB122_44:                             ;   in Loop: Header=BB122_7 Depth=1
	s_wait_xcnt 0x0
	s_or_b32 exec_lo, exec_lo, s8
	s_and_saveexec_b32 s8, s36
	s_cbranch_execz .LBB122_48
; %bb.45:                               ;   in Loop: Header=BB122_7 Depth=1
	s_wait_dscnt 0x0
	ds_load_b64 v[44:45], v54 offset:224
	s_and_not1_b32 vcc_lo, exec_lo, s23
	s_cbranch_vccnz .LBB122_104
; %bb.46:                               ;   in Loop: Header=BB122_7 Depth=1
	v_lshl_add_u64 v[58:59], v[20:21], 3, v[42:43]
	s_wait_dscnt 0x0
	global_store_b64 v[58:59], v[44:45], off
	s_cbranch_execnz .LBB122_48
.LBB122_47:                             ;   in Loop: Header=BB122_7 Depth=1
	s_wait_dscnt 0x0
	global_store_b64 v[40:41], v[44:45], off offset:224
.LBB122_48:                             ;   in Loop: Header=BB122_7 Depth=1
	s_wait_xcnt 0x0
	s_or_b32 exec_lo, exec_lo, s8
	s_and_saveexec_b32 s8, s37
	s_cbranch_execz .LBB122_52
; %bb.49:                               ;   in Loop: Header=BB122_7 Depth=1
	s_wait_dscnt 0x0
	ds_load_b64 v[44:45], v54 offset:256
	s_and_not1_b32 vcc_lo, exec_lo, s23
	s_cbranch_vccnz .LBB122_105
; %bb.50:                               ;   in Loop: Header=BB122_7 Depth=1
	v_lshl_add_u64 v[58:59], v[22:23], 3, v[42:43]
	s_wait_dscnt 0x0
	global_store_b64 v[58:59], v[44:45], off
	s_cbranch_execnz .LBB122_52
.LBB122_51:                             ;   in Loop: Header=BB122_7 Depth=1
	s_wait_dscnt 0x0
	global_store_b64 v[40:41], v[44:45], off offset:256
.LBB122_52:                             ;   in Loop: Header=BB122_7 Depth=1
	s_wait_xcnt 0x0
	s_or_b32 exec_lo, exec_lo, s8
	s_and_saveexec_b32 s8, s38
	s_cbranch_execz .LBB122_56
; %bb.53:                               ;   in Loop: Header=BB122_7 Depth=1
	s_wait_dscnt 0x0
	ds_load_b64 v[44:45], v54 offset:288
	s_and_not1_b32 vcc_lo, exec_lo, s23
	s_cbranch_vccnz .LBB122_106
; %bb.54:                               ;   in Loop: Header=BB122_7 Depth=1
	v_lshl_add_u64 v[58:59], v[24:25], 3, v[42:43]
	s_wait_dscnt 0x0
	global_store_b64 v[58:59], v[44:45], off
	s_cbranch_execnz .LBB122_56
.LBB122_55:                             ;   in Loop: Header=BB122_7 Depth=1
	s_wait_dscnt 0x0
	global_store_b64 v[40:41], v[44:45], off offset:288
.LBB122_56:                             ;   in Loop: Header=BB122_7 Depth=1
	s_wait_xcnt 0x0
	s_or_b32 exec_lo, exec_lo, s8
	s_and_saveexec_b32 s8, s39
	s_cbranch_execz .LBB122_60
; %bb.57:                               ;   in Loop: Header=BB122_7 Depth=1
	s_wait_dscnt 0x0
	ds_load_b64 v[44:45], v54 offset:320
	s_and_not1_b32 vcc_lo, exec_lo, s23
	s_cbranch_vccnz .LBB122_107
; %bb.58:                               ;   in Loop: Header=BB122_7 Depth=1
	v_lshl_add_u64 v[58:59], v[26:27], 3, v[42:43]
	s_wait_dscnt 0x0
	global_store_b64 v[58:59], v[44:45], off
	s_cbranch_execnz .LBB122_60
.LBB122_59:                             ;   in Loop: Header=BB122_7 Depth=1
	s_wait_dscnt 0x0
	global_store_b64 v[40:41], v[44:45], off offset:320
.LBB122_60:                             ;   in Loop: Header=BB122_7 Depth=1
	s_wait_xcnt 0x0
	s_or_b32 exec_lo, exec_lo, s8
	s_and_saveexec_b32 s8, s40
	s_cbranch_execz .LBB122_64
; %bb.61:                               ;   in Loop: Header=BB122_7 Depth=1
	s_wait_dscnt 0x0
	ds_load_b64 v[44:45], v54 offset:352
	s_and_not1_b32 vcc_lo, exec_lo, s23
	s_cbranch_vccnz .LBB122_108
; %bb.62:                               ;   in Loop: Header=BB122_7 Depth=1
	v_lshl_add_u64 v[58:59], v[28:29], 3, v[42:43]
	s_wait_dscnt 0x0
	global_store_b64 v[58:59], v[44:45], off
	s_cbranch_execnz .LBB122_64
.LBB122_63:                             ;   in Loop: Header=BB122_7 Depth=1
	s_wait_dscnt 0x0
	global_store_b64 v[40:41], v[44:45], off offset:352
.LBB122_64:                             ;   in Loop: Header=BB122_7 Depth=1
	s_wait_xcnt 0x0
	s_or_b32 exec_lo, exec_lo, s8
	s_and_saveexec_b32 s8, s42
	s_cbranch_execz .LBB122_68
; %bb.65:                               ;   in Loop: Header=BB122_7 Depth=1
	s_wait_dscnt 0x0
	ds_load_b64 v[44:45], v54 offset:384
	s_and_not1_b32 vcc_lo, exec_lo, s23
	s_cbranch_vccnz .LBB122_109
; %bb.66:                               ;   in Loop: Header=BB122_7 Depth=1
	v_lshl_add_u64 v[58:59], v[30:31], 3, v[42:43]
	s_wait_dscnt 0x0
	global_store_b64 v[58:59], v[44:45], off
	s_cbranch_execnz .LBB122_68
.LBB122_67:                             ;   in Loop: Header=BB122_7 Depth=1
	s_wait_dscnt 0x0
	global_store_b64 v[40:41], v[44:45], off offset:384
.LBB122_68:                             ;   in Loop: Header=BB122_7 Depth=1
	s_wait_xcnt 0x0
	s_or_b32 exec_lo, exec_lo, s8
	s_and_saveexec_b32 s8, s9
	s_cbranch_execz .LBB122_72
; %bb.69:                               ;   in Loop: Header=BB122_7 Depth=1
	s_wait_dscnt 0x0
	ds_load_b64 v[44:45], v54 offset:416
	s_and_not1_b32 vcc_lo, exec_lo, s23
	s_cbranch_vccnz .LBB122_110
; %bb.70:                               ;   in Loop: Header=BB122_7 Depth=1
	v_lshl_add_u64 v[58:59], v[32:33], 3, v[42:43]
	s_wait_dscnt 0x0
	global_store_b64 v[58:59], v[44:45], off
	s_cbranch_execnz .LBB122_72
.LBB122_71:                             ;   in Loop: Header=BB122_7 Depth=1
	s_wait_dscnt 0x0
	global_store_b64 v[40:41], v[44:45], off offset:416
.LBB122_72:                             ;   in Loop: Header=BB122_7 Depth=1
	s_wait_xcnt 0x0
	s_or_b32 exec_lo, exec_lo, s8
	s_and_saveexec_b32 s8, s43
	s_cbranch_execz .LBB122_76
; %bb.73:                               ;   in Loop: Header=BB122_7 Depth=1
	s_wait_dscnt 0x0
	ds_load_b64 v[44:45], v54 offset:448
	s_and_not1_b32 vcc_lo, exec_lo, s23
	s_cbranch_vccnz .LBB122_111
; %bb.74:                               ;   in Loop: Header=BB122_7 Depth=1
	v_lshl_add_u64 v[58:59], v[34:35], 3, v[42:43]
	s_wait_dscnt 0x0
	global_store_b64 v[58:59], v[44:45], off
	s_cbranch_execnz .LBB122_76
.LBB122_75:                             ;   in Loop: Header=BB122_7 Depth=1
	s_wait_dscnt 0x0
	global_store_b64 v[40:41], v[44:45], off offset:448
.LBB122_76:                             ;   in Loop: Header=BB122_7 Depth=1
	s_wait_xcnt 0x0
	s_or_b32 exec_lo, exec_lo, s8
	s_and_saveexec_b32 s8, s44
	s_cbranch_execz .LBB122_80
; %bb.77:                               ;   in Loop: Header=BB122_7 Depth=1
	s_wait_dscnt 0x0
	ds_load_b64 v[44:45], v54 offset:480
	s_and_not1_b32 vcc_lo, exec_lo, s23
	s_cbranch_vccnz .LBB122_112
; %bb.78:                               ;   in Loop: Header=BB122_7 Depth=1
	v_lshl_add_u64 v[42:43], v[36:37], 3, v[42:43]
	s_wait_dscnt 0x0
	global_store_b64 v[42:43], v[44:45], off
	s_cbranch_execnz .LBB122_80
.LBB122_79:                             ;   in Loop: Header=BB122_7 Depth=1
	s_wait_dscnt 0x0
	global_store_b64 v[40:41], v[44:45], off offset:480
.LBB122_80:                             ;   in Loop: Header=BB122_7 Depth=1
	s_wait_xcnt 0x0
	s_or_b32 exec_lo, exec_lo, s8
	s_mov_b32 s8, 1
.LBB122_81:                             ;   in Loop: Header=BB122_7 Depth=1
	s_wait_storecnt_dscnt 0x0
	s_barrier_signal -1
	s_barrier_wait -1
	ds_store_b32 v49, v56
	s_wait_dscnt 0x0
	s_barrier_signal -1
	s_barrier_wait -1
	s_and_saveexec_b32 s19, s0
	s_cbranch_execz .LBB122_83
; %bb.82:                               ;   in Loop: Header=BB122_7 Depth=1
	ds_load_2addr_stride64_b32 v[40:41], v49 offset1:2
	s_wait_dscnt 0x0
	v_min_i32_e32 v2, v41, v40
	ds_store_b32 v49, v2
.LBB122_83:                             ;   in Loop: Header=BB122_7 Depth=1
	s_or_b32 exec_lo, exec_lo, s19
	s_wait_dscnt 0x0
	s_barrier_signal -1
	s_barrier_wait -1
	s_and_saveexec_b32 s19, s1
	s_cbranch_execz .LBB122_85
; %bb.84:                               ;   in Loop: Header=BB122_7 Depth=1
	ds_load_2addr_stride64_b32 v[40:41], v49 offset1:1
	s_wait_dscnt 0x0
	v_min_i32_e32 v2, v41, v40
	ds_store_b32 v49, v2
.LBB122_85:                             ;   in Loop: Header=BB122_7 Depth=1
	s_or_b32 exec_lo, exec_lo, s19
	s_wait_dscnt 0x0
	s_barrier_signal -1
	s_barrier_wait -1
	s_and_saveexec_b32 s19, s2
	s_cbranch_execz .LBB122_87
; %bb.86:                               ;   in Loop: Header=BB122_7 Depth=1
	ds_load_2addr_b32 v[40:41], v49 offset1:32
	s_wait_dscnt 0x0
	v_min_i32_e32 v2, v41, v40
	ds_store_b32 v49, v2
.LBB122_87:                             ;   in Loop: Header=BB122_7 Depth=1
	s_or_b32 exec_lo, exec_lo, s19
	s_wait_dscnt 0x0
	s_barrier_signal -1
	s_barrier_wait -1
	s_and_saveexec_b32 s19, s3
	s_cbranch_execz .LBB122_89
; %bb.88:                               ;   in Loop: Header=BB122_7 Depth=1
	ds_load_2addr_b32 v[40:41], v49 offset1:16
	s_wait_dscnt 0x0
	v_min_i32_e32 v2, v41, v40
	ds_store_b32 v49, v2
.LBB122_89:                             ;   in Loop: Header=BB122_7 Depth=1
	s_or_b32 exec_lo, exec_lo, s19
	s_wait_dscnt 0x0
	s_barrier_signal -1
	s_barrier_wait -1
	s_and_saveexec_b32 s19, s4
	s_cbranch_execz .LBB122_91
; %bb.90:                               ;   in Loop: Header=BB122_7 Depth=1
	ds_load_2addr_b32 v[40:41], v49 offset1:8
	s_wait_dscnt 0x0
	v_min_i32_e32 v2, v41, v40
	ds_store_b32 v49, v2
.LBB122_91:                             ;   in Loop: Header=BB122_7 Depth=1
	s_or_b32 exec_lo, exec_lo, s19
	s_wait_dscnt 0x0
	s_barrier_signal -1
	s_barrier_wait -1
	s_and_saveexec_b32 s19, s5
	s_cbranch_execz .LBB122_93
; %bb.92:                               ;   in Loop: Header=BB122_7 Depth=1
	ds_load_2addr_b32 v[40:41], v49 offset1:4
	s_wait_dscnt 0x0
	v_min_i32_e32 v2, v41, v40
	ds_store_b32 v49, v2
.LBB122_93:                             ;   in Loop: Header=BB122_7 Depth=1
	s_or_b32 exec_lo, exec_lo, s19
	s_wait_dscnt 0x0
	s_barrier_signal -1
	s_barrier_wait -1
	s_and_saveexec_b32 s19, s6
	s_cbranch_execz .LBB122_95
; %bb.94:                               ;   in Loop: Header=BB122_7 Depth=1
	ds_load_2addr_b32 v[40:41], v49 offset1:2
	s_wait_dscnt 0x0
	v_min_i32_e32 v2, v41, v40
	ds_store_b32 v49, v2
.LBB122_95:                             ;   in Loop: Header=BB122_7 Depth=1
	s_or_b32 exec_lo, exec_lo, s19
	s_wait_dscnt 0x0
	s_barrier_signal -1
	s_barrier_wait -1
	s_and_saveexec_b32 s19, s7
	s_cbranch_execz .LBB122_6
; %bb.96:                               ;   in Loop: Header=BB122_7 Depth=1
	ds_load_b64 v[40:41], v3
	s_wait_dscnt 0x0
	v_min_i32_e32 v2, v41, v40
	ds_store_b32 v3, v2
	s_branch .LBB122_6
.LBB122_97:                             ;   in Loop: Header=BB122_7 Depth=1
	s_branch .LBB122_19
.LBB122_98:                             ;   in Loop: Header=BB122_7 Depth=1
	s_branch .LBB122_23
.LBB122_99:                             ;   in Loop: Header=BB122_7 Depth=1
	s_branch .LBB122_27
.LBB122_100:                            ;   in Loop: Header=BB122_7 Depth=1
	s_branch .LBB122_31
.LBB122_101:                            ;   in Loop: Header=BB122_7 Depth=1
	s_branch .LBB122_35
.LBB122_102:                            ;   in Loop: Header=BB122_7 Depth=1
	s_branch .LBB122_39
.LBB122_103:                            ;   in Loop: Header=BB122_7 Depth=1
	s_branch .LBB122_43
.LBB122_104:                            ;   in Loop: Header=BB122_7 Depth=1
	s_branch .LBB122_47
.LBB122_105:                            ;   in Loop: Header=BB122_7 Depth=1
	s_branch .LBB122_51
.LBB122_106:                            ;   in Loop: Header=BB122_7 Depth=1
	s_branch .LBB122_55
.LBB122_107:                            ;   in Loop: Header=BB122_7 Depth=1
	s_branch .LBB122_59
.LBB122_108:                            ;   in Loop: Header=BB122_7 Depth=1
	s_branch .LBB122_63
.LBB122_109:                            ;   in Loop: Header=BB122_7 Depth=1
	s_branch .LBB122_67
.LBB122_110:                            ;   in Loop: Header=BB122_7 Depth=1
	s_branch .LBB122_71
.LBB122_111:                            ;   in Loop: Header=BB122_7 Depth=1
	s_branch .LBB122_75
.LBB122_112:                            ;   in Loop: Header=BB122_7 Depth=1
	s_branch .LBB122_79
.LBB122_113:
	s_endpgm
	.section	.rodata,"a",@progbits
	.p2align	6, 0x0
	.amdhsa_kernel _ZN9rocsparseL40csr2gebsr_block_per_row_multipass_kernelILj256ELj64ELj64EdEEv20rocsparse_direction_iiiiii21rocsparse_index_base_PKT2_PKiS7_S2_PS3_PiS9_
		.amdhsa_group_segment_fixed_size 32776
		.amdhsa_private_segment_fixed_size 0
		.amdhsa_kernarg_size 88
		.amdhsa_user_sgpr_count 2
		.amdhsa_user_sgpr_dispatch_ptr 0
		.amdhsa_user_sgpr_queue_ptr 0
		.amdhsa_user_sgpr_kernarg_segment_ptr 1
		.amdhsa_user_sgpr_dispatch_id 0
		.amdhsa_user_sgpr_kernarg_preload_length 0
		.amdhsa_user_sgpr_kernarg_preload_offset 0
		.amdhsa_user_sgpr_private_segment_size 0
		.amdhsa_wavefront_size32 1
		.amdhsa_uses_dynamic_stack 0
		.amdhsa_enable_private_segment 0
		.amdhsa_system_sgpr_workgroup_id_x 1
		.amdhsa_system_sgpr_workgroup_id_y 0
		.amdhsa_system_sgpr_workgroup_id_z 0
		.amdhsa_system_sgpr_workgroup_info 0
		.amdhsa_system_vgpr_workitem_id 0
		.amdhsa_next_free_vgpr 60
		.amdhsa_next_free_sgpr 48
		.amdhsa_named_barrier_count 0
		.amdhsa_reserve_vcc 1
		.amdhsa_float_round_mode_32 0
		.amdhsa_float_round_mode_16_64 0
		.amdhsa_float_denorm_mode_32 3
		.amdhsa_float_denorm_mode_16_64 3
		.amdhsa_fp16_overflow 0
		.amdhsa_memory_ordered 1
		.amdhsa_forward_progress 1
		.amdhsa_inst_pref_size 27
		.amdhsa_round_robin_scheduling 0
		.amdhsa_exception_fp_ieee_invalid_op 0
		.amdhsa_exception_fp_denorm_src 0
		.amdhsa_exception_fp_ieee_div_zero 0
		.amdhsa_exception_fp_ieee_overflow 0
		.amdhsa_exception_fp_ieee_underflow 0
		.amdhsa_exception_fp_ieee_inexact 0
		.amdhsa_exception_int_div_zero 0
	.end_amdhsa_kernel
	.section	.text._ZN9rocsparseL40csr2gebsr_block_per_row_multipass_kernelILj256ELj64ELj64EdEEv20rocsparse_direction_iiiiii21rocsparse_index_base_PKT2_PKiS7_S2_PS3_PiS9_,"axG",@progbits,_ZN9rocsparseL40csr2gebsr_block_per_row_multipass_kernelILj256ELj64ELj64EdEEv20rocsparse_direction_iiiiii21rocsparse_index_base_PKT2_PKiS7_S2_PS3_PiS9_,comdat
.Lfunc_end122:
	.size	_ZN9rocsparseL40csr2gebsr_block_per_row_multipass_kernelILj256ELj64ELj64EdEEv20rocsparse_direction_iiiiii21rocsparse_index_base_PKT2_PKiS7_S2_PS3_PiS9_, .Lfunc_end122-_ZN9rocsparseL40csr2gebsr_block_per_row_multipass_kernelILj256ELj64ELj64EdEEv20rocsparse_direction_iiiiii21rocsparse_index_base_PKT2_PKiS7_S2_PS3_PiS9_
                                        ; -- End function
	.set _ZN9rocsparseL40csr2gebsr_block_per_row_multipass_kernelILj256ELj64ELj64EdEEv20rocsparse_direction_iiiiii21rocsparse_index_base_PKT2_PKiS7_S2_PS3_PiS9_.num_vgpr, 60
	.set _ZN9rocsparseL40csr2gebsr_block_per_row_multipass_kernelILj256ELj64ELj64EdEEv20rocsparse_direction_iiiiii21rocsparse_index_base_PKT2_PKiS7_S2_PS3_PiS9_.num_agpr, 0
	.set _ZN9rocsparseL40csr2gebsr_block_per_row_multipass_kernelILj256ELj64ELj64EdEEv20rocsparse_direction_iiiiii21rocsparse_index_base_PKT2_PKiS7_S2_PS3_PiS9_.numbered_sgpr, 48
	.set _ZN9rocsparseL40csr2gebsr_block_per_row_multipass_kernelILj256ELj64ELj64EdEEv20rocsparse_direction_iiiiii21rocsparse_index_base_PKT2_PKiS7_S2_PS3_PiS9_.num_named_barrier, 0
	.set _ZN9rocsparseL40csr2gebsr_block_per_row_multipass_kernelILj256ELj64ELj64EdEEv20rocsparse_direction_iiiiii21rocsparse_index_base_PKT2_PKiS7_S2_PS3_PiS9_.private_seg_size, 0
	.set _ZN9rocsparseL40csr2gebsr_block_per_row_multipass_kernelILj256ELj64ELj64EdEEv20rocsparse_direction_iiiiii21rocsparse_index_base_PKT2_PKiS7_S2_PS3_PiS9_.uses_vcc, 1
	.set _ZN9rocsparseL40csr2gebsr_block_per_row_multipass_kernelILj256ELj64ELj64EdEEv20rocsparse_direction_iiiiii21rocsparse_index_base_PKT2_PKiS7_S2_PS3_PiS9_.uses_flat_scratch, 0
	.set _ZN9rocsparseL40csr2gebsr_block_per_row_multipass_kernelILj256ELj64ELj64EdEEv20rocsparse_direction_iiiiii21rocsparse_index_base_PKT2_PKiS7_S2_PS3_PiS9_.has_dyn_sized_stack, 0
	.set _ZN9rocsparseL40csr2gebsr_block_per_row_multipass_kernelILj256ELj64ELj64EdEEv20rocsparse_direction_iiiiii21rocsparse_index_base_PKT2_PKiS7_S2_PS3_PiS9_.has_recursion, 0
	.set _ZN9rocsparseL40csr2gebsr_block_per_row_multipass_kernelILj256ELj64ELj64EdEEv20rocsparse_direction_iiiiii21rocsparse_index_base_PKT2_PKiS7_S2_PS3_PiS9_.has_indirect_call, 0
	.section	.AMDGPU.csdata,"",@progbits
; Kernel info:
; codeLenInByte = 3424
; TotalNumSgprs: 50
; NumVgprs: 60
; ScratchSize: 0
; MemoryBound: 0
; FloatMode: 240
; IeeeMode: 1
; LDSByteSize: 32776 bytes/workgroup (compile time only)
; SGPRBlocks: 0
; VGPRBlocks: 3
; NumSGPRsForWavesPerEU: 50
; NumVGPRsForWavesPerEU: 60
; NamedBarCnt: 0
; Occupancy: 16
; WaveLimiterHint : 0
; COMPUTE_PGM_RSRC2:SCRATCH_EN: 0
; COMPUTE_PGM_RSRC2:USER_SGPR: 2
; COMPUTE_PGM_RSRC2:TRAP_HANDLER: 0
; COMPUTE_PGM_RSRC2:TGID_X_EN: 1
; COMPUTE_PGM_RSRC2:TGID_Y_EN: 0
; COMPUTE_PGM_RSRC2:TGID_Z_EN: 0
; COMPUTE_PGM_RSRC2:TIDIG_COMP_CNT: 0
	.section	.text._ZN9rocsparseL23csr2gebsr_65_inf_kernelILi32EdEEv20rocsparse_direction_iiiiiii21rocsparse_index_base_PKT0_PKiS7_S2_PS3_PiS9_S9_S8_,"axG",@progbits,_ZN9rocsparseL23csr2gebsr_65_inf_kernelILi32EdEEv20rocsparse_direction_iiiiiii21rocsparse_index_base_PKT0_PKiS7_S2_PS3_PiS9_S9_S8_,comdat
	.globl	_ZN9rocsparseL23csr2gebsr_65_inf_kernelILi32EdEEv20rocsparse_direction_iiiiiii21rocsparse_index_base_PKT0_PKiS7_S2_PS3_PiS9_S9_S8_ ; -- Begin function _ZN9rocsparseL23csr2gebsr_65_inf_kernelILi32EdEEv20rocsparse_direction_iiiiiii21rocsparse_index_base_PKT0_PKiS7_S2_PS3_PiS9_S9_S8_
	.p2align	8
	.type	_ZN9rocsparseL23csr2gebsr_65_inf_kernelILi32EdEEv20rocsparse_direction_iiiiiii21rocsparse_index_base_PKT0_PKiS7_S2_PS3_PiS9_S9_S8_,@function
_ZN9rocsparseL23csr2gebsr_65_inf_kernelILi32EdEEv20rocsparse_direction_iiiiiii21rocsparse_index_base_PKT0_PKiS7_S2_PS3_PiS9_S9_S8_: ; @_ZN9rocsparseL23csr2gebsr_65_inf_kernelILi32EdEEv20rocsparse_direction_iiiiiii21rocsparse_index_base_PKT0_PKiS7_S2_PS3_PiS9_S9_S8_
; %bb.0:
	s_clause 0x2
	s_load_b128 s[4:7], s[0:1], 0x0
	s_load_b64 s[2:3], s[0:1], 0x60
	s_load_b32 s24, s[0:1], 0x40
	s_bfe_u32 s8, ttmp6, 0x4000c
	s_and_b32 s9, ttmp6, 15
	s_add_co_i32 s8, s8, 1
	s_getreg_b32 s10, hwreg(HW_REG_IB_STS2, 6, 4)
	s_mul_i32 s8, ttmp9, s8
	s_delay_alu instid0(SALU_CYCLE_1)
	s_add_co_i32 s9, s9, s8
	s_cmp_eq_u32 s10, 0
	s_cselect_b32 s18, ttmp9, s9
	s_wait_kmcnt 0x0
	s_cmp_ge_i32 s18, s7
	s_mov_b32 s7, 0
	s_cbranch_scc1 .LBB123_2
; %bb.1:
	s_load_b64 s[8:9], s[0:1], 0x50
	s_ashr_i32 s19, s18, 31
	s_delay_alu instid0(SALU_CYCLE_1)
	s_lshl_b64 s[10:11], s[18:19], 2
	s_wait_kmcnt 0x0
	s_add_nc_u64 s[8:9], s[8:9], s[10:11]
	s_load_b32 s7, s[8:9], 0x0
	s_wait_kmcnt 0x0
	s_sub_co_i32 s7, s7, s24
.LBB123_2:
	s_load_b128 s[8:11], s[0:1], 0x14
	s_wait_kmcnt 0x0
	v_mul_lo_u32 v8, s10, v0
	s_mul_i32 s12, s18, s10
	s_lshl_b32 s22, s10, 5
	s_mulk_i32 s12, 0x60
	s_ashr_i32 s23, s22, 31
	s_ashr_i32 s13, s12, 31
	s_delay_alu instid0(SALU_CYCLE_1) | instskip(SKIP_3) | instid1(VALU_DEP_1)
	s_lshl_b64 s[12:13], s[12:13], 2
	s_cmp_gt_i32 s10, 0
	s_add_nc_u64 s[20:21], s[2:3], s[12:13]
	s_cselect_b32 s25, -1, 0
	v_ashrrev_i32_e32 v9, 31, v8
	s_cmp_lt_i32 s10, 1
	s_delay_alu instid0(VALU_DEP_1)
	v_lshl_add_u64 v[2:3], v[8:9], 2, s[20:21]
	s_cbranch_scc1 .LBB123_7
; %bb.3:
	s_load_b64 s[12:13], s[0:1], 0x30
	s_delay_alu instid0(VALU_DEP_1)
	v_mov_b64_e32 v[4:5], v[2:3]
	v_dual_mov_b32 v1, 0 :: v_dual_mov_b32 v12, v0
	s_mul_i32 s3, s8, s18
	s_lshl_b64 s[14:15], s[22:23], 2
	s_mov_b32 s16, s10
	s_branch .LBB123_5
.LBB123_4:                              ;   in Loop: Header=BB123_5 Depth=1
	s_wait_xcnt 0x0
	s_or_b32 exec_lo, exec_lo, s2
	v_add_nc_u64_e32 v[4:5], 4, v[4:5]
	v_add_nc_u32_e32 v12, 32, v12
	s_add_co_i32 s16, s16, -1
	s_delay_alu instid0(SALU_CYCLE_1)
	s_cmp_eq_u32 s16, 0
	s_cbranch_scc1 .LBB123_7
.LBB123_5:                              ; =>This Inner Loop Header: Depth=1
	s_delay_alu instid0(VALU_DEP_1) | instskip(NEXT) | instid1(VALU_DEP_3)
	v_add_nc_u32_e32 v10, s3, v12
	v_add_nc_u64_e32 v[6:7], s[14:15], v[4:5]
	v_cmp_gt_i32_e64 s2, s8, v12
	global_store_b32 v[4:5], v1, off
	v_cmp_gt_i32_e32 vcc_lo, s5, v10
	global_store_b32 v[6:7], v1, off
	s_and_b32 s17, vcc_lo, s2
	s_wait_xcnt 0x0
	s_and_saveexec_b32 s2, s17
	s_cbranch_execz .LBB123_4
; %bb.6:                                ;   in Loop: Header=BB123_5 Depth=1
	v_ashrrev_i32_e32 v11, 31, v10
	s_wait_kmcnt 0x0
	s_delay_alu instid0(VALU_DEP_1)
	v_lshl_add_u64 v[10:11], v[10:11], 2, s[12:13]
	global_load_b64 v[10:11], v[10:11], off
	s_wait_loadcnt 0x0
	v_subrev_nc_u32_e32 v10, s11, v10
	v_subrev_nc_u32_e32 v11, s11, v11
	s_clause 0x1
	global_store_b32 v[4:5], v10, off
	global_store_b32 v[6:7], v11, off
	s_branch .LBB123_4
.LBB123_7:
	s_cmp_lt_i32 s6, 1
	s_cbranch_scc1 .LBB123_37
; %bb.8:
	s_clause 0x1
	s_load_b64 s[26:27], s[0:1], 0x68
	s_load_b64 s[2:3], s[0:1], 0x58
	s_wait_kmcnt 0x0
	s_clause 0x2
	s_load_b64 s[12:13], s[0:1], 0x48
	s_load_b64 s[14:15], s[0:1], 0x28
	;; [unrolled: 1-line block ×3, first 2 shown]
	v_mbcnt_lo_u32_b32 v10, -1, 0
	v_lshlrev_b64_e32 v[6:7], 2, v[8:9]
	s_mul_i32 s18, s22, s18
	s_wait_xcnt 0x0
	s_lshl_b64 s[0:1], s[22:23], 2
	s_ashr_i32 s29, s10, 31
	v_xor_b32_e32 v11, 8, v10
	v_xor_b32_e32 v1, 16, v10
	s_mov_b32 s28, s10
	s_ashr_i32 s19, s18, 31
	s_add_nc_u64 s[0:1], s[20:21], s[0:1]
	s_lshl_b64 s[20:21], s[28:29], 7
	s_lshl_b64 s[18:19], s[18:19], 3
	v_cmp_gt_i32_e32 vcc_lo, 32, v1
	s_add_nc_u64 s[20:21], s[0:1], s[20:21]
	v_add_nc_u64_e32 v[4:5], s[0:1], v[6:7]
	s_add_nc_u64 s[0:1], s[26:27], s[18:19]
	s_cmp_lg_u32 s4, 0
	v_lshl_add_u64 v[8:9], v[8:9], 3, s[0:1]
	s_cselect_b32 s1, -1, 0
	s_abs_i32 s26, s9
	v_dual_cndmask_b32 v1, v10, v1, vcc_lo :: v_dual_bitop2_b32 v12, 4, v10 bitop3:0x14
	s_cvt_f32_u32 s0, s26
	v_cmp_gt_i32_e32 vcc_lo, 32, v11
	s_delay_alu instid0(VALU_DEP_2) | instskip(NEXT) | instid1(SALU_CYCLE_1)
	v_dual_lshlrev_b32 v1, 2, v1 :: v_dual_bitop2_b32 v13, 2, v10 bitop3:0x14
	v_rcp_iflag_f32_e32 v15, s0
	v_mul_lo_u32 v33, v0, s9
	v_cndmask_b32_e32 v11, v10, v11, vcc_lo
	v_cmp_gt_i32_e32 vcc_lo, 32, v12
	s_sub_co_i32 s18, 0, s26
	v_add_nc_u64_e32 v[6:7], s[20:21], v[6:7]
	v_cmp_eq_u32_e64 s0, 31, v0
	v_readfirstlane_b32 s4, v15
	v_cndmask_b32_e32 v12, v10, v12, vcc_lo
	v_cmp_gt_i32_e32 vcc_lo, 32, v13
	v_dual_lshlrev_b32 v28, 2, v11 :: v_dual_bitop2_b32 v14, 1, v10 bitop3:0x14
	s_mul_f32 s4, s4, 0x4f7ffffe
	v_dual_mov_b32 v32, 0x7c :: v_dual_cndmask_b32 v13, v10, v13
	s_delay_alu instid0(VALU_DEP_2) | instskip(NEXT) | instid1(SALU_CYCLE_1)
	v_cmp_gt_i32_e32 vcc_lo, 32, v14
	s_cvt_u32_f32 s4, s4
	v_dual_lshlrev_b32 v29, 2, v12 :: v_dual_mov_b32 v11, 0
	v_dual_mov_b32 v34, 0 :: v_dual_cndmask_b32 v10, v10, v14, vcc_lo
	v_lshlrev_b32_e32 v30, 2, v13
	v_mov_b64_e32 v[12:13], 0
	s_mul_i32 s22, s18, s4
	s_delay_alu instid0(VALU_DEP_3)
	v_dual_mov_b32 v35, 0 :: v_dual_lshlrev_b32 v31, 2, v10
	v_mov_b32_e32 v10, 0
	s_mov_b32 s5, 0
	s_ashr_i32 s21, s8, 31
	s_mov_b32 s20, s8
	s_ashr_i32 s19, s9, 31
	s_mov_b32 s18, s9
	s_mul_hi_u32 s22, s4, s22
	s_add_co_i32 s27, s7, -1
	s_mul_u64 s[20:21], s[18:19], s[20:21]
	s_add_co_i32 s22, s4, s22
	s_mov_b32 s23, s5
	s_lshl_b32 s18, s9, 5
	s_mov_b32 s28, 0
	s_branch .LBB123_10
.LBB123_9:                              ;   in Loop: Header=BB123_10 Depth=1
	s_wait_dscnt 0x1
	v_add_nc_u32_e32 v10, 1, v36
	s_delay_alu instid0(VALU_DEP_1) | instskip(SKIP_1) | instid1(SALU_CYCLE_1)
	v_cmp_le_i32_e32 vcc_lo, s6, v10
	s_or_b32 s28, vcc_lo, s28
	s_and_not1_b32 exec_lo, exec_lo, s28
	s_cbranch_execz .LBB123_37
.LBB123_10:                             ; =>This Loop Header: Depth=1
                                        ;     Child Loop BB123_14 Depth 2
                                        ;       Child Loop BB123_17 Depth 3
                                        ;     Child Loop BB123_31 Depth 2
	v_mov_b32_e32 v26, s6
	s_and_not1_b32 vcc_lo, exec_lo, s25
	s_cbranch_vccnz .LBB123_23
; %bb.11:                               ;   in Loop: Header=BB123_10 Depth=1
	v_mov_b32_e32 v26, s6
	s_mov_b32 s4, 0
	s_branch .LBB123_14
.LBB123_12:                             ;   in Loop: Header=BB123_14 Depth=2
	s_wait_xcnt 0x0
	s_or_b32 exec_lo, exec_lo, s30
.LBB123_13:                             ;   in Loop: Header=BB123_14 Depth=2
	s_delay_alu instid0(SALU_CYCLE_1) | instskip(SKIP_1) | instid1(SALU_CYCLE_1)
	s_or_b32 exec_lo, exec_lo, s29
	s_add_co_i32 s4, s4, 1
	s_cmp_eq_u32 s4, s10
	s_cbranch_scc1 .LBB123_23
.LBB123_14:                             ;   Parent Loop BB123_10 Depth=1
                                        ; =>  This Loop Header: Depth=2
                                        ;       Child Loop BB123_17 Depth 3
	s_lshl_b64 s[30:31], s[4:5], 2
	v_mov_b32_e32 v20, s6
	v_add_nc_u64_e32 v[14:15], s[30:31], v[6:7]
	v_add_nc_u64_e32 v[16:17], s[30:31], v[2:3]
	;; [unrolled: 1-line block ×3, first 2 shown]
	s_mov_b32 s29, exec_lo
	s_clause 0x2
	global_store_b32 v[14:15], v20, off
	global_load_b32 v22, v[16:17], off
	global_load_b32 v36, v[18:19], off
	s_wait_xcnt 0x0
	v_lshl_add_u64 v[18:19], s[4:5], 3, v[8:9]
	global_store_b64 v[18:19], v[12:13], off
	s_wait_loadcnt 0x0
	s_wait_xcnt 0x0
	v_cmpx_lt_i32_e64 v22, v36
	s_cbranch_execz .LBB123_13
; %bb.15:                               ;   in Loop: Header=BB123_14 Depth=2
	v_ashrrev_i32_e32 v23, 31, v22
	s_mov_b32 s30, 0
                                        ; implicit-def: $sgpr31
                                        ; implicit-def: $sgpr34
                                        ; implicit-def: $sgpr33
	s_wait_kmcnt 0x0
	s_delay_alu instid0(VALU_DEP_1)
	v_lshl_add_u64 v[24:25], v[22:23], 2, s[16:17]
	s_branch .LBB123_17
.LBB123_16:                             ;   in Loop: Header=BB123_17 Depth=3
	s_or_b32 exec_lo, exec_lo, s35
	s_delay_alu instid0(SALU_CYCLE_1) | instskip(NEXT) | instid1(SALU_CYCLE_1)
	s_and_b32 s35, exec_lo, s34
	s_or_b32 s30, s35, s30
	s_and_not1_b32 s31, s31, exec_lo
	s_and_b32 s35, s33, exec_lo
	s_delay_alu instid0(SALU_CYCLE_1)
	s_or_b32 s31, s31, s35
	s_and_not1_b32 exec_lo, exec_lo, s30
	s_cbranch_execz .LBB123_19
.LBB123_17:                             ;   Parent Loop BB123_10 Depth=1
                                        ;     Parent Loop BB123_14 Depth=2
                                        ; =>    This Inner Loop Header: Depth=3
	global_load_b32 v20, v[24:25], off
	s_or_b32 s33, s33, exec_lo
	s_or_b32 s34, s34, exec_lo
	s_mov_b32 s35, exec_lo
	s_wait_loadcnt 0x0
	v_subrev_nc_u32_e32 v27, s11, v20
	v_mov_b64_e32 v[20:21], v[22:23]
                                        ; implicit-def: $vgpr22_vgpr23
	s_wait_xcnt 0x0
	s_delay_alu instid0(VALU_DEP_2)
	v_cmpx_lt_i32_e64 v27, v10
	s_cbranch_execz .LBB123_16
; %bb.18:                               ;   in Loop: Header=BB123_17 Depth=3
	s_delay_alu instid0(VALU_DEP_2) | instskip(SKIP_3) | instid1(VALU_DEP_2)
	v_add_nc_u64_e32 v[22:23], 1, v[20:21]
	v_add_nc_u64_e32 v[24:25], 4, v[24:25]
	s_and_not1_b32 s34, s34, exec_lo
	s_and_not1_b32 s33, s33, exec_lo
	v_cmp_ge_i32_e32 vcc_lo, v22, v36
	s_and_b32 s36, vcc_lo, exec_lo
	s_delay_alu instid0(SALU_CYCLE_1)
	s_or_b32 s34, s34, s36
	s_branch .LBB123_16
.LBB123_19:                             ;   in Loop: Header=BB123_14 Depth=2
	s_or_b32 exec_lo, exec_lo, s30
	v_lshl_add_u64 v[22:23], v[20:21], 3, s[14:15]
	s_xor_b32 s30, s31, -1
	s_delay_alu instid0(SALU_CYCLE_1) | instskip(NEXT) | instid1(SALU_CYCLE_1)
	s_and_saveexec_b32 s31, s30
	s_xor_b32 s30, exec_lo, s31
	s_cbranch_execz .LBB123_21
; %bb.20:                               ;   in Loop: Header=BB123_14 Depth=2
	global_load_b64 v[16:17], v[22:23], off
                                        ; implicit-def: $vgpr22_vgpr23
	global_store_b32 v[14:15], v27, off
	s_wait_loadcnt 0x0
	global_store_b64 v[18:19], v[16:17], off
                                        ; implicit-def: $vgpr14_vgpr15
                                        ; implicit-def: $vgpr18_vgpr19
                                        ; implicit-def: $vgpr16_vgpr17
.LBB123_21:                             ;   in Loop: Header=BB123_14 Depth=2
	s_wait_xcnt 0x0
	s_and_not1_saveexec_b32 s30, s30
	s_cbranch_execz .LBB123_12
; %bb.22:                               ;   in Loop: Header=BB123_14 Depth=2
	global_load_b64 v[22:23], v[22:23], off
	v_min_i32_e32 v26, v27, v26
	global_store_b32 v[14:15], v27, off
	s_wait_loadcnt 0x0
	global_store_b64 v[18:19], v[22:23], off
	global_store_b32 v[16:17], v20, off
	s_branch .LBB123_12
.LBB123_23:                             ;   in Loop: Header=BB123_10 Depth=1
	ds_bpermute_b32 v10, v1, v26
	s_wait_dscnt 0x0
	v_min_i32_e32 v10, v10, v26
	ds_bpermute_b32 v14, v28, v10
	s_wait_dscnt 0x0
	v_min_i32_e32 v10, v14, v10
	;; [unrolled: 3-line block ×5, first 2 shown]
	s_delay_alu instid0(VALU_DEP_1) | instskip(SKIP_1) | instid1(SALU_CYCLE_1)
	v_cmp_gt_i32_e32 vcc_lo, s6, v14
	s_and_b32 s29, s0, vcc_lo
	s_and_saveexec_b32 s4, s29
	s_cbranch_execz .LBB123_27
; %bb.24:                               ;   in Loop: Header=BB123_10 Depth=1
	v_sub_nc_u32_e32 v10, 0, v14
	s_mov_b32 s29, exec_lo
	s_delay_alu instid0(VALU_DEP_1) | instskip(NEXT) | instid1(VALU_DEP_1)
	v_max_i32_e32 v10, v14, v10
	v_mul_u64_e32 v[16:17], s[22:23], v[10:11]
	s_delay_alu instid0(VALU_DEP_1) | instskip(NEXT) | instid1(VALU_DEP_1)
	v_mul_lo_u32 v15, v17, s26
	v_dual_sub_nc_u32 v10, v10, v15 :: v_dual_add_nc_u32 v15, 1, v17
	s_delay_alu instid0(VALU_DEP_1) | instskip(NEXT) | instid1(VALU_DEP_2)
	v_cmp_le_u32_e32 vcc_lo, s26, v10
	v_dual_cndmask_b32 v15, v17, v15, vcc_lo :: v_dual_ashrrev_i32 v17, 31, v14
	v_subrev_nc_u32_e32 v16, s26, v10
	s_delay_alu instid0(VALU_DEP_1) | instskip(NEXT) | instid1(VALU_DEP_1)
	v_dual_cndmask_b32 v10, v10, v16, vcc_lo :: v_dual_add_nc_u32 v16, 1, v15
	v_cmp_le_u32_e32 vcc_lo, s26, v10
	s_delay_alu instid0(VALU_DEP_2) | instskip(NEXT) | instid1(VALU_DEP_1)
	v_dual_cndmask_b32 v10, v15, v16, vcc_lo :: v_dual_bitop2_b32 v17, s19, v17 bitop3:0x14
	v_xor_b32_e32 v10, v10, v17
	s_delay_alu instid0(VALU_DEP_1) | instskip(NEXT) | instid1(VALU_DEP_1)
	v_sub_nc_u32_e32 v10, v10, v17
	v_cmpx_ge_i32_e64 v10, v34
	s_cbranch_execz .LBB123_26
; %bb.25:                               ;   in Loop: Header=BB123_10 Depth=1
	v_dual_add_nc_u32 v15, 1, v35 :: v_dual_add_nc_u32 v34, 1, v10
	v_dual_add_nc_u32 v16, s7, v35 :: v_dual_add_nc_u32 v10, s24, v10
	s_delay_alu instid0(VALU_DEP_2)
	v_mov_b32_e32 v35, v15
	global_store_b32 v16, v10, s[2:3] scale_offset
.LBB123_26:                             ;   in Loop: Header=BB123_10 Depth=1
	s_wait_xcnt 0x0
	s_or_b32 exec_lo, exec_lo, s29
.LBB123_27:                             ;   in Loop: Header=BB123_10 Depth=1
	s_delay_alu instid0(SALU_CYCLE_1)
	s_or_b32 exec_lo, exec_lo, s4
	ds_bpermute_b32 v36, v32, v14
	ds_bpermute_b32 v35, v32, v35
	s_and_not1_b32 vcc_lo, exec_lo, s25
	s_cbranch_vccnz .LBB123_9
; %bb.28:                               ;   in Loop: Header=BB123_10 Depth=1
	s_wait_dscnt 0x0
	v_dual_sub_nc_u32 v10, 0, v36 :: v_dual_add_nc_u32 v16, s27, v35
	s_mov_b32 s4, s10
	v_dual_mov_b32 v18, v0 :: v_dual_mov_b32 v38, v33
	s_delay_alu instid0(VALU_DEP_2) | instskip(NEXT) | instid1(VALU_DEP_1)
	v_dual_ashrrev_i32 v17, 31, v16 :: v_dual_max_i32 v10, v36, v10
	v_mul_u64_e32 v[14:15], s[22:23], v[10:11]
	s_delay_alu instid0(VALU_DEP_2) | instskip(NEXT) | instid1(VALU_DEP_2)
	v_mul_u64_e32 v[20:21], s[20:21], v[16:17]
	v_mul_lo_u32 v14, v15, s26
	s_wait_kmcnt 0x0
	s_delay_alu instid0(VALU_DEP_2) | instskip(NEXT) | instid1(VALU_DEP_2)
	v_lshl_add_u64 v[20:21], v[20:21], 3, s[12:13]
	v_dual_sub_nc_u32 v10, v10, v14 :: v_dual_add_nc_u32 v14, 1, v15
	s_delay_alu instid0(VALU_DEP_1) | instskip(SKIP_1) | instid1(VALU_DEP_3)
	v_subrev_nc_u32_e32 v16, s26, v10
	v_cmp_le_u32_e32 vcc_lo, s26, v10
	v_dual_cndmask_b32 v14, v15, v14 :: v_dual_ashrrev_i32 v15, 31, v36
	s_delay_alu instid0(VALU_DEP_1) | instskip(NEXT) | instid1(VALU_DEP_1)
	v_dual_cndmask_b32 v10, v10, v16, vcc_lo :: v_dual_add_nc_u32 v16, 1, v14
	v_cmp_le_u32_e32 vcc_lo, s26, v10
	s_delay_alu instid0(VALU_DEP_2) | instskip(SKIP_2) | instid1(VALU_DEP_3)
	v_dual_cndmask_b32 v10, v14, v16, vcc_lo :: v_dual_bitop2_b32 v19, s19, v15 bitop3:0x14
	v_mov_b64_e32 v[14:15], v[8:9]
	v_mov_b64_e32 v[16:17], v[6:7]
	v_xor_b32_e32 v10, v10, v19
	s_delay_alu instid0(VALU_DEP_1)
	v_sub_nc_u32_e32 v37, v10, v19
	s_branch .LBB123_31
.LBB123_29:                             ;   in Loop: Header=BB123_31 Depth=2
	s_delay_alu instid0(VALU_DEP_3) | instskip(NEXT) | instid1(VALU_DEP_1)
	v_ashrrev_i32_e32 v27, 31, v26
	v_lshl_add_u64 v[26:27], v[26:27], 3, v[20:21]
	s_delay_alu instid0(VALU_DEP_1)
	v_lshl_add_u64 v[24:25], v[24:25], 3, v[26:27]
	s_wait_loadcnt 0x0
	global_store_b64 v[24:25], v[22:23], off
.LBB123_30:                             ;   in Loop: Header=BB123_31 Depth=2
	s_wait_xcnt 0x0
	s_or_b32 exec_lo, exec_lo, s29
	v_add_nc_u64_e32 v[16:17], 4, v[16:17]
	v_add_nc_u64_e32 v[14:15], 8, v[14:15]
	v_add_nc_u32_e32 v38, s18, v38
	v_add_nc_u32_e32 v18, 32, v18
	s_add_co_i32 s4, s4, -1
	s_delay_alu instid0(SALU_CYCLE_1)
	s_cmp_eq_u32 s4, 0
	s_cbranch_scc1 .LBB123_9
.LBB123_31:                             ;   Parent Loop BB123_10 Depth=1
                                        ; =>  This Inner Loop Header: Depth=2
	global_load_b32 v19, v[16:17], off
	s_mov_b32 s29, exec_lo
	s_wait_loadcnt 0x0
	v_cmpx_gt_i32_e64 s6, v19
	s_cbranch_execz .LBB123_30
; %bb.32:                               ;   in Loop: Header=BB123_31 Depth=2
	v_dual_sub_nc_u32 v10, 0, v19 :: v_dual_ashrrev_i32 v27, 31, v19
	s_delay_alu instid0(VALU_DEP_1) | instskip(NEXT) | instid1(VALU_DEP_1)
	v_max_i32_e32 v10, v19, v10
	v_mul_u64_e32 v[22:23], s[22:23], v[10:11]
	s_delay_alu instid0(VALU_DEP_1) | instskip(NEXT) | instid1(VALU_DEP_1)
	v_mul_lo_u32 v22, v23, s26
	v_dual_add_nc_u32 v24, 1, v23 :: v_dual_sub_nc_u32 v22, v10, v22
	s_delay_alu instid0(VALU_DEP_1) | instskip(SKIP_1) | instid1(VALU_DEP_2)
	v_subrev_nc_u32_e32 v25, s26, v22
	v_cmp_le_u32_e32 vcc_lo, s26, v22
	v_dual_cndmask_b32 v23, v23, v24 :: v_dual_cndmask_b32 v22, v22, v25
	s_delay_alu instid0(VALU_DEP_1) | instskip(NEXT) | instid1(VALU_DEP_2)
	v_add_nc_u32_e32 v24, 1, v23
	v_cmp_le_u32_e32 vcc_lo, s26, v22
	s_delay_alu instid0(VALU_DEP_2) | instskip(NEXT) | instid1(VALU_DEP_1)
	v_dual_cndmask_b32 v22, v23, v24, vcc_lo :: v_dual_bitop2_b32 v25, s19, v27 bitop3:0x14
	v_xor_b32_e32 v22, v22, v25
	s_delay_alu instid0(VALU_DEP_1) | instskip(NEXT) | instid1(VALU_DEP_1)
	v_sub_nc_u32_e32 v22, v22, v25
	v_cmp_eq_u32_e32 vcc_lo, v22, v37
	s_and_b32 exec_lo, exec_lo, vcc_lo
	s_cbranch_execz .LBB123_30
; %bb.33:                               ;   in Loop: Header=BB123_31 Depth=2
	global_load_b64 v[22:23], v[14:15], off
	s_and_b32 vcc_lo, exec_lo, s1
	s_cbranch_vccz .LBB123_35
; %bb.34:                               ;   in Loop: Header=BB123_31 Depth=2
	v_mul_lo_u32 v24, v37, s9
	s_delay_alu instid0(VALU_DEP_1) | instskip(NEXT) | instid1(VALU_DEP_1)
	v_sub_nc_u32_e32 v19, v19, v24
	v_mul_lo_u32 v26, v19, s8
	v_mov_b32_e32 v19, v11
	s_delay_alu instid0(VALU_DEP_1)
	v_mov_b64_e32 v[24:25], v[18:19]
	s_cbranch_execnz .LBB123_29
	s_branch .LBB123_36
.LBB123_35:                             ;   in Loop: Header=BB123_31 Depth=2
                                        ; implicit-def: $vgpr24_vgpr25
                                        ; implicit-def: $vgpr26
.LBB123_36:                             ;   in Loop: Header=BB123_31 Depth=2
	v_mul_u64_e32 v[24:25], s[22:23], v[10:11]
	v_mov_b32_e32 v26, v38
	s_delay_alu instid0(VALU_DEP_2) | instskip(NEXT) | instid1(VALU_DEP_1)
	v_mul_lo_u32 v19, v25, s26
	v_sub_nc_u32_e32 v10, v10, v19
	s_delay_alu instid0(VALU_DEP_1) | instskip(SKIP_1) | instid1(VALU_DEP_2)
	v_subrev_nc_u32_e32 v19, s26, v10
	v_cmp_le_u32_e32 vcc_lo, s26, v10
	v_cndmask_b32_e32 v10, v10, v19, vcc_lo
	s_delay_alu instid0(VALU_DEP_1) | instskip(SKIP_1) | instid1(VALU_DEP_2)
	v_subrev_nc_u32_e32 v19, s26, v10
	v_cmp_le_u32_e32 vcc_lo, s26, v10
	v_cndmask_b32_e32 v10, v10, v19, vcc_lo
	s_delay_alu instid0(VALU_DEP_1) | instskip(NEXT) | instid1(VALU_DEP_1)
	v_xor_b32_e32 v10, v10, v27
	v_sub_nc_u32_e32 v24, v10, v27
	s_delay_alu instid0(VALU_DEP_1)
	v_ashrrev_i32_e32 v25, 31, v24
	s_branch .LBB123_29
.LBB123_37:
	s_endpgm
	.section	.rodata,"a",@progbits
	.p2align	6, 0x0
	.amdhsa_kernel _ZN9rocsparseL23csr2gebsr_65_inf_kernelILi32EdEEv20rocsparse_direction_iiiiiii21rocsparse_index_base_PKT0_PKiS7_S2_PS3_PiS9_S9_S8_
		.amdhsa_group_segment_fixed_size 0
		.amdhsa_private_segment_fixed_size 0
		.amdhsa_kernarg_size 112
		.amdhsa_user_sgpr_count 2
		.amdhsa_user_sgpr_dispatch_ptr 0
		.amdhsa_user_sgpr_queue_ptr 0
		.amdhsa_user_sgpr_kernarg_segment_ptr 1
		.amdhsa_user_sgpr_dispatch_id 0
		.amdhsa_user_sgpr_kernarg_preload_length 0
		.amdhsa_user_sgpr_kernarg_preload_offset 0
		.amdhsa_user_sgpr_private_segment_size 0
		.amdhsa_wavefront_size32 1
		.amdhsa_uses_dynamic_stack 0
		.amdhsa_enable_private_segment 0
		.amdhsa_system_sgpr_workgroup_id_x 1
		.amdhsa_system_sgpr_workgroup_id_y 0
		.amdhsa_system_sgpr_workgroup_id_z 0
		.amdhsa_system_sgpr_workgroup_info 0
		.amdhsa_system_vgpr_workitem_id 0
		.amdhsa_next_free_vgpr 39
		.amdhsa_next_free_sgpr 37
		.amdhsa_named_barrier_count 0
		.amdhsa_reserve_vcc 1
		.amdhsa_float_round_mode_32 0
		.amdhsa_float_round_mode_16_64 0
		.amdhsa_float_denorm_mode_32 3
		.amdhsa_float_denorm_mode_16_64 3
		.amdhsa_fp16_overflow 0
		.amdhsa_memory_ordered 1
		.amdhsa_forward_progress 1
		.amdhsa_inst_pref_size 18
		.amdhsa_round_robin_scheduling 0
		.amdhsa_exception_fp_ieee_invalid_op 0
		.amdhsa_exception_fp_denorm_src 0
		.amdhsa_exception_fp_ieee_div_zero 0
		.amdhsa_exception_fp_ieee_overflow 0
		.amdhsa_exception_fp_ieee_underflow 0
		.amdhsa_exception_fp_ieee_inexact 0
		.amdhsa_exception_int_div_zero 0
	.end_amdhsa_kernel
	.section	.text._ZN9rocsparseL23csr2gebsr_65_inf_kernelILi32EdEEv20rocsparse_direction_iiiiiii21rocsparse_index_base_PKT0_PKiS7_S2_PS3_PiS9_S9_S8_,"axG",@progbits,_ZN9rocsparseL23csr2gebsr_65_inf_kernelILi32EdEEv20rocsparse_direction_iiiiiii21rocsparse_index_base_PKT0_PKiS7_S2_PS3_PiS9_S9_S8_,comdat
.Lfunc_end123:
	.size	_ZN9rocsparseL23csr2gebsr_65_inf_kernelILi32EdEEv20rocsparse_direction_iiiiiii21rocsparse_index_base_PKT0_PKiS7_S2_PS3_PiS9_S9_S8_, .Lfunc_end123-_ZN9rocsparseL23csr2gebsr_65_inf_kernelILi32EdEEv20rocsparse_direction_iiiiiii21rocsparse_index_base_PKT0_PKiS7_S2_PS3_PiS9_S9_S8_
                                        ; -- End function
	.set _ZN9rocsparseL23csr2gebsr_65_inf_kernelILi32EdEEv20rocsparse_direction_iiiiiii21rocsparse_index_base_PKT0_PKiS7_S2_PS3_PiS9_S9_S8_.num_vgpr, 39
	.set _ZN9rocsparseL23csr2gebsr_65_inf_kernelILi32EdEEv20rocsparse_direction_iiiiiii21rocsparse_index_base_PKT0_PKiS7_S2_PS3_PiS9_S9_S8_.num_agpr, 0
	.set _ZN9rocsparseL23csr2gebsr_65_inf_kernelILi32EdEEv20rocsparse_direction_iiiiiii21rocsparse_index_base_PKT0_PKiS7_S2_PS3_PiS9_S9_S8_.numbered_sgpr, 37
	.set _ZN9rocsparseL23csr2gebsr_65_inf_kernelILi32EdEEv20rocsparse_direction_iiiiiii21rocsparse_index_base_PKT0_PKiS7_S2_PS3_PiS9_S9_S8_.num_named_barrier, 0
	.set _ZN9rocsparseL23csr2gebsr_65_inf_kernelILi32EdEEv20rocsparse_direction_iiiiiii21rocsparse_index_base_PKT0_PKiS7_S2_PS3_PiS9_S9_S8_.private_seg_size, 0
	.set _ZN9rocsparseL23csr2gebsr_65_inf_kernelILi32EdEEv20rocsparse_direction_iiiiiii21rocsparse_index_base_PKT0_PKiS7_S2_PS3_PiS9_S9_S8_.uses_vcc, 1
	.set _ZN9rocsparseL23csr2gebsr_65_inf_kernelILi32EdEEv20rocsparse_direction_iiiiiii21rocsparse_index_base_PKT0_PKiS7_S2_PS3_PiS9_S9_S8_.uses_flat_scratch, 0
	.set _ZN9rocsparseL23csr2gebsr_65_inf_kernelILi32EdEEv20rocsparse_direction_iiiiiii21rocsparse_index_base_PKT0_PKiS7_S2_PS3_PiS9_S9_S8_.has_dyn_sized_stack, 0
	.set _ZN9rocsparseL23csr2gebsr_65_inf_kernelILi32EdEEv20rocsparse_direction_iiiiiii21rocsparse_index_base_PKT0_PKiS7_S2_PS3_PiS9_S9_S8_.has_recursion, 0
	.set _ZN9rocsparseL23csr2gebsr_65_inf_kernelILi32EdEEv20rocsparse_direction_iiiiiii21rocsparse_index_base_PKT0_PKiS7_S2_PS3_PiS9_S9_S8_.has_indirect_call, 0
	.section	.AMDGPU.csdata,"",@progbits
; Kernel info:
; codeLenInByte = 2180
; TotalNumSgprs: 39
; NumVgprs: 39
; ScratchSize: 0
; MemoryBound: 0
; FloatMode: 240
; IeeeMode: 1
; LDSByteSize: 0 bytes/workgroup (compile time only)
; SGPRBlocks: 0
; VGPRBlocks: 2
; NumSGPRsForWavesPerEU: 39
; NumVGPRsForWavesPerEU: 39
; NamedBarCnt: 0
; Occupancy: 16
; WaveLimiterHint : 0
; COMPUTE_PGM_RSRC2:SCRATCH_EN: 0
; COMPUTE_PGM_RSRC2:USER_SGPR: 2
; COMPUTE_PGM_RSRC2:TRAP_HANDLER: 0
; COMPUTE_PGM_RSRC2:TGID_X_EN: 1
; COMPUTE_PGM_RSRC2:TGID_Y_EN: 0
; COMPUTE_PGM_RSRC2:TGID_Z_EN: 0
; COMPUTE_PGM_RSRC2:TIDIG_COMP_CNT: 0
	.section	.text._ZN9rocsparseL20csr2gebsr_kernel_bm1ILi256E21rocsparse_complex_numIfEEEviiii21rocsparse_index_base_PKT0_PKiS8_20rocsparse_direction_S3_PS4_S8_Piii,"axG",@progbits,_ZN9rocsparseL20csr2gebsr_kernel_bm1ILi256E21rocsparse_complex_numIfEEEviiii21rocsparse_index_base_PKT0_PKiS8_20rocsparse_direction_S3_PS4_S8_Piii,comdat
	.globl	_ZN9rocsparseL20csr2gebsr_kernel_bm1ILi256E21rocsparse_complex_numIfEEEviiii21rocsparse_index_base_PKT0_PKiS8_20rocsparse_direction_S3_PS4_S8_Piii ; -- Begin function _ZN9rocsparseL20csr2gebsr_kernel_bm1ILi256E21rocsparse_complex_numIfEEEviiii21rocsparse_index_base_PKT0_PKiS8_20rocsparse_direction_S3_PS4_S8_Piii
	.p2align	8
	.type	_ZN9rocsparseL20csr2gebsr_kernel_bm1ILi256E21rocsparse_complex_numIfEEEviiii21rocsparse_index_base_PKT0_PKiS8_20rocsparse_direction_S3_PS4_S8_Piii,@function
_ZN9rocsparseL20csr2gebsr_kernel_bm1ILi256E21rocsparse_complex_numIfEEEviiii21rocsparse_index_base_PKT0_PKiS8_20rocsparse_direction_S3_PS4_S8_Piii: ; @_ZN9rocsparseL20csr2gebsr_kernel_bm1ILi256E21rocsparse_complex_numIfEEEviiii21rocsparse_index_base_PKT0_PKiS8_20rocsparse_direction_S3_PS4_S8_Piii
; %bb.0:
	s_load_b32 s2, s[0:1], 0x0
	s_bfe_u32 s3, ttmp6, 0x4000c
	s_and_b32 s4, ttmp6, 15
	s_add_co_i32 s3, s3, 1
	s_getreg_b32 s5, hwreg(HW_REG_IB_STS2, 6, 4)
	s_mul_i32 s3, ttmp9, s3
	s_delay_alu instid0(SALU_CYCLE_1) | instskip(SKIP_2) | instid1(SALU_CYCLE_1)
	s_add_co_i32 s4, s4, s3
	s_cmp_eq_u32 s5, 0
	s_cselect_b32 s3, ttmp9, s4
	v_lshl_or_b32 v4, s3, 8, v0
	s_wait_kmcnt 0x0
	s_delay_alu instid0(VALU_DEP_1)
	v_cmp_gt_i32_e32 vcc_lo, s2, v4
	s_and_saveexec_b32 s2, vcc_lo
	s_cbranch_execz .LBB124_6
; %bb.1:
	s_load_b128 s[16:19], s[0:1], 0x18
	v_ashrrev_i32_e32 v5, 31, v4
	s_wait_kmcnt 0x0
	s_delay_alu instid0(VALU_DEP_1)
	v_lshl_add_u64 v[0:1], v[4:5], 2, s[18:19]
	global_load_b64 v[2:3], v[0:1], off
	s_wait_loadcnt 0x0
	v_cmp_lt_i32_e32 vcc_lo, v2, v3
	s_and_b32 exec_lo, exec_lo, vcc_lo
	s_cbranch_execz .LBB124_6
; %bb.2:
	s_clause 0x1
	s_load_b256 s[4:11], s[0:1], 0x28
	s_load_b128 s[12:15], s[0:1], 0x48
	s_wait_kmcnt 0x0
	v_lshl_add_u64 v[4:5], v[4:5], 2, s[10:11]
	s_ashr_i32 s19, s14, 31
	s_ashr_i32 s3, s15, 31
	s_cmp_eq_u32 s6, 0
	s_load_b32 s6, s[0:1], 0x10
	global_load_b32 v4, v[4:5], off
	s_cselect_b32 s10, s14, 1
	s_abs_i32 s11, s15
	s_mov_b32 s18, s14
	s_cvt_f32_u32 s0, s11
	s_sub_co_i32 s2, 0, s11
	s_mov_b32 s1, 0
	s_delay_alu instid0(SALU_CYCLE_1) | instskip(SKIP_1) | instid1(TRANS32_DEP_1)
	v_rcp_iflag_f32_e32 v3, s0
	v_nop
	v_readfirstlane_b32 s0, v3
	s_wait_kmcnt 0x0
	v_subrev_nc_u32_e32 v2, s6, v2
	s_mul_f32 s0, s0, 0x4f7ffffe
	s_delay_alu instid0(VALU_DEP_1) | instskip(NEXT) | instid1(SALU_CYCLE_2)
	v_dual_mov_b32 v12, -1 :: v_dual_ashrrev_i32 v3, 31, v2
	s_cvt_u32_f32 s0, s0
	s_delay_alu instid0(SALU_CYCLE_3) | instskip(NEXT) | instid1(VALU_DEP_1)
	s_mul_i32 s14, s2, s0
	v_lshl_add_u64 v[6:7], v[2:3], 3, s[16:17]
	s_mov_b32 s2, s15
	s_mul_hi_u32 s14, s0, s14
	s_delay_alu instid0(SALU_CYCLE_1)
	s_add_co_i32 s0, s0, s14
	s_wait_loadcnt 0x0
	v_xad_u32 v13, s7, -1, v4
	v_lshl_add_u64 v[4:5], v[2:3], 2, s[4:5]
	v_mov_b32_e32 v9, 0
	s_mul_u64 s[4:5], s[2:3], s[18:19]
	s_mov_b32 s2, s1
	v_mov_b32_e32 v10, v13
	s_branch .LBB124_4
.LBB124_3:                              ;   in Loop: Header=BB124_4 Depth=1
	s_or_b32 exec_lo, exec_lo, s14
	global_load_b64 v[14:15], v[6:7], off
	v_mul_lo_u32 v8, v8, s15
	v_ashrrev_i32_e32 v11, 31, v10
	v_add_nc_u32_e32 v2, 1, v2
	v_add_nc_u64_e32 v[4:5], 4, v[4:5]
	s_wait_xcnt 0x0
	v_add_nc_u64_e32 v[6:7], 8, v[6:7]
	v_sub_nc_u32_e32 v3, v3, v8
	v_mul_u64_e32 v[16:17], s[4:5], v[10:11]
	s_delay_alu instid0(VALU_DEP_2) | instskip(NEXT) | instid1(VALU_DEP_1)
	v_mul_lo_u32 v18, v3, s10
	v_ashrrev_i32_e32 v19, 31, v18
	s_delay_alu instid0(VALU_DEP_3) | instskip(NEXT) | instid1(VALU_DEP_1)
	v_lshl_add_u64 v[16:17], v[16:17], 3, s[8:9]
	v_lshl_add_u64 v[16:17], v[18:19], 3, v[16:17]
	s_wait_loadcnt 0x0
	global_store_b64 v[16:17], v[14:15], off
	global_load_b32 v3, v[0:1], off offset:4
	s_wait_loadcnt 0x0
	v_subrev_nc_u32_e32 v3, s6, v3
	s_delay_alu instid0(VALU_DEP_1)
	v_cmp_ge_i32_e32 vcc_lo, v2, v3
	s_or_b32 s2, vcc_lo, s2
	s_wait_xcnt 0x0
	s_and_not1_b32 exec_lo, exec_lo, s2
	s_cbranch_execz .LBB124_6
.LBB124_4:                              ; =>This Inner Loop Header: Depth=1
	global_load_b32 v3, v[4:5], off
	s_mov_b32 s14, exec_lo
	s_wait_loadcnt 0x0
	v_subrev_nc_u32_e32 v3, s6, v3
	s_delay_alu instid0(VALU_DEP_1) | instskip(NEXT) | instid1(VALU_DEP_1)
	v_sub_nc_u32_e32 v8, 0, v3
	v_max_i32_e32 v8, v3, v8
	s_delay_alu instid0(VALU_DEP_1) | instskip(NEXT) | instid1(VALU_DEP_1)
	v_mul_u64_e32 v[14:15], s[0:1], v[8:9]
	v_mul_lo_u32 v11, v15, s11
	s_delay_alu instid0(VALU_DEP_1) | instskip(SKIP_1) | instid1(VALU_DEP_2)
	v_sub_nc_u32_e32 v8, v8, v11
	v_add_nc_u32_e32 v11, 1, v15
	v_cmp_le_u32_e32 vcc_lo, s11, v8
	s_delay_alu instid0(VALU_DEP_2) | instskip(SKIP_1) | instid1(VALU_DEP_1)
	v_cndmask_b32_e32 v11, v15, v11, vcc_lo
	v_subrev_nc_u32_e32 v14, s11, v8
	v_dual_cndmask_b32 v8, v8, v14 :: v_dual_ashrrev_i32 v15, 31, v3
	s_delay_alu instid0(VALU_DEP_3) | instskip(NEXT) | instid1(VALU_DEP_2)
	v_add_nc_u32_e32 v14, 1, v11
	v_cmp_le_u32_e32 vcc_lo, s11, v8
	s_delay_alu instid0(VALU_DEP_2) | instskip(NEXT) | instid1(VALU_DEP_1)
	v_dual_cndmask_b32 v8, v11, v14, vcc_lo :: v_dual_bitop2_b32 v15, s3, v15 bitop3:0x14
	v_xor_b32_e32 v8, v8, v15
	s_delay_alu instid0(VALU_DEP_1) | instskip(SKIP_1) | instid1(VALU_DEP_1)
	v_sub_nc_u32_e32 v8, v8, v15
	s_wait_xcnt 0x0
	v_cmpx_ne_u32_e64 v8, v12
	s_cbranch_execz .LBB124_3
; %bb.5:                                ;   in Loop: Header=BB124_4 Depth=1
	v_dual_add_nc_u32 v11, s7, v8 :: v_dual_add_nc_u32 v12, 1, v13
	v_add_nc_u32_e32 v10, 1, v10
	global_store_b32 v13, v11, s[12:13] offset:4 scale_offset
	s_wait_xcnt 0x0
	v_dual_mov_b32 v13, v12 :: v_dual_mov_b32 v12, v8
	s_branch .LBB124_3
.LBB124_6:
	s_endpgm
	.section	.rodata,"a",@progbits
	.p2align	6, 0x0
	.amdhsa_kernel _ZN9rocsparseL20csr2gebsr_kernel_bm1ILi256E21rocsparse_complex_numIfEEEviiii21rocsparse_index_base_PKT0_PKiS8_20rocsparse_direction_S3_PS4_S8_Piii
		.amdhsa_group_segment_fixed_size 0
		.amdhsa_private_segment_fixed_size 0
		.amdhsa_kernarg_size 88
		.amdhsa_user_sgpr_count 2
		.amdhsa_user_sgpr_dispatch_ptr 0
		.amdhsa_user_sgpr_queue_ptr 0
		.amdhsa_user_sgpr_kernarg_segment_ptr 1
		.amdhsa_user_sgpr_dispatch_id 0
		.amdhsa_user_sgpr_kernarg_preload_length 0
		.amdhsa_user_sgpr_kernarg_preload_offset 0
		.amdhsa_user_sgpr_private_segment_size 0
		.amdhsa_wavefront_size32 1
		.amdhsa_uses_dynamic_stack 0
		.amdhsa_enable_private_segment 0
		.amdhsa_system_sgpr_workgroup_id_x 1
		.amdhsa_system_sgpr_workgroup_id_y 0
		.amdhsa_system_sgpr_workgroup_id_z 0
		.amdhsa_system_sgpr_workgroup_info 0
		.amdhsa_system_vgpr_workitem_id 0
		.amdhsa_next_free_vgpr 20
		.amdhsa_next_free_sgpr 20
		.amdhsa_named_barrier_count 0
		.amdhsa_reserve_vcc 1
		.amdhsa_float_round_mode_32 0
		.amdhsa_float_round_mode_16_64 0
		.amdhsa_float_denorm_mode_32 3
		.amdhsa_float_denorm_mode_16_64 3
		.amdhsa_fp16_overflow 0
		.amdhsa_memory_ordered 1
		.amdhsa_forward_progress 1
		.amdhsa_inst_pref_size 6
		.amdhsa_round_robin_scheduling 0
		.amdhsa_exception_fp_ieee_invalid_op 0
		.amdhsa_exception_fp_denorm_src 0
		.amdhsa_exception_fp_ieee_div_zero 0
		.amdhsa_exception_fp_ieee_overflow 0
		.amdhsa_exception_fp_ieee_underflow 0
		.amdhsa_exception_fp_ieee_inexact 0
		.amdhsa_exception_int_div_zero 0
	.end_amdhsa_kernel
	.section	.text._ZN9rocsparseL20csr2gebsr_kernel_bm1ILi256E21rocsparse_complex_numIfEEEviiii21rocsparse_index_base_PKT0_PKiS8_20rocsparse_direction_S3_PS4_S8_Piii,"axG",@progbits,_ZN9rocsparseL20csr2gebsr_kernel_bm1ILi256E21rocsparse_complex_numIfEEEviiii21rocsparse_index_base_PKT0_PKiS8_20rocsparse_direction_S3_PS4_S8_Piii,comdat
.Lfunc_end124:
	.size	_ZN9rocsparseL20csr2gebsr_kernel_bm1ILi256E21rocsparse_complex_numIfEEEviiii21rocsparse_index_base_PKT0_PKiS8_20rocsparse_direction_S3_PS4_S8_Piii, .Lfunc_end124-_ZN9rocsparseL20csr2gebsr_kernel_bm1ILi256E21rocsparse_complex_numIfEEEviiii21rocsparse_index_base_PKT0_PKiS8_20rocsparse_direction_S3_PS4_S8_Piii
                                        ; -- End function
	.set _ZN9rocsparseL20csr2gebsr_kernel_bm1ILi256E21rocsparse_complex_numIfEEEviiii21rocsparse_index_base_PKT0_PKiS8_20rocsparse_direction_S3_PS4_S8_Piii.num_vgpr, 20
	.set _ZN9rocsparseL20csr2gebsr_kernel_bm1ILi256E21rocsparse_complex_numIfEEEviiii21rocsparse_index_base_PKT0_PKiS8_20rocsparse_direction_S3_PS4_S8_Piii.num_agpr, 0
	.set _ZN9rocsparseL20csr2gebsr_kernel_bm1ILi256E21rocsparse_complex_numIfEEEviiii21rocsparse_index_base_PKT0_PKiS8_20rocsparse_direction_S3_PS4_S8_Piii.numbered_sgpr, 20
	.set _ZN9rocsparseL20csr2gebsr_kernel_bm1ILi256E21rocsparse_complex_numIfEEEviiii21rocsparse_index_base_PKT0_PKiS8_20rocsparse_direction_S3_PS4_S8_Piii.num_named_barrier, 0
	.set _ZN9rocsparseL20csr2gebsr_kernel_bm1ILi256E21rocsparse_complex_numIfEEEviiii21rocsparse_index_base_PKT0_PKiS8_20rocsparse_direction_S3_PS4_S8_Piii.private_seg_size, 0
	.set _ZN9rocsparseL20csr2gebsr_kernel_bm1ILi256E21rocsparse_complex_numIfEEEviiii21rocsparse_index_base_PKT0_PKiS8_20rocsparse_direction_S3_PS4_S8_Piii.uses_vcc, 1
	.set _ZN9rocsparseL20csr2gebsr_kernel_bm1ILi256E21rocsparse_complex_numIfEEEviiii21rocsparse_index_base_PKT0_PKiS8_20rocsparse_direction_S3_PS4_S8_Piii.uses_flat_scratch, 0
	.set _ZN9rocsparseL20csr2gebsr_kernel_bm1ILi256E21rocsparse_complex_numIfEEEviiii21rocsparse_index_base_PKT0_PKiS8_20rocsparse_direction_S3_PS4_S8_Piii.has_dyn_sized_stack, 0
	.set _ZN9rocsparseL20csr2gebsr_kernel_bm1ILi256E21rocsparse_complex_numIfEEEviiii21rocsparse_index_base_PKT0_PKiS8_20rocsparse_direction_S3_PS4_S8_Piii.has_recursion, 0
	.set _ZN9rocsparseL20csr2gebsr_kernel_bm1ILi256E21rocsparse_complex_numIfEEEviiii21rocsparse_index_base_PKT0_PKiS8_20rocsparse_direction_S3_PS4_S8_Piii.has_indirect_call, 0
	.section	.AMDGPU.csdata,"",@progbits
; Kernel info:
; codeLenInByte = 680
; TotalNumSgprs: 22
; NumVgprs: 20
; ScratchSize: 0
; MemoryBound: 0
; FloatMode: 240
; IeeeMode: 1
; LDSByteSize: 0 bytes/workgroup (compile time only)
; SGPRBlocks: 0
; VGPRBlocks: 1
; NumSGPRsForWavesPerEU: 22
; NumVGPRsForWavesPerEU: 20
; NamedBarCnt: 0
; Occupancy: 16
; WaveLimiterHint : 1
; COMPUTE_PGM_RSRC2:SCRATCH_EN: 0
; COMPUTE_PGM_RSRC2:USER_SGPR: 2
; COMPUTE_PGM_RSRC2:TRAP_HANDLER: 0
; COMPUTE_PGM_RSRC2:TGID_X_EN: 1
; COMPUTE_PGM_RSRC2:TGID_Y_EN: 0
; COMPUTE_PGM_RSRC2:TGID_Z_EN: 0
; COMPUTE_PGM_RSRC2:TIDIG_COMP_CNT: 0
	.section	.text._ZN9rocsparseL44csr2gebsr_wavefront_per_row_multipass_kernelILi256ELi2ELi2ELi4E21rocsparse_complex_numIfEEEv20rocsparse_direction_iiiiii21rocsparse_index_base_PKT3_PKiS9_S4_PS5_PiSB_,"axG",@progbits,_ZN9rocsparseL44csr2gebsr_wavefront_per_row_multipass_kernelILi256ELi2ELi2ELi4E21rocsparse_complex_numIfEEEv20rocsparse_direction_iiiiii21rocsparse_index_base_PKT3_PKiS9_S4_PS5_PiSB_,comdat
	.globl	_ZN9rocsparseL44csr2gebsr_wavefront_per_row_multipass_kernelILi256ELi2ELi2ELi4E21rocsparse_complex_numIfEEEv20rocsparse_direction_iiiiii21rocsparse_index_base_PKT3_PKiS9_S4_PS5_PiSB_ ; -- Begin function _ZN9rocsparseL44csr2gebsr_wavefront_per_row_multipass_kernelILi256ELi2ELi2ELi4E21rocsparse_complex_numIfEEEv20rocsparse_direction_iiiiii21rocsparse_index_base_PKT3_PKiS9_S4_PS5_PiSB_
	.p2align	8
	.type	_ZN9rocsparseL44csr2gebsr_wavefront_per_row_multipass_kernelILi256ELi2ELi2ELi4E21rocsparse_complex_numIfEEEv20rocsparse_direction_iiiiii21rocsparse_index_base_PKT3_PKiS9_S4_PS5_PiSB_,@function
_ZN9rocsparseL44csr2gebsr_wavefront_per_row_multipass_kernelILi256ELi2ELi2ELi4E21rocsparse_complex_numIfEEEv20rocsparse_direction_iiiiii21rocsparse_index_base_PKT3_PKiS9_S4_PS5_PiSB_: ; @_ZN9rocsparseL44csr2gebsr_wavefront_per_row_multipass_kernelILi256ELi2ELi2ELi4E21rocsparse_complex_numIfEEEv20rocsparse_direction_iiiiii21rocsparse_index_base_PKT3_PKiS9_S4_PS5_PiSB_
; %bb.0:
	s_clause 0x1
	s_load_b128 s[4:7], s[0:1], 0xc
	s_load_b64 s[12:13], s[0:1], 0x0
	s_bfe_u32 s2, ttmp6, 0x4000c
	s_and_b32 s3, ttmp6, 15
	s_add_co_i32 s2, s2, 1
	s_getreg_b32 s8, hwreg(HW_REG_IB_STS2, 6, 4)
	s_mul_i32 s2, ttmp9, s2
	v_dual_lshrrev_b32 v18, 2, v0 :: v_dual_mov_b32 v2, 0
	s_add_co_i32 s3, s3, s2
	s_cmp_eq_u32 s8, 0
	v_bfe_u32 v3, v0, 1, 1
	s_cselect_b32 s2, ttmp9, s3
	s_clause 0x1
	s_load_b32 s16, s[0:1], 0x1c
	s_load_b64 s[8:9], s[0:1], 0x28
	v_lshl_or_b32 v1, s2, 6, v18
	v_mov_b32_e32 v10, 0
	s_wait_kmcnt 0x0
	s_delay_alu instid0(VALU_DEP_2) | instskip(SKIP_1) | instid1(VALU_DEP_2)
	v_mad_u32 v4, v1, s6, v3
	v_cmp_gt_i32_e32 vcc_lo, s6, v3
	v_cmp_gt_i32_e64 s2, s13, v4
	s_and_b32 s2, vcc_lo, s2
	s_delay_alu instid0(SALU_CYCLE_1)
	s_and_saveexec_b32 s3, s2
	s_cbranch_execz .LBB125_2
; %bb.1:
	global_load_b32 v5, v4, s[8:9] scale_offset
	s_wait_loadcnt 0x0
	v_subrev_nc_u32_e32 v10, s16, v5
.LBB125_2:
	s_or_b32 exec_lo, exec_lo, s3
	v_mov_b32_e32 v19, 0
	s_and_saveexec_b32 s3, s2
	s_cbranch_execz .LBB125_4
; %bb.3:
	global_load_b32 v4, v4, s[8:9] offset:4 scale_offset
	s_wait_loadcnt 0x0
	v_subrev_nc_u32_e32 v19, s16, v4
.LBB125_4:
	s_or_b32 exec_lo, exec_lo, s3
	s_load_b32 s17, s[0:1], 0x38
	s_mov_b32 s3, exec_lo
	v_cmpx_gt_i32_e64 s4, v1
	s_cbranch_execz .LBB125_6
; %bb.5:
	s_load_b64 s[8:9], s[0:1], 0x48
	s_wait_kmcnt 0x0
	global_load_b32 v1, v1, s[8:9] scale_offset
	s_wait_loadcnt 0x0
	v_subrev_nc_u32_e32 v2, s17, v1
.LBB125_6:
	s_or_b32 exec_lo, exec_lo, s3
	s_cmp_lt_i32 s5, 1
	s_cbranch_scc1 .LBB125_24
; %bb.7:
	v_mbcnt_lo_u32_b32 v5, -1, 0
	v_dual_lshlrev_b32 v1, 4, v3 :: v_dual_bitop2_b32 v4, 1, v0 bitop3:0x40
	s_clause 0x3
	s_load_b64 s[2:3], s[0:1], 0x50
	s_load_b64 s[14:15], s[0:1], 0x40
	;; [unrolled: 1-line block ×4, first 2 shown]
	v_and_b32_e32 v0, 0xfc, v0
	v_dual_lshlrev_b32 v11, 2, v5 :: v_dual_bitop2_b32 v6, 1, v5 bitop3:0x14
	s_wait_xcnt 0x0
	v_cmp_gt_u32_e64 s0, s7, v4
	v_mul_lo_u32 v12, s7, v3
	v_lshl_or_b32 v20, v0, 3, v1
	v_cmp_gt_i32_e64 s1, 32, v6
	v_mul_lo_u32 v0, s6, v4
	s_and_b32 s4, vcc_lo, s0
	s_cmp_lg_u32 s12, 0
	s_mov_b32 s12, s6
	s_cselect_b32 s18, -1, 0
	s_abs_i32 s19, s7
	v_dual_cndmask_b32 v1, v5, v6, s1 :: v_dual_lshlrev_b32 v8, 3, v4
	s_cvt_f32_u32 s0, s19
	v_or_b32_e32 v22, 4, v11
	s_delay_alu instid0(VALU_DEP_2) | instskip(NEXT) | instid1(SALU_CYCLE_1)
	v_dual_lshlrev_b32 v21, 2, v1 :: v_dual_bitop2_b32 v25, 12, v11 bitop3:0x54
	v_rcp_iflag_f32_e32 v9, s0
	v_dual_mov_b32 v1, 0 :: v_dual_bitop2_b32 v23, v20, v8 bitop3:0x54
	v_ashrrev_i32_e32 v13, 31, v12
	s_mov_b32 s13, 0
	s_ashr_i32 s1, s7, 31
	s_wait_kmcnt 0x0
	v_lshl_add_u64 v[6:7], v[0:1], 3, s[14:15]
	v_dual_lshlrev_b32 v0, 3, v3 :: v_dual_bitop2_b32 v3, 2, v5 bitop3:0x14
	v_readfirstlane_b32 s6, v9
	v_mov_b32_e32 v9, v1
	v_lshl_add_u64 v[12:13], v[12:13], 3, s[14:15]
	s_delay_alu instid0(VALU_DEP_4)
	v_add_nc_u64_e32 v[6:7], v[6:7], v[0:1]
	v_cmp_gt_i32_e32 vcc_lo, 32, v3
	s_mul_f32 s6, s6, 0x4f7ffffe
	s_sub_co_i32 s14, 0, s19
	v_add_nc_u64_e32 v[8:9], v[12:13], v[8:9]
	v_mov_b64_e32 v[12:13], 0
	v_dual_cndmask_b32 v0, v5, v3, vcc_lo :: v_dual_mov_b32 v26, 1
	s_cvt_u32_f32 s6, s6
	v_dual_mov_b32 v5, v1 :: v_dual_mov_b32 v3, 0
	s_delay_alu instid0(VALU_DEP_2) | instskip(NEXT) | instid1(SALU_CYCLE_1)
	v_lshlrev_b32_e32 v24, 2, v0
	s_mul_i32 s14, s14, s6
	s_mov_b32 s0, s7
	s_mul_hi_u32 s20, s6, s14
	s_mul_u64 s[14:15], s[0:1], s[12:13]
	s_add_co_i32 s12, s6, s20
	s_mov_b32 s6, s13
	s_branch .LBB125_10
.LBB125_8:                              ;   in Loop: Header=BB125_10 Depth=1
	s_wait_xcnt 0x0
	s_or_b32 exec_lo, exec_lo, s20
	v_mov_b32_e32 v0, 1
.LBB125_9:                              ;   in Loop: Header=BB125_10 Depth=1
	s_or_b32 exec_lo, exec_lo, s0
	ds_bpermute_b32 v3, v24, v27
	s_wait_storecnt_dscnt 0x0
	v_dual_add_nc_u32 v2, v0, v2 :: v_dual_min_i32 v3, v3, v27
	ds_bpermute_b32 v11, v21, v3
	s_wait_dscnt 0x0
	v_min_i32_e32 v3, v11, v3
	ds_bpermute_b32 v3, v25, v3
	s_wait_dscnt 0x0
	v_cmp_le_i32_e32 vcc_lo, s5, v3
	s_or_b32 s6, vcc_lo, s6
	s_delay_alu instid0(SALU_CYCLE_1)
	s_and_not1_b32 exec_lo, exec_lo, s6
	s_cbranch_execz .LBB125_24
.LBB125_10:                             ; =>This Loop Header: Depth=1
                                        ;     Child Loop BB125_13 Depth 2
	v_dual_mov_b32 v27, s5 :: v_dual_add_nc_u32 v16, v10, v4
	v_mov_b32_e32 v28, v19
	s_mov_b32 s20, exec_lo
	ds_store_b8 v18, v1 offset:2048
	ds_store_b64 v23, v[12:13]
	s_wait_dscnt 0x0
	v_cmpx_lt_i32_e64 v16, v19
	s_cbranch_execz .LBB125_18
; %bb.11:                               ;   in Loop: Header=BB125_10 Depth=1
	v_dual_ashrrev_i32 v11, 31, v10 :: v_dual_mov_b32 v27, s5
	v_mul_lo_u32 v17, v3, s7
	v_mov_b32_e32 v28, v19
	s_mov_b32 s21, 0
	s_delay_alu instid0(VALU_DEP_3) | instskip(NEXT) | instid1(VALU_DEP_1)
	v_add_nc_u64_e32 v[14:15], v[4:5], v[10:11]
	v_lshl_add_u64 v[10:11], v[14:15], 2, s[10:11]
	v_lshl_add_u64 v[14:15], v[14:15], 3, s[8:9]
	s_branch .LBB125_13
.LBB125_12:                             ;   in Loop: Header=BB125_13 Depth=2
	s_wait_xcnt 0x0
	s_or_b32 exec_lo, exec_lo, s0
	v_add_nc_u32_e32 v16, 2, v16
	s_xor_b32 s22, vcc_lo, -1
	v_add_nc_u64_e32 v[10:11], 8, v[10:11]
	v_add_nc_u64_e32 v[14:15], 16, v[14:15]
	s_delay_alu instid0(VALU_DEP_3) | instskip(SKIP_1) | instid1(SALU_CYCLE_1)
	v_cmp_ge_i32_e64 s0, v16, v19
	s_or_b32 s0, s22, s0
	s_and_b32 s0, exec_lo, s0
	s_delay_alu instid0(SALU_CYCLE_1) | instskip(NEXT) | instid1(SALU_CYCLE_1)
	s_or_b32 s21, s0, s21
	s_and_not1_b32 exec_lo, exec_lo, s21
	s_cbranch_execz .LBB125_17
.LBB125_13:                             ;   Parent Loop BB125_10 Depth=1
                                        ; =>  This Inner Loop Header: Depth=2
	global_load_b32 v0, v[10:11], off
	s_wait_loadcnt 0x0
	v_subrev_nc_u32_e32 v29, s16, v0
	s_delay_alu instid0(VALU_DEP_1) | instskip(NEXT) | instid1(VALU_DEP_1)
	v_sub_nc_u32_e32 v0, 0, v29
	v_max_i32_e32 v0, v29, v0
	s_delay_alu instid0(VALU_DEP_1) | instskip(NEXT) | instid1(VALU_DEP_1)
	v_mul_u64_e32 v[30:31], s[12:13], v[0:1]
	v_mul_lo_u32 v30, v31, s19
	s_delay_alu instid0(VALU_DEP_1) | instskip(NEXT) | instid1(VALU_DEP_1)
	v_dual_sub_nc_u32 v0, v0, v30 :: v_dual_add_nc_u32 v30, 1, v31
	v_cmp_le_u32_e32 vcc_lo, s19, v0
	s_delay_alu instid0(VALU_DEP_2) | instskip(SKIP_1) | instid1(VALU_DEP_1)
	v_dual_cndmask_b32 v30, v31, v30 :: v_dual_ashrrev_i32 v31, 31, v29
	v_subrev_nc_u32_e32 v32, s19, v0
	v_dual_cndmask_b32 v0, v0, v32, vcc_lo :: v_dual_add_nc_u32 v32, 1, v30
	s_delay_alu instid0(VALU_DEP_1) | instskip(NEXT) | instid1(VALU_DEP_2)
	v_cmp_le_u32_e32 vcc_lo, s19, v0
	v_dual_cndmask_b32 v0, v30, v32, vcc_lo :: v_dual_bitop2_b32 v31, s1, v31 bitop3:0x14
	s_delay_alu instid0(VALU_DEP_1) | instskip(NEXT) | instid1(VALU_DEP_1)
	v_xor_b32_e32 v0, v0, v31
	v_sub_nc_u32_e32 v30, v0, v31
	v_mov_b32_e32 v0, v28
	s_delay_alu instid0(VALU_DEP_2) | instskip(SKIP_3) | instid1(SALU_CYCLE_1)
	v_cmp_ne_u32_e64 s0, v30, v3
	v_cmp_eq_u32_e32 vcc_lo, v30, v3
	s_wait_xcnt 0x0
	s_and_saveexec_b32 s22, s0
	s_xor_b32 s0, exec_lo, s22
; %bb.14:                               ;   in Loop: Header=BB125_13 Depth=2
	v_min_i32_e32 v27, v30, v27
                                        ; implicit-def: $vgpr29
                                        ; implicit-def: $vgpr0
; %bb.15:                               ;   in Loop: Header=BB125_13 Depth=2
	s_or_saveexec_b32 s0, s0
	v_mov_b32_e32 v28, v16
	s_xor_b32 exec_lo, exec_lo, s0
	s_cbranch_execz .LBB125_12
; %bb.16:                               ;   in Loop: Header=BB125_13 Depth=2
	global_load_b64 v[30:31], v[14:15], off
	v_sub_nc_u32_e32 v28, v29, v17
	s_delay_alu instid0(VALU_DEP_1)
	v_lshl_add_u32 v29, v28, 3, v20
	v_mov_b32_e32 v28, v0
	ds_store_b8 v18, v26 offset:2048
	s_wait_loadcnt 0x0
	ds_store_b64 v29, v[30:31]
	s_branch .LBB125_12
.LBB125_17:                             ;   in Loop: Header=BB125_10 Depth=1
	s_or_b32 exec_lo, exec_lo, s21
.LBB125_18:                             ;   in Loop: Header=BB125_10 Depth=1
	s_delay_alu instid0(SALU_CYCLE_1)
	s_or_b32 exec_lo, exec_lo, s20
	ds_bpermute_b32 v0, v21, v28
	s_wait_dscnt 0x0
	ds_load_u8 v11, v18 offset:2048
	v_min_i32_e32 v0, v0, v28
	ds_bpermute_b32 v10, v22, v0
	s_wait_dscnt 0x1
	v_and_b32_e32 v0, 1, v11
	s_delay_alu instid0(VALU_DEP_1)
	v_cmp_eq_u32_e32 vcc_lo, 1, v0
	v_mov_b32_e32 v0, 0
	s_and_saveexec_b32 s0, vcc_lo
	s_cbranch_execz .LBB125_9
; %bb.19:                               ;   in Loop: Header=BB125_10 Depth=1
	v_add_nc_u32_e32 v0, s17, v3
	global_store_b32 v2, v0, s[2:3] scale_offset
	s_wait_xcnt 0x0
	s_and_saveexec_b32 s20, s4
	s_cbranch_execz .LBB125_8
; %bb.20:                               ;   in Loop: Header=BB125_10 Depth=1
	v_ashrrev_i32_e32 v3, 31, v2
	ds_load_b64 v[16:17], v23
	s_and_b32 vcc_lo, exec_lo, s18
	v_mul_u64_e32 v[14:15], s[14:15], v[2:3]
	s_cbranch_vccz .LBB125_22
; %bb.21:                               ;   in Loop: Header=BB125_10 Depth=1
	s_delay_alu instid0(VALU_DEP_1)
	v_lshl_add_u64 v[28:29], v[14:15], 3, v[6:7]
	s_wait_dscnt 0x0
	global_store_b64 v[28:29], v[16:17], off
	s_cbranch_execnz .LBB125_8
	s_branch .LBB125_23
.LBB125_22:                             ;   in Loop: Header=BB125_10 Depth=1
.LBB125_23:                             ;   in Loop: Header=BB125_10 Depth=1
	s_delay_alu instid0(VALU_DEP_1)
	v_lshl_add_u64 v[14:15], v[14:15], 3, v[8:9]
	s_wait_dscnt 0x0
	global_store_b64 v[14:15], v[16:17], off
	s_branch .LBB125_8
.LBB125_24:
	s_endpgm
	.section	.rodata,"a",@progbits
	.p2align	6, 0x0
	.amdhsa_kernel _ZN9rocsparseL44csr2gebsr_wavefront_per_row_multipass_kernelILi256ELi2ELi2ELi4E21rocsparse_complex_numIfEEEv20rocsparse_direction_iiiiii21rocsparse_index_base_PKT3_PKiS9_S4_PS5_PiSB_
		.amdhsa_group_segment_fixed_size 2112
		.amdhsa_private_segment_fixed_size 0
		.amdhsa_kernarg_size 88
		.amdhsa_user_sgpr_count 2
		.amdhsa_user_sgpr_dispatch_ptr 0
		.amdhsa_user_sgpr_queue_ptr 0
		.amdhsa_user_sgpr_kernarg_segment_ptr 1
		.amdhsa_user_sgpr_dispatch_id 0
		.amdhsa_user_sgpr_kernarg_preload_length 0
		.amdhsa_user_sgpr_kernarg_preload_offset 0
		.amdhsa_user_sgpr_private_segment_size 0
		.amdhsa_wavefront_size32 1
		.amdhsa_uses_dynamic_stack 0
		.amdhsa_enable_private_segment 0
		.amdhsa_system_sgpr_workgroup_id_x 1
		.amdhsa_system_sgpr_workgroup_id_y 0
		.amdhsa_system_sgpr_workgroup_id_z 0
		.amdhsa_system_sgpr_workgroup_info 0
		.amdhsa_system_vgpr_workitem_id 0
		.amdhsa_next_free_vgpr 33
		.amdhsa_next_free_sgpr 23
		.amdhsa_named_barrier_count 0
		.amdhsa_reserve_vcc 1
		.amdhsa_float_round_mode_32 0
		.amdhsa_float_round_mode_16_64 0
		.amdhsa_float_denorm_mode_32 3
		.amdhsa_float_denorm_mode_16_64 3
		.amdhsa_fp16_overflow 0
		.amdhsa_memory_ordered 1
		.amdhsa_forward_progress 1
		.amdhsa_inst_pref_size 11
		.amdhsa_round_robin_scheduling 0
		.amdhsa_exception_fp_ieee_invalid_op 0
		.amdhsa_exception_fp_denorm_src 0
		.amdhsa_exception_fp_ieee_div_zero 0
		.amdhsa_exception_fp_ieee_overflow 0
		.amdhsa_exception_fp_ieee_underflow 0
		.amdhsa_exception_fp_ieee_inexact 0
		.amdhsa_exception_int_div_zero 0
	.end_amdhsa_kernel
	.section	.text._ZN9rocsparseL44csr2gebsr_wavefront_per_row_multipass_kernelILi256ELi2ELi2ELi4E21rocsparse_complex_numIfEEEv20rocsparse_direction_iiiiii21rocsparse_index_base_PKT3_PKiS9_S4_PS5_PiSB_,"axG",@progbits,_ZN9rocsparseL44csr2gebsr_wavefront_per_row_multipass_kernelILi256ELi2ELi2ELi4E21rocsparse_complex_numIfEEEv20rocsparse_direction_iiiiii21rocsparse_index_base_PKT3_PKiS9_S4_PS5_PiSB_,comdat
.Lfunc_end125:
	.size	_ZN9rocsparseL44csr2gebsr_wavefront_per_row_multipass_kernelILi256ELi2ELi2ELi4E21rocsparse_complex_numIfEEEv20rocsparse_direction_iiiiii21rocsparse_index_base_PKT3_PKiS9_S4_PS5_PiSB_, .Lfunc_end125-_ZN9rocsparseL44csr2gebsr_wavefront_per_row_multipass_kernelILi256ELi2ELi2ELi4E21rocsparse_complex_numIfEEEv20rocsparse_direction_iiiiii21rocsparse_index_base_PKT3_PKiS9_S4_PS5_PiSB_
                                        ; -- End function
	.set _ZN9rocsparseL44csr2gebsr_wavefront_per_row_multipass_kernelILi256ELi2ELi2ELi4E21rocsparse_complex_numIfEEEv20rocsparse_direction_iiiiii21rocsparse_index_base_PKT3_PKiS9_S4_PS5_PiSB_.num_vgpr, 33
	.set _ZN9rocsparseL44csr2gebsr_wavefront_per_row_multipass_kernelILi256ELi2ELi2ELi4E21rocsparse_complex_numIfEEEv20rocsparse_direction_iiiiii21rocsparse_index_base_PKT3_PKiS9_S4_PS5_PiSB_.num_agpr, 0
	.set _ZN9rocsparseL44csr2gebsr_wavefront_per_row_multipass_kernelILi256ELi2ELi2ELi4E21rocsparse_complex_numIfEEEv20rocsparse_direction_iiiiii21rocsparse_index_base_PKT3_PKiS9_S4_PS5_PiSB_.numbered_sgpr, 23
	.set _ZN9rocsparseL44csr2gebsr_wavefront_per_row_multipass_kernelILi256ELi2ELi2ELi4E21rocsparse_complex_numIfEEEv20rocsparse_direction_iiiiii21rocsparse_index_base_PKT3_PKiS9_S4_PS5_PiSB_.num_named_barrier, 0
	.set _ZN9rocsparseL44csr2gebsr_wavefront_per_row_multipass_kernelILi256ELi2ELi2ELi4E21rocsparse_complex_numIfEEEv20rocsparse_direction_iiiiii21rocsparse_index_base_PKT3_PKiS9_S4_PS5_PiSB_.private_seg_size, 0
	.set _ZN9rocsparseL44csr2gebsr_wavefront_per_row_multipass_kernelILi256ELi2ELi2ELi4E21rocsparse_complex_numIfEEEv20rocsparse_direction_iiiiii21rocsparse_index_base_PKT3_PKiS9_S4_PS5_PiSB_.uses_vcc, 1
	.set _ZN9rocsparseL44csr2gebsr_wavefront_per_row_multipass_kernelILi256ELi2ELi2ELi4E21rocsparse_complex_numIfEEEv20rocsparse_direction_iiiiii21rocsparse_index_base_PKT3_PKiS9_S4_PS5_PiSB_.uses_flat_scratch, 0
	.set _ZN9rocsparseL44csr2gebsr_wavefront_per_row_multipass_kernelILi256ELi2ELi2ELi4E21rocsparse_complex_numIfEEEv20rocsparse_direction_iiiiii21rocsparse_index_base_PKT3_PKiS9_S4_PS5_PiSB_.has_dyn_sized_stack, 0
	.set _ZN9rocsparseL44csr2gebsr_wavefront_per_row_multipass_kernelILi256ELi2ELi2ELi4E21rocsparse_complex_numIfEEEv20rocsparse_direction_iiiiii21rocsparse_index_base_PKT3_PKiS9_S4_PS5_PiSB_.has_recursion, 0
	.set _ZN9rocsparseL44csr2gebsr_wavefront_per_row_multipass_kernelILi256ELi2ELi2ELi4E21rocsparse_complex_numIfEEEv20rocsparse_direction_iiiiii21rocsparse_index_base_PKT3_PKiS9_S4_PS5_PiSB_.has_indirect_call, 0
	.section	.AMDGPU.csdata,"",@progbits
; Kernel info:
; codeLenInByte = 1304
; TotalNumSgprs: 25
; NumVgprs: 33
; ScratchSize: 0
; MemoryBound: 0
; FloatMode: 240
; IeeeMode: 1
; LDSByteSize: 2112 bytes/workgroup (compile time only)
; SGPRBlocks: 0
; VGPRBlocks: 2
; NumSGPRsForWavesPerEU: 25
; NumVGPRsForWavesPerEU: 33
; NamedBarCnt: 0
; Occupancy: 16
; WaveLimiterHint : 0
; COMPUTE_PGM_RSRC2:SCRATCH_EN: 0
; COMPUTE_PGM_RSRC2:USER_SGPR: 2
; COMPUTE_PGM_RSRC2:TRAP_HANDLER: 0
; COMPUTE_PGM_RSRC2:TGID_X_EN: 1
; COMPUTE_PGM_RSRC2:TGID_Y_EN: 0
; COMPUTE_PGM_RSRC2:TGID_Z_EN: 0
; COMPUTE_PGM_RSRC2:TIDIG_COMP_CNT: 0
	.section	.text._ZN9rocsparseL44csr2gebsr_wavefront_per_row_multipass_kernelILi256ELi2ELi4ELi8E21rocsparse_complex_numIfEEEv20rocsparse_direction_iiiiii21rocsparse_index_base_PKT3_PKiS9_S4_PS5_PiSB_,"axG",@progbits,_ZN9rocsparseL44csr2gebsr_wavefront_per_row_multipass_kernelILi256ELi2ELi4ELi8E21rocsparse_complex_numIfEEEv20rocsparse_direction_iiiiii21rocsparse_index_base_PKT3_PKiS9_S4_PS5_PiSB_,comdat
	.globl	_ZN9rocsparseL44csr2gebsr_wavefront_per_row_multipass_kernelILi256ELi2ELi4ELi8E21rocsparse_complex_numIfEEEv20rocsparse_direction_iiiiii21rocsparse_index_base_PKT3_PKiS9_S4_PS5_PiSB_ ; -- Begin function _ZN9rocsparseL44csr2gebsr_wavefront_per_row_multipass_kernelILi256ELi2ELi4ELi8E21rocsparse_complex_numIfEEEv20rocsparse_direction_iiiiii21rocsparse_index_base_PKT3_PKiS9_S4_PS5_PiSB_
	.p2align	8
	.type	_ZN9rocsparseL44csr2gebsr_wavefront_per_row_multipass_kernelILi256ELi2ELi4ELi8E21rocsparse_complex_numIfEEEv20rocsparse_direction_iiiiii21rocsparse_index_base_PKT3_PKiS9_S4_PS5_PiSB_,@function
_ZN9rocsparseL44csr2gebsr_wavefront_per_row_multipass_kernelILi256ELi2ELi4ELi8E21rocsparse_complex_numIfEEEv20rocsparse_direction_iiiiii21rocsparse_index_base_PKT3_PKiS9_S4_PS5_PiSB_: ; @_ZN9rocsparseL44csr2gebsr_wavefront_per_row_multipass_kernelILi256ELi2ELi4ELi8E21rocsparse_complex_numIfEEEv20rocsparse_direction_iiiiii21rocsparse_index_base_PKT3_PKiS9_S4_PS5_PiSB_
; %bb.0:
	s_clause 0x1
	s_load_b128 s[4:7], s[0:1], 0xc
	s_load_b64 s[12:13], s[0:1], 0x0
	s_bfe_u32 s2, ttmp6, 0x4000c
	s_and_b32 s3, ttmp6, 15
	s_add_co_i32 s2, s2, 1
	s_getreg_b32 s8, hwreg(HW_REG_IB_STS2, 6, 4)
	s_mul_i32 s2, ttmp9, s2
	v_dual_lshrrev_b32 v18, 3, v0 :: v_dual_mov_b32 v2, 0
	s_add_co_i32 s3, s3, s2
	s_cmp_eq_u32 s8, 0
	v_bfe_u32 v3, v0, 2, 1
	s_cselect_b32 s2, ttmp9, s3
	s_clause 0x1
	s_load_b32 s16, s[0:1], 0x1c
	s_load_b64 s[8:9], s[0:1], 0x28
	v_lshl_or_b32 v1, s2, 5, v18
	v_mov_b32_e32 v8, 0
	s_wait_kmcnt 0x0
	s_delay_alu instid0(VALU_DEP_2) | instskip(SKIP_1) | instid1(VALU_DEP_2)
	v_mad_u32 v4, v1, s6, v3
	v_cmp_gt_i32_e32 vcc_lo, s6, v3
	v_cmp_gt_i32_e64 s2, s13, v4
	s_and_b32 s2, vcc_lo, s2
	s_delay_alu instid0(SALU_CYCLE_1)
	s_and_saveexec_b32 s3, s2
	s_cbranch_execz .LBB126_2
; %bb.1:
	global_load_b32 v5, v4, s[8:9] scale_offset
	s_wait_loadcnt 0x0
	v_subrev_nc_u32_e32 v8, s16, v5
.LBB126_2:
	s_or_b32 exec_lo, exec_lo, s3
	v_mov_b32_e32 v19, 0
	s_and_saveexec_b32 s3, s2
	s_cbranch_execz .LBB126_4
; %bb.3:
	global_load_b32 v4, v4, s[8:9] offset:4 scale_offset
	s_wait_loadcnt 0x0
	v_subrev_nc_u32_e32 v19, s16, v4
.LBB126_4:
	s_or_b32 exec_lo, exec_lo, s3
	s_load_b32 s17, s[0:1], 0x38
	s_mov_b32 s3, exec_lo
	v_cmpx_gt_i32_e64 s4, v1
	s_cbranch_execz .LBB126_6
; %bb.5:
	s_load_b64 s[8:9], s[0:1], 0x48
	s_wait_kmcnt 0x0
	global_load_b32 v1, v1, s[8:9] scale_offset
	s_wait_loadcnt 0x0
	v_subrev_nc_u32_e32 v2, s17, v1
.LBB126_6:
	s_or_b32 exec_lo, exec_lo, s3
	s_cmp_lt_i32 s5, 1
	s_cbranch_scc1 .LBB126_24
; %bb.7:
	v_mbcnt_lo_u32_b32 v5, -1, 0
	s_clause 0x3
	s_load_b64 s[2:3], s[0:1], 0x50
	s_load_b64 s[14:15], s[0:1], 0x40
	;; [unrolled: 1-line block ×4, first 2 shown]
	v_mul_lo_u32 v12, s7, v3
	s_mov_b32 s13, 0
	v_dual_lshlrev_b32 v6, 5, v3 :: v_dual_bitop2_b32 v1, 2, v5 bitop3:0x14
	v_dual_lshlrev_b32 v9, 2, v5 :: v_dual_bitop2_b32 v7, 1, v5 bitop3:0x14
	v_mov_b32_e32 v27, 1
	s_wait_xcnt 0x0
	s_delay_alu instid0(VALU_DEP_3)
	v_cmp_gt_i32_e64 s0, 32, v1
	v_and_b32_e32 v4, 3, v0
	v_and_b32_e32 v0, 0xf8, v0
	v_cmp_gt_i32_e64 s1, 32, v7
	v_or_b32_e32 v23, 12, v9
	v_cndmask_b32_e64 v1, v5, v1, s0
	v_cmp_gt_u32_e64 s0, s7, v4
	v_lshl_or_b32 v20, v0, 3, v6
	v_mul_lo_u32 v0, s6, v4
	s_delay_alu instid0(VALU_DEP_4)
	v_dual_ashrrev_i32 v13, 31, v12 :: v_dual_lshlrev_b32 v21, 2, v1
	v_cndmask_b32_e64 v1, v5, v7, s1
	s_and_b32 s4, vcc_lo, s0
	s_cmp_lg_u32 s12, 0
	v_lshlrev_b32_e32 v10, 3, v4
	s_cselect_b32 s18, -1, 0
	s_abs_i32 s19, s7
	v_lshlrev_b32_e32 v22, 2, v1
	s_cvt_f32_u32 s0, s19
	v_dual_mov_b32 v1, 0 :: v_dual_bitop2_b32 v24, v20, v10 bitop3:0x54
	s_mov_b32 s12, s6
	s_delay_alu instid0(SALU_CYCLE_1)
	v_rcp_iflag_f32_e32 v11, s0
	v_or_b32_e32 v26, 28, v9
	s_wait_kmcnt 0x0
	v_lshl_add_u64 v[6:7], v[0:1], 3, s[14:15]
	v_dual_lshlrev_b32 v0, 3, v3 :: v_dual_bitop2_b32 v3, 4, v5 bitop3:0x14
	v_lshl_add_u64 v[12:13], v[12:13], 3, s[14:15]
	s_sub_co_i32 s14, 0, s19
	v_readfirstlane_b32 s6, v11
	v_mov_b32_e32 v11, v1
	v_cmp_gt_i32_e32 vcc_lo, 32, v3
	v_add_nc_u64_e32 v[6:7], v[6:7], v[0:1]
	s_ashr_i32 s1, s7, 31
	s_mul_f32 s6, s6, 0x4f7ffffe
	s_mov_b32 s0, s7
	v_cndmask_b32_e32 v0, v5, v3, vcc_lo
	v_mov_b32_e32 v5, v1
	s_cvt_u32_f32 s6, s6
	v_add_nc_u64_e32 v[10:11], v[12:13], v[10:11]
	v_mov_b64_e32 v[12:13], 0
	v_lshlrev_b32_e32 v25, 2, v0
	s_mul_i32 s14, s14, s6
	v_mov_b32_e32 v3, 0
	s_mul_hi_u32 s20, s6, s14
	s_mul_u64 s[14:15], s[0:1], s[12:13]
	s_add_co_i32 s12, s6, s20
	s_mov_b32 s6, s13
	s_branch .LBB126_10
.LBB126_8:                              ;   in Loop: Header=BB126_10 Depth=1
	s_wait_xcnt 0x0
	s_or_b32 exec_lo, exec_lo, s20
	v_mov_b32_e32 v0, 1
.LBB126_9:                              ;   in Loop: Header=BB126_10 Depth=1
	s_or_b32 exec_lo, exec_lo, s0
	ds_bpermute_b32 v3, v25, v28
	s_wait_storecnt_dscnt 0x0
	v_dual_add_nc_u32 v2, v0, v2 :: v_dual_min_i32 v3, v3, v28
	ds_bpermute_b32 v9, v21, v3
	s_wait_dscnt 0x0
	v_min_i32_e32 v3, v9, v3
	ds_bpermute_b32 v9, v22, v3
	s_wait_dscnt 0x0
	v_min_i32_e32 v3, v9, v3
	ds_bpermute_b32 v3, v26, v3
	s_wait_dscnt 0x0
	v_cmp_le_i32_e32 vcc_lo, s5, v3
	s_or_b32 s6, vcc_lo, s6
	s_delay_alu instid0(SALU_CYCLE_1)
	s_and_not1_b32 exec_lo, exec_lo, s6
	s_cbranch_execz .LBB126_24
.LBB126_10:                             ; =>This Loop Header: Depth=1
                                        ;     Child Loop BB126_13 Depth 2
	v_dual_add_nc_u32 v16, v8, v4 :: v_dual_mov_b32 v28, s5
	v_mov_b32_e32 v29, v19
	s_mov_b32 s20, exec_lo
	ds_store_b8 v18, v1 offset:2048
	ds_store_b64 v24, v[12:13]
	s_wait_dscnt 0x0
	v_cmpx_lt_i32_e64 v16, v19
	s_cbranch_execz .LBB126_18
; %bb.11:                               ;   in Loop: Header=BB126_10 Depth=1
	v_dual_mov_b32 v28, s5 :: v_dual_ashrrev_i32 v9, 31, v8
	v_mul_lo_u32 v17, v3, s7
	v_mov_b32_e32 v29, v19
	s_mov_b32 s21, 0
	s_delay_alu instid0(VALU_DEP_3) | instskip(NEXT) | instid1(VALU_DEP_1)
	v_add_nc_u64_e32 v[14:15], v[4:5], v[8:9]
	v_lshl_add_u64 v[8:9], v[14:15], 2, s[10:11]
	v_lshl_add_u64 v[14:15], v[14:15], 3, s[8:9]
	s_branch .LBB126_13
.LBB126_12:                             ;   in Loop: Header=BB126_13 Depth=2
	s_wait_xcnt 0x0
	s_or_b32 exec_lo, exec_lo, s0
	v_add_nc_u32_e32 v16, 4, v16
	s_xor_b32 s22, vcc_lo, -1
	v_add_nc_u64_e32 v[8:9], 16, v[8:9]
	v_add_nc_u64_e32 v[14:15], 32, v[14:15]
	s_delay_alu instid0(VALU_DEP_3) | instskip(SKIP_1) | instid1(SALU_CYCLE_1)
	v_cmp_ge_i32_e64 s0, v16, v19
	s_or_b32 s0, s22, s0
	s_and_b32 s0, exec_lo, s0
	s_delay_alu instid0(SALU_CYCLE_1) | instskip(NEXT) | instid1(SALU_CYCLE_1)
	s_or_b32 s21, s0, s21
	s_and_not1_b32 exec_lo, exec_lo, s21
	s_cbranch_execz .LBB126_17
.LBB126_13:                             ;   Parent Loop BB126_10 Depth=1
                                        ; =>  This Inner Loop Header: Depth=2
	global_load_b32 v0, v[8:9], off
	s_wait_loadcnt 0x0
	v_subrev_nc_u32_e32 v30, s16, v0
	s_delay_alu instid0(VALU_DEP_1) | instskip(NEXT) | instid1(VALU_DEP_1)
	v_sub_nc_u32_e32 v0, 0, v30
	v_max_i32_e32 v0, v30, v0
	s_delay_alu instid0(VALU_DEP_1) | instskip(NEXT) | instid1(VALU_DEP_1)
	v_mul_u64_e32 v[32:33], s[12:13], v[0:1]
	v_mul_lo_u32 v31, v33, s19
	s_delay_alu instid0(VALU_DEP_1) | instskip(NEXT) | instid1(VALU_DEP_1)
	v_dual_sub_nc_u32 v0, v0, v31 :: v_dual_add_nc_u32 v31, 1, v33
	v_cmp_le_u32_e32 vcc_lo, s19, v0
	s_delay_alu instid0(VALU_DEP_2) | instskip(SKIP_1) | instid1(VALU_DEP_1)
	v_dual_cndmask_b32 v31, v33, v31, vcc_lo :: v_dual_ashrrev_i32 v33, 31, v30
	v_subrev_nc_u32_e32 v32, s19, v0
	v_dual_cndmask_b32 v0, v0, v32, vcc_lo :: v_dual_add_nc_u32 v32, 1, v31
	s_delay_alu instid0(VALU_DEP_1) | instskip(NEXT) | instid1(VALU_DEP_2)
	v_cmp_le_u32_e32 vcc_lo, s19, v0
	v_dual_cndmask_b32 v0, v31, v32, vcc_lo :: v_dual_bitop2_b32 v33, s1, v33 bitop3:0x14
	s_delay_alu instid0(VALU_DEP_1) | instskip(NEXT) | instid1(VALU_DEP_1)
	v_xor_b32_e32 v0, v0, v33
	v_dual_mov_b32 v0, v29 :: v_dual_sub_nc_u32 v31, v0, v33
	s_delay_alu instid0(VALU_DEP_1) | instskip(SKIP_3) | instid1(SALU_CYCLE_1)
	v_cmp_ne_u32_e64 s0, v31, v3
	v_cmp_eq_u32_e32 vcc_lo, v31, v3
	s_wait_xcnt 0x0
	s_and_saveexec_b32 s22, s0
	s_xor_b32 s0, exec_lo, s22
; %bb.14:                               ;   in Loop: Header=BB126_13 Depth=2
	v_min_i32_e32 v28, v31, v28
                                        ; implicit-def: $vgpr30
                                        ; implicit-def: $vgpr0
; %bb.15:                               ;   in Loop: Header=BB126_13 Depth=2
	s_or_saveexec_b32 s0, s0
	v_mov_b32_e32 v29, v16
	s_xor_b32 exec_lo, exec_lo, s0
	s_cbranch_execz .LBB126_12
; %bb.16:                               ;   in Loop: Header=BB126_13 Depth=2
	global_load_b64 v[32:33], v[14:15], off
	v_sub_nc_u32_e32 v29, v30, v17
	s_delay_alu instid0(VALU_DEP_1)
	v_lshl_add_u32 v30, v29, 3, v20
	v_mov_b32_e32 v29, v0
	ds_store_b8 v18, v27 offset:2048
	s_wait_loadcnt 0x0
	ds_store_b64 v30, v[32:33]
	s_branch .LBB126_12
.LBB126_17:                             ;   in Loop: Header=BB126_10 Depth=1
	s_or_b32 exec_lo, exec_lo, s21
.LBB126_18:                             ;   in Loop: Header=BB126_10 Depth=1
	s_delay_alu instid0(SALU_CYCLE_1)
	s_or_b32 exec_lo, exec_lo, s20
	ds_bpermute_b32 v0, v21, v29
	s_wait_dscnt 0x0
	ds_load_u8 v9, v18 offset:2048
	v_min_i32_e32 v0, v0, v29
	ds_bpermute_b32 v8, v22, v0
	s_wait_dscnt 0x0
	v_min_i32_e32 v0, v8, v0
	ds_bpermute_b32 v8, v23, v0
	v_and_b32_e32 v0, 1, v9
	s_delay_alu instid0(VALU_DEP_1)
	v_cmp_eq_u32_e32 vcc_lo, 1, v0
	v_mov_b32_e32 v0, 0
	s_and_saveexec_b32 s0, vcc_lo
	s_cbranch_execz .LBB126_9
; %bb.19:                               ;   in Loop: Header=BB126_10 Depth=1
	v_add_nc_u32_e32 v0, s17, v3
	global_store_b32 v2, v0, s[2:3] scale_offset
	s_wait_xcnt 0x0
	s_and_saveexec_b32 s20, s4
	s_cbranch_execz .LBB126_8
; %bb.20:                               ;   in Loop: Header=BB126_10 Depth=1
	v_ashrrev_i32_e32 v3, 31, v2
	ds_load_b64 v[16:17], v24
	s_and_b32 vcc_lo, exec_lo, s18
	v_mul_u64_e32 v[14:15], s[14:15], v[2:3]
	s_cbranch_vccz .LBB126_22
; %bb.21:                               ;   in Loop: Header=BB126_10 Depth=1
	s_delay_alu instid0(VALU_DEP_1)
	v_lshl_add_u64 v[30:31], v[14:15], 3, v[6:7]
	s_wait_dscnt 0x0
	global_store_b64 v[30:31], v[16:17], off
	s_cbranch_execnz .LBB126_8
	s_branch .LBB126_23
.LBB126_22:                             ;   in Loop: Header=BB126_10 Depth=1
.LBB126_23:                             ;   in Loop: Header=BB126_10 Depth=1
	s_delay_alu instid0(VALU_DEP_1)
	v_lshl_add_u64 v[14:15], v[14:15], 3, v[10:11]
	s_wait_dscnt 0x0
	global_store_b64 v[14:15], v[16:17], off
	s_branch .LBB126_8
.LBB126_24:
	s_endpgm
	.section	.rodata,"a",@progbits
	.p2align	6, 0x0
	.amdhsa_kernel _ZN9rocsparseL44csr2gebsr_wavefront_per_row_multipass_kernelILi256ELi2ELi4ELi8E21rocsparse_complex_numIfEEEv20rocsparse_direction_iiiiii21rocsparse_index_base_PKT3_PKiS9_S4_PS5_PiSB_
		.amdhsa_group_segment_fixed_size 2080
		.amdhsa_private_segment_fixed_size 0
		.amdhsa_kernarg_size 88
		.amdhsa_user_sgpr_count 2
		.amdhsa_user_sgpr_dispatch_ptr 0
		.amdhsa_user_sgpr_queue_ptr 0
		.amdhsa_user_sgpr_kernarg_segment_ptr 1
		.amdhsa_user_sgpr_dispatch_id 0
		.amdhsa_user_sgpr_kernarg_preload_length 0
		.amdhsa_user_sgpr_kernarg_preload_offset 0
		.amdhsa_user_sgpr_private_segment_size 0
		.amdhsa_wavefront_size32 1
		.amdhsa_uses_dynamic_stack 0
		.amdhsa_enable_private_segment 0
		.amdhsa_system_sgpr_workgroup_id_x 1
		.amdhsa_system_sgpr_workgroup_id_y 0
		.amdhsa_system_sgpr_workgroup_id_z 0
		.amdhsa_system_sgpr_workgroup_info 0
		.amdhsa_system_vgpr_workitem_id 0
		.amdhsa_next_free_vgpr 34
		.amdhsa_next_free_sgpr 23
		.amdhsa_named_barrier_count 0
		.amdhsa_reserve_vcc 1
		.amdhsa_float_round_mode_32 0
		.amdhsa_float_round_mode_16_64 0
		.amdhsa_float_denorm_mode_32 3
		.amdhsa_float_denorm_mode_16_64 3
		.amdhsa_fp16_overflow 0
		.amdhsa_memory_ordered 1
		.amdhsa_forward_progress 1
		.amdhsa_inst_pref_size 11
		.amdhsa_round_robin_scheduling 0
		.amdhsa_exception_fp_ieee_invalid_op 0
		.amdhsa_exception_fp_denorm_src 0
		.amdhsa_exception_fp_ieee_div_zero 0
		.amdhsa_exception_fp_ieee_overflow 0
		.amdhsa_exception_fp_ieee_underflow 0
		.amdhsa_exception_fp_ieee_inexact 0
		.amdhsa_exception_int_div_zero 0
	.end_amdhsa_kernel
	.section	.text._ZN9rocsparseL44csr2gebsr_wavefront_per_row_multipass_kernelILi256ELi2ELi4ELi8E21rocsparse_complex_numIfEEEv20rocsparse_direction_iiiiii21rocsparse_index_base_PKT3_PKiS9_S4_PS5_PiSB_,"axG",@progbits,_ZN9rocsparseL44csr2gebsr_wavefront_per_row_multipass_kernelILi256ELi2ELi4ELi8E21rocsparse_complex_numIfEEEv20rocsparse_direction_iiiiii21rocsparse_index_base_PKT3_PKiS9_S4_PS5_PiSB_,comdat
.Lfunc_end126:
	.size	_ZN9rocsparseL44csr2gebsr_wavefront_per_row_multipass_kernelILi256ELi2ELi4ELi8E21rocsparse_complex_numIfEEEv20rocsparse_direction_iiiiii21rocsparse_index_base_PKT3_PKiS9_S4_PS5_PiSB_, .Lfunc_end126-_ZN9rocsparseL44csr2gebsr_wavefront_per_row_multipass_kernelILi256ELi2ELi4ELi8E21rocsparse_complex_numIfEEEv20rocsparse_direction_iiiiii21rocsparse_index_base_PKT3_PKiS9_S4_PS5_PiSB_
                                        ; -- End function
	.set _ZN9rocsparseL44csr2gebsr_wavefront_per_row_multipass_kernelILi256ELi2ELi4ELi8E21rocsparse_complex_numIfEEEv20rocsparse_direction_iiiiii21rocsparse_index_base_PKT3_PKiS9_S4_PS5_PiSB_.num_vgpr, 34
	.set _ZN9rocsparseL44csr2gebsr_wavefront_per_row_multipass_kernelILi256ELi2ELi4ELi8E21rocsparse_complex_numIfEEEv20rocsparse_direction_iiiiii21rocsparse_index_base_PKT3_PKiS9_S4_PS5_PiSB_.num_agpr, 0
	.set _ZN9rocsparseL44csr2gebsr_wavefront_per_row_multipass_kernelILi256ELi2ELi4ELi8E21rocsparse_complex_numIfEEEv20rocsparse_direction_iiiiii21rocsparse_index_base_PKT3_PKiS9_S4_PS5_PiSB_.numbered_sgpr, 23
	.set _ZN9rocsparseL44csr2gebsr_wavefront_per_row_multipass_kernelILi256ELi2ELi4ELi8E21rocsparse_complex_numIfEEEv20rocsparse_direction_iiiiii21rocsparse_index_base_PKT3_PKiS9_S4_PS5_PiSB_.num_named_barrier, 0
	.set _ZN9rocsparseL44csr2gebsr_wavefront_per_row_multipass_kernelILi256ELi2ELi4ELi8E21rocsparse_complex_numIfEEEv20rocsparse_direction_iiiiii21rocsparse_index_base_PKT3_PKiS9_S4_PS5_PiSB_.private_seg_size, 0
	.set _ZN9rocsparseL44csr2gebsr_wavefront_per_row_multipass_kernelILi256ELi2ELi4ELi8E21rocsparse_complex_numIfEEEv20rocsparse_direction_iiiiii21rocsparse_index_base_PKT3_PKiS9_S4_PS5_PiSB_.uses_vcc, 1
	.set _ZN9rocsparseL44csr2gebsr_wavefront_per_row_multipass_kernelILi256ELi2ELi4ELi8E21rocsparse_complex_numIfEEEv20rocsparse_direction_iiiiii21rocsparse_index_base_PKT3_PKiS9_S4_PS5_PiSB_.uses_flat_scratch, 0
	.set _ZN9rocsparseL44csr2gebsr_wavefront_per_row_multipass_kernelILi256ELi2ELi4ELi8E21rocsparse_complex_numIfEEEv20rocsparse_direction_iiiiii21rocsparse_index_base_PKT3_PKiS9_S4_PS5_PiSB_.has_dyn_sized_stack, 0
	.set _ZN9rocsparseL44csr2gebsr_wavefront_per_row_multipass_kernelILi256ELi2ELi4ELi8E21rocsparse_complex_numIfEEEv20rocsparse_direction_iiiiii21rocsparse_index_base_PKT3_PKiS9_S4_PS5_PiSB_.has_recursion, 0
	.set _ZN9rocsparseL44csr2gebsr_wavefront_per_row_multipass_kernelILi256ELi2ELi4ELi8E21rocsparse_complex_numIfEEEv20rocsparse_direction_iiiiii21rocsparse_index_base_PKT3_PKiS9_S4_PS5_PiSB_.has_indirect_call, 0
	.section	.AMDGPU.csdata,"",@progbits
; Kernel info:
; codeLenInByte = 1352
; TotalNumSgprs: 25
; NumVgprs: 34
; ScratchSize: 0
; MemoryBound: 0
; FloatMode: 240
; IeeeMode: 1
; LDSByteSize: 2080 bytes/workgroup (compile time only)
; SGPRBlocks: 0
; VGPRBlocks: 2
; NumSGPRsForWavesPerEU: 25
; NumVGPRsForWavesPerEU: 34
; NamedBarCnt: 0
; Occupancy: 16
; WaveLimiterHint : 0
; COMPUTE_PGM_RSRC2:SCRATCH_EN: 0
; COMPUTE_PGM_RSRC2:USER_SGPR: 2
; COMPUTE_PGM_RSRC2:TRAP_HANDLER: 0
; COMPUTE_PGM_RSRC2:TGID_X_EN: 1
; COMPUTE_PGM_RSRC2:TGID_Y_EN: 0
; COMPUTE_PGM_RSRC2:TGID_Z_EN: 0
; COMPUTE_PGM_RSRC2:TIDIG_COMP_CNT: 0
	.section	.text._ZN9rocsparseL44csr2gebsr_wavefront_per_row_multipass_kernelILi256ELi2ELi8ELi16E21rocsparse_complex_numIfEEEv20rocsparse_direction_iiiiii21rocsparse_index_base_PKT3_PKiS9_S4_PS5_PiSB_,"axG",@progbits,_ZN9rocsparseL44csr2gebsr_wavefront_per_row_multipass_kernelILi256ELi2ELi8ELi16E21rocsparse_complex_numIfEEEv20rocsparse_direction_iiiiii21rocsparse_index_base_PKT3_PKiS9_S4_PS5_PiSB_,comdat
	.globl	_ZN9rocsparseL44csr2gebsr_wavefront_per_row_multipass_kernelILi256ELi2ELi8ELi16E21rocsparse_complex_numIfEEEv20rocsparse_direction_iiiiii21rocsparse_index_base_PKT3_PKiS9_S4_PS5_PiSB_ ; -- Begin function _ZN9rocsparseL44csr2gebsr_wavefront_per_row_multipass_kernelILi256ELi2ELi8ELi16E21rocsparse_complex_numIfEEEv20rocsparse_direction_iiiiii21rocsparse_index_base_PKT3_PKiS9_S4_PS5_PiSB_
	.p2align	8
	.type	_ZN9rocsparseL44csr2gebsr_wavefront_per_row_multipass_kernelILi256ELi2ELi8ELi16E21rocsparse_complex_numIfEEEv20rocsparse_direction_iiiiii21rocsparse_index_base_PKT3_PKiS9_S4_PS5_PiSB_,@function
_ZN9rocsparseL44csr2gebsr_wavefront_per_row_multipass_kernelILi256ELi2ELi8ELi16E21rocsparse_complex_numIfEEEv20rocsparse_direction_iiiiii21rocsparse_index_base_PKT3_PKiS9_S4_PS5_PiSB_: ; @_ZN9rocsparseL44csr2gebsr_wavefront_per_row_multipass_kernelILi256ELi2ELi8ELi16E21rocsparse_complex_numIfEEEv20rocsparse_direction_iiiiii21rocsparse_index_base_PKT3_PKiS9_S4_PS5_PiSB_
; %bb.0:
	s_clause 0x1
	s_load_b128 s[4:7], s[0:1], 0xc
	s_load_b64 s[12:13], s[0:1], 0x0
	s_bfe_u32 s2, ttmp6, 0x4000c
	s_and_b32 s3, ttmp6, 15
	s_add_co_i32 s2, s2, 1
	s_getreg_b32 s8, hwreg(HW_REG_IB_STS2, 6, 4)
	s_mul_i32 s2, ttmp9, s2
	v_dual_lshrrev_b32 v18, 4, v0 :: v_dual_mov_b32 v2, 0
	s_add_co_i32 s3, s3, s2
	s_cmp_eq_u32 s8, 0
	v_bfe_u32 v1, v0, 3, 1
	s_cselect_b32 s2, ttmp9, s3
	s_clause 0x1
	s_load_b32 s16, s[0:1], 0x1c
	s_load_b64 s[8:9], s[0:1], 0x28
	v_lshl_or_b32 v3, s2, 4, v18
	v_mov_b32_e32 v8, 0
	s_wait_kmcnt 0x0
	s_delay_alu instid0(VALU_DEP_2) | instskip(SKIP_1) | instid1(VALU_DEP_2)
	v_mad_u32 v4, v3, s6, v1
	v_cmp_gt_i32_e32 vcc_lo, s6, v1
	v_cmp_gt_i32_e64 s2, s13, v4
	s_and_b32 s2, vcc_lo, s2
	s_delay_alu instid0(SALU_CYCLE_1)
	s_and_saveexec_b32 s3, s2
	s_cbranch_execz .LBB127_2
; %bb.1:
	global_load_b32 v5, v4, s[8:9] scale_offset
	s_wait_loadcnt 0x0
	v_subrev_nc_u32_e32 v8, s16, v5
.LBB127_2:
	s_or_b32 exec_lo, exec_lo, s3
	v_mov_b32_e32 v19, 0
	s_and_saveexec_b32 s3, s2
	s_cbranch_execz .LBB127_4
; %bb.3:
	global_load_b32 v4, v4, s[8:9] offset:4 scale_offset
	s_wait_loadcnt 0x0
	v_subrev_nc_u32_e32 v19, s16, v4
.LBB127_4:
	s_or_b32 exec_lo, exec_lo, s3
	s_load_b32 s17, s[0:1], 0x38
	s_mov_b32 s3, exec_lo
	v_cmpx_gt_i32_e64 s4, v3
	s_cbranch_execz .LBB127_6
; %bb.5:
	s_load_b64 s[8:9], s[0:1], 0x48
	s_wait_kmcnt 0x0
	global_load_b32 v2, v3, s[8:9] scale_offset
	s_wait_loadcnt 0x0
	v_subrev_nc_u32_e32 v2, s17, v2
.LBB127_6:
	s_or_b32 exec_lo, exec_lo, s3
	s_cmp_lt_i32 s5, 1
	s_cbranch_scc1 .LBB127_24
; %bb.7:
	v_mbcnt_lo_u32_b32 v3, -1, 0
	v_lshlrev_b32_e32 v5, 6, v1
	v_and_b32_e32 v4, 0xf0, v0
	s_clause 0x3
	s_load_b64 s[2:3], s[0:1], 0x50
	s_load_b64 s[14:15], s[0:1], 0x40
	;; [unrolled: 1-line block ×4, first 2 shown]
	v_mul_lo_u32 v12, s7, v1
	v_dual_mov_b32 v28, 1 :: v_dual_bitop2_b32 v6, 4, v3 bitop3:0x14
	v_lshl_or_b32 v20, v4, 3, v5
	s_mov_b32 s13, 0
	s_wait_xcnt 0x0
	s_delay_alu instid0(VALU_DEP_2) | instskip(NEXT) | instid1(VALU_DEP_1)
	v_cmp_gt_i32_e64 s0, 32, v6
	v_dual_cndmask_b32 v4, v3, v6, s0 :: v_dual_bitop2_b32 v7, 2, v3 bitop3:0x14
	s_delay_alu instid0(VALU_DEP_1) | instskip(SKIP_2) | instid1(VALU_DEP_3)
	v_cmp_gt_i32_e64 s0, 32, v7
	v_and_b32_e32 v0, 7, v0
	v_dual_ashrrev_i32 v13, 31, v12 :: v_dual_bitop2_b32 v6, 1, v3 bitop3:0x14
	v_dual_lshlrev_b32 v21, 2, v4 :: v_dual_cndmask_b32 v5, v3, v7, s0
	s_delay_alu instid0(VALU_DEP_3) | instskip(NEXT) | instid1(VALU_DEP_3)
	v_cmp_gt_u32_e64 s0, s7, v0
	v_cmp_gt_i32_e64 s1, 32, v6
	v_mul_lo_u32 v4, s6, v0
	v_dual_lshlrev_b32 v9, 2, v3 :: v_dual_lshlrev_b32 v10, 3, v0
	s_and_b32 s4, vcc_lo, s0
	s_cmp_lg_u32 s12, 0
	v_dual_lshlrev_b32 v22, 2, v5 :: v_dual_cndmask_b32 v5, v3, v6, s1
	s_cselect_b32 s18, -1, 0
	s_abs_i32 s19, s7
	v_or_b32_e32 v25, v20, v10
	s_cvt_f32_u32 s0, s19
	v_dual_lshlrev_b32 v23, 2, v5 :: v_dual_mov_b32 v5, 0
	s_mov_b32 s12, s6
	s_delay_alu instid0(SALU_CYCLE_1)
	v_rcp_iflag_f32_e32 v11, s0
	v_or_b32_e32 v24, 28, v9
	s_wait_kmcnt 0x0
	v_lshl_add_u64 v[12:13], v[12:13], 3, s[14:15]
	v_lshl_add_u64 v[6:7], v[4:5], 3, s[14:15]
	v_dual_lshlrev_b32 v4, 3, v1 :: v_dual_bitop2_b32 v1, 8, v3 bitop3:0x14
	s_sub_co_i32 s14, 0, s19
	v_readfirstlane_b32 s6, v11
	v_mov_b32_e32 v11, v5
	s_delay_alu instid0(VALU_DEP_3)
	v_add_nc_u64_e32 v[6:7], v[6:7], v[4:5]
	v_cmp_gt_i32_e32 vcc_lo, 32, v1
	s_ashr_i32 s1, s7, 31
	s_mul_f32 s6, s6, 0x4f7ffffe
	v_add_nc_u64_e32 v[10:11], v[12:13], v[10:11]
	v_mov_b64_e32 v[12:13], 0
	v_dual_cndmask_b32 v3, v3, v1, vcc_lo :: v_dual_mov_b32 v1, v5
	s_cvt_u32_f32 s6, s6
	v_or_b32_e32 v27, 60, v9
	s_mov_b32 s0, s7
	s_delay_alu instid0(VALU_DEP_2)
	v_lshlrev_b32_e32 v26, 2, v3
	s_mul_i32 s14, s14, s6
	v_mov_b32_e32 v3, 0
	s_mul_hi_u32 s20, s6, s14
	s_mul_u64 s[14:15], s[0:1], s[12:13]
	s_add_co_i32 s12, s6, s20
	s_mov_b32 s6, s13
	s_branch .LBB127_10
.LBB127_8:                              ;   in Loop: Header=BB127_10 Depth=1
	s_wait_xcnt 0x0
	s_or_b32 exec_lo, exec_lo, s20
	v_mov_b32_e32 v4, 1
.LBB127_9:                              ;   in Loop: Header=BB127_10 Depth=1
	s_or_b32 exec_lo, exec_lo, s0
	ds_bpermute_b32 v3, v26, v29
	s_wait_storecnt_dscnt 0x0
	v_dual_add_nc_u32 v2, v4, v2 :: v_dual_min_i32 v3, v3, v29
	ds_bpermute_b32 v9, v21, v3
	s_wait_dscnt 0x0
	v_min_i32_e32 v3, v9, v3
	ds_bpermute_b32 v9, v22, v3
	s_wait_dscnt 0x0
	v_min_i32_e32 v3, v9, v3
	;; [unrolled: 3-line block ×3, first 2 shown]
	ds_bpermute_b32 v3, v27, v3
	s_wait_dscnt 0x0
	v_cmp_le_i32_e32 vcc_lo, s5, v3
	s_or_b32 s6, vcc_lo, s6
	s_delay_alu instid0(SALU_CYCLE_1)
	s_and_not1_b32 exec_lo, exec_lo, s6
	s_cbranch_execz .LBB127_24
.LBB127_10:                             ; =>This Loop Header: Depth=1
                                        ;     Child Loop BB127_13 Depth 2
	v_dual_mov_b32 v29, s5 :: v_dual_add_nc_u32 v16, v8, v0
	v_mov_b32_e32 v30, v19
	s_mov_b32 s20, exec_lo
	ds_store_b8 v18, v5 offset:2048
	ds_store_b64 v25, v[12:13]
	s_wait_dscnt 0x0
	v_cmpx_lt_i32_e64 v16, v19
	s_cbranch_execz .LBB127_18
; %bb.11:                               ;   in Loop: Header=BB127_10 Depth=1
	v_dual_ashrrev_i32 v9, 31, v8 :: v_dual_mov_b32 v29, s5
	v_mul_lo_u32 v17, v3, s7
	v_mov_b32_e32 v30, v19
	s_mov_b32 s21, 0
	s_delay_alu instid0(VALU_DEP_3) | instskip(NEXT) | instid1(VALU_DEP_1)
	v_add_nc_u64_e32 v[14:15], v[0:1], v[8:9]
	v_lshl_add_u64 v[8:9], v[14:15], 2, s[10:11]
	v_lshl_add_u64 v[14:15], v[14:15], 3, s[8:9]
	s_branch .LBB127_13
.LBB127_12:                             ;   in Loop: Header=BB127_13 Depth=2
	s_wait_xcnt 0x0
	s_or_b32 exec_lo, exec_lo, s0
	v_add_nc_u32_e32 v16, 8, v16
	s_xor_b32 s22, vcc_lo, -1
	v_add_nc_u64_e32 v[8:9], 32, v[8:9]
	v_add_nc_u64_e32 v[14:15], 64, v[14:15]
	s_delay_alu instid0(VALU_DEP_3) | instskip(SKIP_1) | instid1(SALU_CYCLE_1)
	v_cmp_ge_i32_e64 s0, v16, v19
	s_or_b32 s0, s22, s0
	s_and_b32 s0, exec_lo, s0
	s_delay_alu instid0(SALU_CYCLE_1) | instskip(NEXT) | instid1(SALU_CYCLE_1)
	s_or_b32 s21, s0, s21
	s_and_not1_b32 exec_lo, exec_lo, s21
	s_cbranch_execz .LBB127_17
.LBB127_13:                             ;   Parent Loop BB127_10 Depth=1
                                        ; =>  This Inner Loop Header: Depth=2
	global_load_b32 v4, v[8:9], off
	s_wait_loadcnt 0x0
	v_subrev_nc_u32_e32 v31, s16, v4
	s_delay_alu instid0(VALU_DEP_1) | instskip(NEXT) | instid1(VALU_DEP_1)
	v_sub_nc_u32_e32 v4, 0, v31
	v_max_i32_e32 v4, v31, v4
	s_delay_alu instid0(VALU_DEP_1) | instskip(NEXT) | instid1(VALU_DEP_1)
	v_mul_u64_e32 v[32:33], s[12:13], v[4:5]
	v_mul_lo_u32 v32, v33, s19
	s_delay_alu instid0(VALU_DEP_1) | instskip(NEXT) | instid1(VALU_DEP_1)
	v_dual_sub_nc_u32 v4, v4, v32 :: v_dual_add_nc_u32 v32, 1, v33
	v_cmp_le_u32_e32 vcc_lo, s19, v4
	s_delay_alu instid0(VALU_DEP_2) | instskip(SKIP_1) | instid1(VALU_DEP_1)
	v_cndmask_b32_e32 v32, v33, v32, vcc_lo
	v_subrev_nc_u32_e32 v34, s19, v4
	v_dual_cndmask_b32 v4, v4, v34 :: v_dual_ashrrev_i32 v33, 31, v31
	s_delay_alu instid0(VALU_DEP_3) | instskip(NEXT) | instid1(VALU_DEP_2)
	v_add_nc_u32_e32 v34, 1, v32
	v_cmp_le_u32_e32 vcc_lo, s19, v4
	s_delay_alu instid0(VALU_DEP_2) | instskip(NEXT) | instid1(VALU_DEP_1)
	v_dual_cndmask_b32 v4, v32, v34, vcc_lo :: v_dual_bitop2_b32 v33, s1, v33 bitop3:0x14
	v_xor_b32_e32 v4, v4, v33
	s_delay_alu instid0(VALU_DEP_1) | instskip(NEXT) | instid1(VALU_DEP_1)
	v_dual_sub_nc_u32 v32, v4, v33 :: v_dual_mov_b32 v4, v30
	v_cmp_ne_u32_e64 s0, v32, v3
	v_cmp_eq_u32_e32 vcc_lo, v32, v3
	s_wait_xcnt 0x0
	s_and_saveexec_b32 s22, s0
	s_delay_alu instid0(SALU_CYCLE_1)
	s_xor_b32 s0, exec_lo, s22
; %bb.14:                               ;   in Loop: Header=BB127_13 Depth=2
	v_min_i32_e32 v29, v32, v29
                                        ; implicit-def: $vgpr31
                                        ; implicit-def: $vgpr4
; %bb.15:                               ;   in Loop: Header=BB127_13 Depth=2
	s_or_saveexec_b32 s0, s0
	v_mov_b32_e32 v30, v16
	s_xor_b32 exec_lo, exec_lo, s0
	s_cbranch_execz .LBB127_12
; %bb.16:                               ;   in Loop: Header=BB127_13 Depth=2
	global_load_b64 v[32:33], v[14:15], off
	v_sub_nc_u32_e32 v30, v31, v17
	s_delay_alu instid0(VALU_DEP_1)
	v_lshl_add_u32 v31, v30, 3, v20
	v_mov_b32_e32 v30, v4
	ds_store_b8 v18, v28 offset:2048
	s_wait_loadcnt 0x0
	ds_store_b64 v31, v[32:33]
	s_branch .LBB127_12
.LBB127_17:                             ;   in Loop: Header=BB127_10 Depth=1
	s_or_b32 exec_lo, exec_lo, s21
.LBB127_18:                             ;   in Loop: Header=BB127_10 Depth=1
	s_delay_alu instid0(SALU_CYCLE_1)
	s_or_b32 exec_lo, exec_lo, s20
	ds_bpermute_b32 v4, v21, v30
	s_wait_dscnt 0x0
	ds_load_u8 v9, v18 offset:2048
	v_min_i32_e32 v4, v4, v30
	ds_bpermute_b32 v8, v22, v4
	s_wait_dscnt 0x0
	v_min_i32_e32 v4, v8, v4
	ds_bpermute_b32 v8, v23, v4
	s_wait_dscnt 0x0
	v_min_i32_e32 v4, v8, v4
	ds_bpermute_b32 v8, v24, v4
	v_and_b32_e32 v4, 1, v9
	s_delay_alu instid0(VALU_DEP_1)
	v_cmp_eq_u32_e32 vcc_lo, 1, v4
	v_mov_b32_e32 v4, 0
	s_and_saveexec_b32 s0, vcc_lo
	s_cbranch_execz .LBB127_9
; %bb.19:                               ;   in Loop: Header=BB127_10 Depth=1
	v_add_nc_u32_e32 v3, s17, v3
	global_store_b32 v2, v3, s[2:3] scale_offset
	s_wait_xcnt 0x0
	s_and_saveexec_b32 s20, s4
	s_cbranch_execz .LBB127_8
; %bb.20:                               ;   in Loop: Header=BB127_10 Depth=1
	v_ashrrev_i32_e32 v3, 31, v2
	ds_load_b64 v[16:17], v25
	s_and_b32 vcc_lo, exec_lo, s18
	v_mul_u64_e32 v[14:15], s[14:15], v[2:3]
	s_cbranch_vccz .LBB127_22
; %bb.21:                               ;   in Loop: Header=BB127_10 Depth=1
	s_delay_alu instid0(VALU_DEP_1)
	v_lshl_add_u64 v[30:31], v[14:15], 3, v[6:7]
	s_wait_dscnt 0x0
	global_store_b64 v[30:31], v[16:17], off
	s_cbranch_execnz .LBB127_8
	s_branch .LBB127_23
.LBB127_22:                             ;   in Loop: Header=BB127_10 Depth=1
.LBB127_23:                             ;   in Loop: Header=BB127_10 Depth=1
	s_delay_alu instid0(VALU_DEP_1)
	v_lshl_add_u64 v[14:15], v[14:15], 3, v[10:11]
	s_wait_dscnt 0x0
	global_store_b64 v[14:15], v[16:17], off
	s_branch .LBB127_8
.LBB127_24:
	s_endpgm
	.section	.rodata,"a",@progbits
	.p2align	6, 0x0
	.amdhsa_kernel _ZN9rocsparseL44csr2gebsr_wavefront_per_row_multipass_kernelILi256ELi2ELi8ELi16E21rocsparse_complex_numIfEEEv20rocsparse_direction_iiiiii21rocsparse_index_base_PKT3_PKiS9_S4_PS5_PiSB_
		.amdhsa_group_segment_fixed_size 2064
		.amdhsa_private_segment_fixed_size 0
		.amdhsa_kernarg_size 88
		.amdhsa_user_sgpr_count 2
		.amdhsa_user_sgpr_dispatch_ptr 0
		.amdhsa_user_sgpr_queue_ptr 0
		.amdhsa_user_sgpr_kernarg_segment_ptr 1
		.amdhsa_user_sgpr_dispatch_id 0
		.amdhsa_user_sgpr_kernarg_preload_length 0
		.amdhsa_user_sgpr_kernarg_preload_offset 0
		.amdhsa_user_sgpr_private_segment_size 0
		.amdhsa_wavefront_size32 1
		.amdhsa_uses_dynamic_stack 0
		.amdhsa_enable_private_segment 0
		.amdhsa_system_sgpr_workgroup_id_x 1
		.amdhsa_system_sgpr_workgroup_id_y 0
		.amdhsa_system_sgpr_workgroup_id_z 0
		.amdhsa_system_sgpr_workgroup_info 0
		.amdhsa_system_vgpr_workitem_id 0
		.amdhsa_next_free_vgpr 35
		.amdhsa_next_free_sgpr 23
		.amdhsa_named_barrier_count 0
		.amdhsa_reserve_vcc 1
		.amdhsa_float_round_mode_32 0
		.amdhsa_float_round_mode_16_64 0
		.amdhsa_float_denorm_mode_32 3
		.amdhsa_float_denorm_mode_16_64 3
		.amdhsa_fp16_overflow 0
		.amdhsa_memory_ordered 1
		.amdhsa_forward_progress 1
		.amdhsa_inst_pref_size 12
		.amdhsa_round_robin_scheduling 0
		.amdhsa_exception_fp_ieee_invalid_op 0
		.amdhsa_exception_fp_denorm_src 0
		.amdhsa_exception_fp_ieee_div_zero 0
		.amdhsa_exception_fp_ieee_overflow 0
		.amdhsa_exception_fp_ieee_underflow 0
		.amdhsa_exception_fp_ieee_inexact 0
		.amdhsa_exception_int_div_zero 0
	.end_amdhsa_kernel
	.section	.text._ZN9rocsparseL44csr2gebsr_wavefront_per_row_multipass_kernelILi256ELi2ELi8ELi16E21rocsparse_complex_numIfEEEv20rocsparse_direction_iiiiii21rocsparse_index_base_PKT3_PKiS9_S4_PS5_PiSB_,"axG",@progbits,_ZN9rocsparseL44csr2gebsr_wavefront_per_row_multipass_kernelILi256ELi2ELi8ELi16E21rocsparse_complex_numIfEEEv20rocsparse_direction_iiiiii21rocsparse_index_base_PKT3_PKiS9_S4_PS5_PiSB_,comdat
.Lfunc_end127:
	.size	_ZN9rocsparseL44csr2gebsr_wavefront_per_row_multipass_kernelILi256ELi2ELi8ELi16E21rocsparse_complex_numIfEEEv20rocsparse_direction_iiiiii21rocsparse_index_base_PKT3_PKiS9_S4_PS5_PiSB_, .Lfunc_end127-_ZN9rocsparseL44csr2gebsr_wavefront_per_row_multipass_kernelILi256ELi2ELi8ELi16E21rocsparse_complex_numIfEEEv20rocsparse_direction_iiiiii21rocsparse_index_base_PKT3_PKiS9_S4_PS5_PiSB_
                                        ; -- End function
	.set _ZN9rocsparseL44csr2gebsr_wavefront_per_row_multipass_kernelILi256ELi2ELi8ELi16E21rocsparse_complex_numIfEEEv20rocsparse_direction_iiiiii21rocsparse_index_base_PKT3_PKiS9_S4_PS5_PiSB_.num_vgpr, 35
	.set _ZN9rocsparseL44csr2gebsr_wavefront_per_row_multipass_kernelILi256ELi2ELi8ELi16E21rocsparse_complex_numIfEEEv20rocsparse_direction_iiiiii21rocsparse_index_base_PKT3_PKiS9_S4_PS5_PiSB_.num_agpr, 0
	.set _ZN9rocsparseL44csr2gebsr_wavefront_per_row_multipass_kernelILi256ELi2ELi8ELi16E21rocsparse_complex_numIfEEEv20rocsparse_direction_iiiiii21rocsparse_index_base_PKT3_PKiS9_S4_PS5_PiSB_.numbered_sgpr, 23
	.set _ZN9rocsparseL44csr2gebsr_wavefront_per_row_multipass_kernelILi256ELi2ELi8ELi16E21rocsparse_complex_numIfEEEv20rocsparse_direction_iiiiii21rocsparse_index_base_PKT3_PKiS9_S4_PS5_PiSB_.num_named_barrier, 0
	.set _ZN9rocsparseL44csr2gebsr_wavefront_per_row_multipass_kernelILi256ELi2ELi8ELi16E21rocsparse_complex_numIfEEEv20rocsparse_direction_iiiiii21rocsparse_index_base_PKT3_PKiS9_S4_PS5_PiSB_.private_seg_size, 0
	.set _ZN9rocsparseL44csr2gebsr_wavefront_per_row_multipass_kernelILi256ELi2ELi8ELi16E21rocsparse_complex_numIfEEEv20rocsparse_direction_iiiiii21rocsparse_index_base_PKT3_PKiS9_S4_PS5_PiSB_.uses_vcc, 1
	.set _ZN9rocsparseL44csr2gebsr_wavefront_per_row_multipass_kernelILi256ELi2ELi8ELi16E21rocsparse_complex_numIfEEEv20rocsparse_direction_iiiiii21rocsparse_index_base_PKT3_PKiS9_S4_PS5_PiSB_.uses_flat_scratch, 0
	.set _ZN9rocsparseL44csr2gebsr_wavefront_per_row_multipass_kernelILi256ELi2ELi8ELi16E21rocsparse_complex_numIfEEEv20rocsparse_direction_iiiiii21rocsparse_index_base_PKT3_PKiS9_S4_PS5_PiSB_.has_dyn_sized_stack, 0
	.set _ZN9rocsparseL44csr2gebsr_wavefront_per_row_multipass_kernelILi256ELi2ELi8ELi16E21rocsparse_complex_numIfEEEv20rocsparse_direction_iiiiii21rocsparse_index_base_PKT3_PKiS9_S4_PS5_PiSB_.has_recursion, 0
	.set _ZN9rocsparseL44csr2gebsr_wavefront_per_row_multipass_kernelILi256ELi2ELi8ELi16E21rocsparse_complex_numIfEEEv20rocsparse_direction_iiiiii21rocsparse_index_base_PKT3_PKiS9_S4_PS5_PiSB_.has_indirect_call, 0
	.section	.AMDGPU.csdata,"",@progbits
; Kernel info:
; codeLenInByte = 1424
; TotalNumSgprs: 25
; NumVgprs: 35
; ScratchSize: 0
; MemoryBound: 0
; FloatMode: 240
; IeeeMode: 1
; LDSByteSize: 2064 bytes/workgroup (compile time only)
; SGPRBlocks: 0
; VGPRBlocks: 2
; NumSGPRsForWavesPerEU: 25
; NumVGPRsForWavesPerEU: 35
; NamedBarCnt: 0
; Occupancy: 16
; WaveLimiterHint : 0
; COMPUTE_PGM_RSRC2:SCRATCH_EN: 0
; COMPUTE_PGM_RSRC2:USER_SGPR: 2
; COMPUTE_PGM_RSRC2:TRAP_HANDLER: 0
; COMPUTE_PGM_RSRC2:TGID_X_EN: 1
; COMPUTE_PGM_RSRC2:TGID_Y_EN: 0
; COMPUTE_PGM_RSRC2:TGID_Z_EN: 0
; COMPUTE_PGM_RSRC2:TIDIG_COMP_CNT: 0
	.section	.text._ZN9rocsparseL44csr2gebsr_wavefront_per_row_multipass_kernelILi256ELi2ELi16ELi32E21rocsparse_complex_numIfEEEv20rocsparse_direction_iiiiii21rocsparse_index_base_PKT3_PKiS9_S4_PS5_PiSB_,"axG",@progbits,_ZN9rocsparseL44csr2gebsr_wavefront_per_row_multipass_kernelILi256ELi2ELi16ELi32E21rocsparse_complex_numIfEEEv20rocsparse_direction_iiiiii21rocsparse_index_base_PKT3_PKiS9_S4_PS5_PiSB_,comdat
	.globl	_ZN9rocsparseL44csr2gebsr_wavefront_per_row_multipass_kernelILi256ELi2ELi16ELi32E21rocsparse_complex_numIfEEEv20rocsparse_direction_iiiiii21rocsparse_index_base_PKT3_PKiS9_S4_PS5_PiSB_ ; -- Begin function _ZN9rocsparseL44csr2gebsr_wavefront_per_row_multipass_kernelILi256ELi2ELi16ELi32E21rocsparse_complex_numIfEEEv20rocsparse_direction_iiiiii21rocsparse_index_base_PKT3_PKiS9_S4_PS5_PiSB_
	.p2align	8
	.type	_ZN9rocsparseL44csr2gebsr_wavefront_per_row_multipass_kernelILi256ELi2ELi16ELi32E21rocsparse_complex_numIfEEEv20rocsparse_direction_iiiiii21rocsparse_index_base_PKT3_PKiS9_S4_PS5_PiSB_,@function
_ZN9rocsparseL44csr2gebsr_wavefront_per_row_multipass_kernelILi256ELi2ELi16ELi32E21rocsparse_complex_numIfEEEv20rocsparse_direction_iiiiii21rocsparse_index_base_PKT3_PKiS9_S4_PS5_PiSB_: ; @_ZN9rocsparseL44csr2gebsr_wavefront_per_row_multipass_kernelILi256ELi2ELi16ELi32E21rocsparse_complex_numIfEEEv20rocsparse_direction_iiiiii21rocsparse_index_base_PKT3_PKiS9_S4_PS5_PiSB_
; %bb.0:
	s_clause 0x1
	s_load_b128 s[4:7], s[0:1], 0xc
	s_load_b64 s[12:13], s[0:1], 0x0
	s_bfe_u32 s2, ttmp6, 0x4000c
	s_and_b32 s3, ttmp6, 15
	s_add_co_i32 s2, s2, 1
	s_getreg_b32 s8, hwreg(HW_REG_IB_STS2, 6, 4)
	s_mul_i32 s2, ttmp9, s2
	v_dual_lshrrev_b32 v18, 5, v0 :: v_dual_mov_b32 v2, 0
	s_add_co_i32 s3, s3, s2
	s_cmp_eq_u32 s8, 0
	v_bfe_u32 v1, v0, 4, 1
	s_cselect_b32 s2, ttmp9, s3
	s_clause 0x1
	s_load_b32 s16, s[0:1], 0x1c
	s_load_b64 s[8:9], s[0:1], 0x28
	v_lshl_or_b32 v3, s2, 3, v18
	v_mov_b32_e32 v6, 0
	s_wait_kmcnt 0x0
	s_delay_alu instid0(VALU_DEP_2) | instskip(SKIP_1) | instid1(VALU_DEP_2)
	v_mad_u32 v4, v3, s6, v1
	v_cmp_gt_i32_e32 vcc_lo, s6, v1
	v_cmp_gt_i32_e64 s2, s13, v4
	s_and_b32 s2, vcc_lo, s2
	s_delay_alu instid0(SALU_CYCLE_1)
	s_and_saveexec_b32 s3, s2
	s_cbranch_execz .LBB128_2
; %bb.1:
	global_load_b32 v5, v4, s[8:9] scale_offset
	s_wait_loadcnt 0x0
	v_subrev_nc_u32_e32 v6, s16, v5
.LBB128_2:
	s_or_b32 exec_lo, exec_lo, s3
	v_mov_b32_e32 v19, 0
	s_and_saveexec_b32 s3, s2
	s_cbranch_execz .LBB128_4
; %bb.3:
	global_load_b32 v4, v4, s[8:9] offset:4 scale_offset
	s_wait_loadcnt 0x0
	v_subrev_nc_u32_e32 v19, s16, v4
.LBB128_4:
	s_or_b32 exec_lo, exec_lo, s3
	s_load_b32 s17, s[0:1], 0x38
	s_mov_b32 s3, exec_lo
	v_cmpx_gt_i32_e64 s4, v3
	s_cbranch_execz .LBB128_6
; %bb.5:
	s_load_b64 s[8:9], s[0:1], 0x48
	s_wait_kmcnt 0x0
	global_load_b32 v2, v3, s[8:9] scale_offset
	s_wait_loadcnt 0x0
	v_subrev_nc_u32_e32 v2, s17, v2
.LBB128_6:
	s_or_b32 exec_lo, exec_lo, s3
	s_cmp_lt_i32 s5, 1
	s_cbranch_scc1 .LBB128_24
; %bb.7:
	v_and_b32_e32 v3, 0xe0, v0
	v_dual_lshlrev_b32 v4, 7, v1 :: v_dual_bitop2_b32 v0, 15, v0 bitop3:0x40
	v_mbcnt_lo_u32_b32 v7, -1, 0
	s_clause 0x3
	s_load_b64 s[2:3], s[0:1], 0x50
	s_load_b64 s[14:15], s[0:1], 0x40
	;; [unrolled: 1-line block ×4, first 2 shown]
	v_mul_lo_u32 v12, s7, v1
	v_lshl_or_b32 v20, v3, 3, v4
	v_dual_mov_b32 v28, 0x7c :: v_dual_mov_b32 v29, 1
	v_xor_b32_e32 v4, 2, v7
	v_xor_b32_e32 v5, 8, v7
	v_lshl_or_b32 v25, v7, 2, 60
	s_mov_b32 s13, 0
	v_lshlrev_b32_e32 v10, 3, v0
	s_wait_xcnt 0x0
	v_cmp_gt_i32_e64 s0, 32, v5
	v_dual_ashrrev_i32 v13, 31, v12 :: v_dual_bitop2_b32 v3, 4, v7 bitop3:0x14
	s_delay_alu instid0(VALU_DEP_2) | instskip(NEXT) | instid1(VALU_DEP_2)
	v_dual_cndmask_b32 v5, v7, v5, s0 :: v_dual_bitop2_b32 v26, v20, v10 bitop3:0x54
	v_cmp_gt_i32_e64 s0, 32, v3
	s_delay_alu instid0(VALU_DEP_1) | instskip(SKIP_1) | instid1(VALU_DEP_1)
	v_dual_lshlrev_b32 v21, 2, v5 :: v_dual_cndmask_b32 v3, v7, v3, s0
	v_cmp_gt_i32_e64 s0, 32, v4
	v_dual_cndmask_b32 v4, v7, v4, s0 :: v_dual_bitop2_b32 v5, 1, v7 bitop3:0x14
	v_cmp_gt_u32_e64 s0, s7, v0
	s_delay_alu instid0(VALU_DEP_2)
	v_lshlrev_b32_e32 v23, 2, v4
	s_and_b32 s4, vcc_lo, s0
	v_cmp_gt_i32_e32 vcc_lo, 32, v5
	s_cmp_lg_u32 s12, 0
	v_lshlrev_b32_e32 v22, 2, v3
	s_cselect_b32 s18, -1, 0
	s_abs_i32 s19, s7
	v_cndmask_b32_e32 v3, v7, v5, vcc_lo
	v_mul_lo_u32 v4, s6, v0
	s_cvt_f32_u32 s0, s19
	v_mov_b32_e32 v5, 0
	s_mov_b32 s12, s6
	v_lshlrev_b32_e32 v24, 2, v3
	v_rcp_iflag_f32_e32 v3, s0
	s_ashr_i32 s1, s7, 31
	s_mov_b32 s0, s7
	s_wait_kmcnt 0x0
	s_delay_alu instid0(VALU_DEP_3) | instskip(SKIP_1) | instid1(TRANS32_DEP_1)
	v_lshl_add_u64 v[8:9], v[4:5], 3, s[14:15]
	v_dual_lshlrev_b32 v4, 3, v1 :: v_dual_bitop2_b32 v1, 16, v7 bitop3:0x14
	v_readfirstlane_b32 s6, v3
	v_lshl_add_u64 v[12:13], v[12:13], 3, s[14:15]
	s_sub_co_i32 s14, 0, s19
	v_add_nc_u64_e32 v[8:9], v[8:9], v[4:5]
	v_cmp_gt_i32_e32 vcc_lo, 32, v1
	s_mul_f32 s6, s6, 0x4f7ffffe
	v_dual_mov_b32 v11, v5 :: v_dual_cndmask_b32 v3, v7, v1, vcc_lo
	s_delay_alu instid0(SALU_CYCLE_2) | instskip(NEXT) | instid1(VALU_DEP_1)
	s_cvt_u32_f32 s6, s6
	v_add_nc_u64_e32 v[10:11], v[12:13], v[10:11]
	v_mov_b64_e32 v[12:13], 0
	s_delay_alu instid0(VALU_DEP_3)
	v_dual_mov_b32 v1, v5 :: v_dual_lshlrev_b32 v27, 2, v3
	s_mul_i32 s14, s14, s6
	v_mov_b32_e32 v3, 0
	s_mul_hi_u32 s20, s6, s14
	s_mul_u64 s[14:15], s[0:1], s[12:13]
	s_add_co_i32 s12, s6, s20
	s_mov_b32 s6, s13
	s_branch .LBB128_10
.LBB128_8:                              ;   in Loop: Header=BB128_10 Depth=1
	s_wait_xcnt 0x0
	s_or_b32 exec_lo, exec_lo, s20
	v_mov_b32_e32 v4, 1
.LBB128_9:                              ;   in Loop: Header=BB128_10 Depth=1
	s_or_b32 exec_lo, exec_lo, s0
	ds_bpermute_b32 v3, v27, v30
	s_wait_storecnt_dscnt 0x0
	v_add_nc_u32_e32 v2, v4, v2
	v_min_i32_e32 v3, v3, v30
	ds_bpermute_b32 v7, v21, v3
	s_wait_dscnt 0x0
	v_min_i32_e32 v3, v7, v3
	ds_bpermute_b32 v7, v22, v3
	s_wait_dscnt 0x0
	;; [unrolled: 3-line block ×5, first 2 shown]
	v_cmp_le_i32_e32 vcc_lo, s5, v3
	s_or_b32 s6, vcc_lo, s6
	s_delay_alu instid0(SALU_CYCLE_1)
	s_and_not1_b32 exec_lo, exec_lo, s6
	s_cbranch_execz .LBB128_24
.LBB128_10:                             ; =>This Loop Header: Depth=1
                                        ;     Child Loop BB128_13 Depth 2
	v_dual_add_nc_u32 v16, v6, v0 :: v_dual_mov_b32 v30, s5
	v_mov_b32_e32 v31, v19
	s_mov_b32 s20, exec_lo
	ds_store_b8 v18, v5 offset:2048
	ds_store_b64 v26, v[12:13]
	s_wait_dscnt 0x0
	v_cmpx_lt_i32_e64 v16, v19
	s_cbranch_execz .LBB128_18
; %bb.11:                               ;   in Loop: Header=BB128_10 Depth=1
	v_dual_mov_b32 v30, s5 :: v_dual_ashrrev_i32 v7, 31, v6
	v_mul_lo_u32 v17, v3, s7
	v_mov_b32_e32 v31, v19
	s_mov_b32 s21, 0
	s_delay_alu instid0(VALU_DEP_3) | instskip(NEXT) | instid1(VALU_DEP_1)
	v_add_nc_u64_e32 v[14:15], v[0:1], v[6:7]
	v_lshl_add_u64 v[6:7], v[14:15], 2, s[10:11]
	v_lshl_add_u64 v[14:15], v[14:15], 3, s[8:9]
	s_branch .LBB128_13
.LBB128_12:                             ;   in Loop: Header=BB128_13 Depth=2
	s_wait_xcnt 0x0
	s_or_b32 exec_lo, exec_lo, s0
	v_add_nc_u32_e32 v16, 16, v16
	s_xor_b32 s22, vcc_lo, -1
	v_add_nc_u64_e32 v[6:7], 64, v[6:7]
	v_add_nc_u64_e32 v[14:15], 0x80, v[14:15]
	s_delay_alu instid0(VALU_DEP_3) | instskip(SKIP_1) | instid1(SALU_CYCLE_1)
	v_cmp_ge_i32_e64 s0, v16, v19
	s_or_b32 s0, s22, s0
	s_and_b32 s0, exec_lo, s0
	s_delay_alu instid0(SALU_CYCLE_1) | instskip(NEXT) | instid1(SALU_CYCLE_1)
	s_or_b32 s21, s0, s21
	s_and_not1_b32 exec_lo, exec_lo, s21
	s_cbranch_execz .LBB128_17
.LBB128_13:                             ;   Parent Loop BB128_10 Depth=1
                                        ; =>  This Inner Loop Header: Depth=2
	global_load_b32 v4, v[6:7], off
	s_wait_loadcnt 0x0
	v_subrev_nc_u32_e32 v32, s16, v4
	s_delay_alu instid0(VALU_DEP_1) | instskip(NEXT) | instid1(VALU_DEP_1)
	v_sub_nc_u32_e32 v4, 0, v32
	v_max_i32_e32 v4, v32, v4
	s_delay_alu instid0(VALU_DEP_1) | instskip(NEXT) | instid1(VALU_DEP_1)
	v_mul_u64_e32 v[34:35], s[12:13], v[4:5]
	v_mul_lo_u32 v33, v35, s19
	s_delay_alu instid0(VALU_DEP_1) | instskip(NEXT) | instid1(VALU_DEP_1)
	v_dual_sub_nc_u32 v4, v4, v33 :: v_dual_add_nc_u32 v33, 1, v35
	v_cmp_le_u32_e32 vcc_lo, s19, v4
	s_delay_alu instid0(VALU_DEP_2) | instskip(SKIP_1) | instid1(VALU_DEP_1)
	v_dual_cndmask_b32 v33, v35, v33, vcc_lo :: v_dual_ashrrev_i32 v35, 31, v32
	v_subrev_nc_u32_e32 v34, s19, v4
	v_dual_cndmask_b32 v4, v4, v34, vcc_lo :: v_dual_add_nc_u32 v34, 1, v33
	s_delay_alu instid0(VALU_DEP_1) | instskip(NEXT) | instid1(VALU_DEP_2)
	v_cmp_le_u32_e32 vcc_lo, s19, v4
	v_dual_cndmask_b32 v4, v33, v34, vcc_lo :: v_dual_bitop2_b32 v35, s1, v35 bitop3:0x14
	s_delay_alu instid0(VALU_DEP_1) | instskip(NEXT) | instid1(VALU_DEP_1)
	v_xor_b32_e32 v4, v4, v35
	v_dual_mov_b32 v4, v31 :: v_dual_sub_nc_u32 v33, v4, v35
	s_delay_alu instid0(VALU_DEP_1) | instskip(SKIP_3) | instid1(SALU_CYCLE_1)
	v_cmp_ne_u32_e64 s0, v33, v3
	v_cmp_eq_u32_e32 vcc_lo, v33, v3
	s_wait_xcnt 0x0
	s_and_saveexec_b32 s22, s0
	s_xor_b32 s0, exec_lo, s22
; %bb.14:                               ;   in Loop: Header=BB128_13 Depth=2
	v_min_i32_e32 v30, v33, v30
                                        ; implicit-def: $vgpr32
                                        ; implicit-def: $vgpr4
; %bb.15:                               ;   in Loop: Header=BB128_13 Depth=2
	s_or_saveexec_b32 s0, s0
	v_mov_b32_e32 v31, v16
	s_xor_b32 exec_lo, exec_lo, s0
	s_cbranch_execz .LBB128_12
; %bb.16:                               ;   in Loop: Header=BB128_13 Depth=2
	global_load_b64 v[34:35], v[14:15], off
	v_sub_nc_u32_e32 v31, v32, v17
	s_delay_alu instid0(VALU_DEP_1)
	v_lshl_add_u32 v32, v31, 3, v20
	v_mov_b32_e32 v31, v4
	ds_store_b8 v18, v29 offset:2048
	s_wait_loadcnt 0x0
	ds_store_b64 v32, v[34:35]
	s_branch .LBB128_12
.LBB128_17:                             ;   in Loop: Header=BB128_10 Depth=1
	s_or_b32 exec_lo, exec_lo, s21
.LBB128_18:                             ;   in Loop: Header=BB128_10 Depth=1
	s_delay_alu instid0(SALU_CYCLE_1)
	s_or_b32 exec_lo, exec_lo, s20
	ds_bpermute_b32 v4, v21, v31
	s_wait_dscnt 0x0
	ds_load_u8 v7, v18 offset:2048
	v_min_i32_e32 v4, v4, v31
	ds_bpermute_b32 v6, v22, v4
	s_wait_dscnt 0x0
	v_min_i32_e32 v4, v6, v4
	ds_bpermute_b32 v6, v23, v4
	s_wait_dscnt 0x0
	;; [unrolled: 3-line block ×3, first 2 shown]
	v_min_i32_e32 v4, v6, v4
	ds_bpermute_b32 v6, v25, v4
	v_and_b32_e32 v4, 1, v7
	s_delay_alu instid0(VALU_DEP_1)
	v_cmp_eq_u32_e32 vcc_lo, 1, v4
	v_mov_b32_e32 v4, 0
	s_and_saveexec_b32 s0, vcc_lo
	s_cbranch_execz .LBB128_9
; %bb.19:                               ;   in Loop: Header=BB128_10 Depth=1
	v_add_nc_u32_e32 v3, s17, v3
	global_store_b32 v2, v3, s[2:3] scale_offset
	s_wait_xcnt 0x0
	s_and_saveexec_b32 s20, s4
	s_cbranch_execz .LBB128_8
; %bb.20:                               ;   in Loop: Header=BB128_10 Depth=1
	v_ashrrev_i32_e32 v3, 31, v2
	ds_load_b64 v[16:17], v26
	s_and_b32 vcc_lo, exec_lo, s18
	v_mul_u64_e32 v[14:15], s[14:15], v[2:3]
	s_cbranch_vccz .LBB128_22
; %bb.21:                               ;   in Loop: Header=BB128_10 Depth=1
	s_delay_alu instid0(VALU_DEP_1)
	v_lshl_add_u64 v[32:33], v[14:15], 3, v[8:9]
	s_wait_dscnt 0x0
	global_store_b64 v[32:33], v[16:17], off
	s_cbranch_execnz .LBB128_8
	s_branch .LBB128_23
.LBB128_22:                             ;   in Loop: Header=BB128_10 Depth=1
.LBB128_23:                             ;   in Loop: Header=BB128_10 Depth=1
	s_delay_alu instid0(VALU_DEP_1)
	v_lshl_add_u64 v[14:15], v[14:15], 3, v[10:11]
	s_wait_dscnt 0x0
	global_store_b64 v[14:15], v[16:17], off
	s_branch .LBB128_8
.LBB128_24:
	s_endpgm
	.section	.rodata,"a",@progbits
	.p2align	6, 0x0
	.amdhsa_kernel _ZN9rocsparseL44csr2gebsr_wavefront_per_row_multipass_kernelILi256ELi2ELi16ELi32E21rocsparse_complex_numIfEEEv20rocsparse_direction_iiiiii21rocsparse_index_base_PKT3_PKiS9_S4_PS5_PiSB_
		.amdhsa_group_segment_fixed_size 2056
		.amdhsa_private_segment_fixed_size 0
		.amdhsa_kernarg_size 88
		.amdhsa_user_sgpr_count 2
		.amdhsa_user_sgpr_dispatch_ptr 0
		.amdhsa_user_sgpr_queue_ptr 0
		.amdhsa_user_sgpr_kernarg_segment_ptr 1
		.amdhsa_user_sgpr_dispatch_id 0
		.amdhsa_user_sgpr_kernarg_preload_length 0
		.amdhsa_user_sgpr_kernarg_preload_offset 0
		.amdhsa_user_sgpr_private_segment_size 0
		.amdhsa_wavefront_size32 1
		.amdhsa_uses_dynamic_stack 0
		.amdhsa_enable_private_segment 0
		.amdhsa_system_sgpr_workgroup_id_x 1
		.amdhsa_system_sgpr_workgroup_id_y 0
		.amdhsa_system_sgpr_workgroup_id_z 0
		.amdhsa_system_sgpr_workgroup_info 0
		.amdhsa_system_vgpr_workitem_id 0
		.amdhsa_next_free_vgpr 36
		.amdhsa_next_free_sgpr 23
		.amdhsa_named_barrier_count 0
		.amdhsa_reserve_vcc 1
		.amdhsa_float_round_mode_32 0
		.amdhsa_float_round_mode_16_64 0
		.amdhsa_float_denorm_mode_32 3
		.amdhsa_float_denorm_mode_16_64 3
		.amdhsa_fp16_overflow 0
		.amdhsa_memory_ordered 1
		.amdhsa_forward_progress 1
		.amdhsa_inst_pref_size 12
		.amdhsa_round_robin_scheduling 0
		.amdhsa_exception_fp_ieee_invalid_op 0
		.amdhsa_exception_fp_denorm_src 0
		.amdhsa_exception_fp_ieee_div_zero 0
		.amdhsa_exception_fp_ieee_overflow 0
		.amdhsa_exception_fp_ieee_underflow 0
		.amdhsa_exception_fp_ieee_inexact 0
		.amdhsa_exception_int_div_zero 0
	.end_amdhsa_kernel
	.section	.text._ZN9rocsparseL44csr2gebsr_wavefront_per_row_multipass_kernelILi256ELi2ELi16ELi32E21rocsparse_complex_numIfEEEv20rocsparse_direction_iiiiii21rocsparse_index_base_PKT3_PKiS9_S4_PS5_PiSB_,"axG",@progbits,_ZN9rocsparseL44csr2gebsr_wavefront_per_row_multipass_kernelILi256ELi2ELi16ELi32E21rocsparse_complex_numIfEEEv20rocsparse_direction_iiiiii21rocsparse_index_base_PKT3_PKiS9_S4_PS5_PiSB_,comdat
.Lfunc_end128:
	.size	_ZN9rocsparseL44csr2gebsr_wavefront_per_row_multipass_kernelILi256ELi2ELi16ELi32E21rocsparse_complex_numIfEEEv20rocsparse_direction_iiiiii21rocsparse_index_base_PKT3_PKiS9_S4_PS5_PiSB_, .Lfunc_end128-_ZN9rocsparseL44csr2gebsr_wavefront_per_row_multipass_kernelILi256ELi2ELi16ELi32E21rocsparse_complex_numIfEEEv20rocsparse_direction_iiiiii21rocsparse_index_base_PKT3_PKiS9_S4_PS5_PiSB_
                                        ; -- End function
	.set _ZN9rocsparseL44csr2gebsr_wavefront_per_row_multipass_kernelILi256ELi2ELi16ELi32E21rocsparse_complex_numIfEEEv20rocsparse_direction_iiiiii21rocsparse_index_base_PKT3_PKiS9_S4_PS5_PiSB_.num_vgpr, 36
	.set _ZN9rocsparseL44csr2gebsr_wavefront_per_row_multipass_kernelILi256ELi2ELi16ELi32E21rocsparse_complex_numIfEEEv20rocsparse_direction_iiiiii21rocsparse_index_base_PKT3_PKiS9_S4_PS5_PiSB_.num_agpr, 0
	.set _ZN9rocsparseL44csr2gebsr_wavefront_per_row_multipass_kernelILi256ELi2ELi16ELi32E21rocsparse_complex_numIfEEEv20rocsparse_direction_iiiiii21rocsparse_index_base_PKT3_PKiS9_S4_PS5_PiSB_.numbered_sgpr, 23
	.set _ZN9rocsparseL44csr2gebsr_wavefront_per_row_multipass_kernelILi256ELi2ELi16ELi32E21rocsparse_complex_numIfEEEv20rocsparse_direction_iiiiii21rocsparse_index_base_PKT3_PKiS9_S4_PS5_PiSB_.num_named_barrier, 0
	.set _ZN9rocsparseL44csr2gebsr_wavefront_per_row_multipass_kernelILi256ELi2ELi16ELi32E21rocsparse_complex_numIfEEEv20rocsparse_direction_iiiiii21rocsparse_index_base_PKT3_PKiS9_S4_PS5_PiSB_.private_seg_size, 0
	.set _ZN9rocsparseL44csr2gebsr_wavefront_per_row_multipass_kernelILi256ELi2ELi16ELi32E21rocsparse_complex_numIfEEEv20rocsparse_direction_iiiiii21rocsparse_index_base_PKT3_PKiS9_S4_PS5_PiSB_.uses_vcc, 1
	.set _ZN9rocsparseL44csr2gebsr_wavefront_per_row_multipass_kernelILi256ELi2ELi16ELi32E21rocsparse_complex_numIfEEEv20rocsparse_direction_iiiiii21rocsparse_index_base_PKT3_PKiS9_S4_PS5_PiSB_.uses_flat_scratch, 0
	.set _ZN9rocsparseL44csr2gebsr_wavefront_per_row_multipass_kernelILi256ELi2ELi16ELi32E21rocsparse_complex_numIfEEEv20rocsparse_direction_iiiiii21rocsparse_index_base_PKT3_PKiS9_S4_PS5_PiSB_.has_dyn_sized_stack, 0
	.set _ZN9rocsparseL44csr2gebsr_wavefront_per_row_multipass_kernelILi256ELi2ELi16ELi32E21rocsparse_complex_numIfEEEv20rocsparse_direction_iiiiii21rocsparse_index_base_PKT3_PKiS9_S4_PS5_PiSB_.has_recursion, 0
	.set _ZN9rocsparseL44csr2gebsr_wavefront_per_row_multipass_kernelILi256ELi2ELi16ELi32E21rocsparse_complex_numIfEEEv20rocsparse_direction_iiiiii21rocsparse_index_base_PKT3_PKiS9_S4_PS5_PiSB_.has_indirect_call, 0
	.section	.AMDGPU.csdata,"",@progbits
; Kernel info:
; codeLenInByte = 1472
; TotalNumSgprs: 25
; NumVgprs: 36
; ScratchSize: 0
; MemoryBound: 0
; FloatMode: 240
; IeeeMode: 1
; LDSByteSize: 2056 bytes/workgroup (compile time only)
; SGPRBlocks: 0
; VGPRBlocks: 2
; NumSGPRsForWavesPerEU: 25
; NumVGPRsForWavesPerEU: 36
; NamedBarCnt: 0
; Occupancy: 16
; WaveLimiterHint : 0
; COMPUTE_PGM_RSRC2:SCRATCH_EN: 0
; COMPUTE_PGM_RSRC2:USER_SGPR: 2
; COMPUTE_PGM_RSRC2:TRAP_HANDLER: 0
; COMPUTE_PGM_RSRC2:TGID_X_EN: 1
; COMPUTE_PGM_RSRC2:TGID_Y_EN: 0
; COMPUTE_PGM_RSRC2:TGID_Z_EN: 0
; COMPUTE_PGM_RSRC2:TIDIG_COMP_CNT: 0
	.section	.text._ZN9rocsparseL44csr2gebsr_wavefront_per_row_multipass_kernelILi256ELi2ELi32ELi64E21rocsparse_complex_numIfEEEv20rocsparse_direction_iiiiii21rocsparse_index_base_PKT3_PKiS9_S4_PS5_PiSB_,"axG",@progbits,_ZN9rocsparseL44csr2gebsr_wavefront_per_row_multipass_kernelILi256ELi2ELi32ELi64E21rocsparse_complex_numIfEEEv20rocsparse_direction_iiiiii21rocsparse_index_base_PKT3_PKiS9_S4_PS5_PiSB_,comdat
	.globl	_ZN9rocsparseL44csr2gebsr_wavefront_per_row_multipass_kernelILi256ELi2ELi32ELi64E21rocsparse_complex_numIfEEEv20rocsparse_direction_iiiiii21rocsparse_index_base_PKT3_PKiS9_S4_PS5_PiSB_ ; -- Begin function _ZN9rocsparseL44csr2gebsr_wavefront_per_row_multipass_kernelILi256ELi2ELi32ELi64E21rocsparse_complex_numIfEEEv20rocsparse_direction_iiiiii21rocsparse_index_base_PKT3_PKiS9_S4_PS5_PiSB_
	.p2align	8
	.type	_ZN9rocsparseL44csr2gebsr_wavefront_per_row_multipass_kernelILi256ELi2ELi32ELi64E21rocsparse_complex_numIfEEEv20rocsparse_direction_iiiiii21rocsparse_index_base_PKT3_PKiS9_S4_PS5_PiSB_,@function
_ZN9rocsparseL44csr2gebsr_wavefront_per_row_multipass_kernelILi256ELi2ELi32ELi64E21rocsparse_complex_numIfEEEv20rocsparse_direction_iiiiii21rocsparse_index_base_PKT3_PKiS9_S4_PS5_PiSB_: ; @_ZN9rocsparseL44csr2gebsr_wavefront_per_row_multipass_kernelILi256ELi2ELi32ELi64E21rocsparse_complex_numIfEEEv20rocsparse_direction_iiiiii21rocsparse_index_base_PKT3_PKiS9_S4_PS5_PiSB_
; %bb.0:
	s_clause 0x1
	s_load_b128 s[4:7], s[0:1], 0xc
	s_load_b64 s[12:13], s[0:1], 0x0
	s_bfe_u32 s2, ttmp6, 0x4000c
	s_and_b32 s3, ttmp6, 15
	s_add_co_i32 s2, s2, 1
	s_getreg_b32 s8, hwreg(HW_REG_IB_STS2, 6, 4)
	s_mul_i32 s2, ttmp9, s2
	v_dual_lshrrev_b32 v18, 6, v0 :: v_dual_mov_b32 v2, 0
	s_add_co_i32 s3, s3, s2
	s_cmp_eq_u32 s8, 0
	v_bfe_u32 v3, v0, 5, 1
	s_cselect_b32 s2, ttmp9, s3
	s_clause 0x1
	s_load_b32 s16, s[0:1], 0x1c
	s_load_b64 s[8:9], s[0:1], 0x28
	v_lshl_or_b32 v1, s2, 2, v18
	v_mov_b32_e32 v6, 0
	s_wait_kmcnt 0x0
	s_delay_alu instid0(VALU_DEP_2) | instskip(SKIP_1) | instid1(VALU_DEP_2)
	v_mad_u32 v4, v1, s6, v3
	v_cmp_gt_i32_e32 vcc_lo, s6, v3
	v_cmp_gt_i32_e64 s2, s13, v4
	s_and_b32 s2, vcc_lo, s2
	s_delay_alu instid0(SALU_CYCLE_1)
	s_and_saveexec_b32 s3, s2
	s_cbranch_execz .LBB129_2
; %bb.1:
	global_load_b32 v5, v4, s[8:9] scale_offset
	s_wait_loadcnt 0x0
	v_subrev_nc_u32_e32 v6, s16, v5
.LBB129_2:
	s_or_b32 exec_lo, exec_lo, s3
	v_mov_b32_e32 v19, 0
	s_and_saveexec_b32 s3, s2
	s_cbranch_execz .LBB129_4
; %bb.3:
	global_load_b32 v4, v4, s[8:9] offset:4 scale_offset
	s_wait_loadcnt 0x0
	v_subrev_nc_u32_e32 v19, s16, v4
.LBB129_4:
	s_or_b32 exec_lo, exec_lo, s3
	s_load_b32 s17, s[0:1], 0x38
	s_mov_b32 s3, exec_lo
	v_cmpx_gt_i32_e64 s4, v1
	s_cbranch_execz .LBB129_6
; %bb.5:
	s_load_b64 s[8:9], s[0:1], 0x48
	s_wait_kmcnt 0x0
	global_load_b32 v1, v1, s[8:9] scale_offset
	s_wait_loadcnt 0x0
	v_subrev_nc_u32_e32 v2, s17, v1
.LBB129_6:
	s_or_b32 exec_lo, exec_lo, s3
	s_cmp_lt_i32 s5, 1
	s_cbranch_scc1 .LBB129_24
; %bb.7:
	v_mbcnt_lo_u32_b32 v5, -1, 0
	s_clause 0x3
	s_load_b64 s[2:3], s[0:1], 0x50
	s_load_b64 s[14:15], s[0:1], 0x40
	s_load_b64 s[8:9], s[0:1], 0x20
	s_load_b64 s[10:11], s[0:1], 0x30
	v_mul_lo_u32 v12, s7, v3
	v_mov_b32_e32 v26, 0x7c
	v_bfrev_b32_e32 v29, 0.5
	v_dual_lshlrev_b32 v7, 8, v3 :: v_dual_bitop2_b32 v1, 16, v5 bitop3:0x14
	s_mov_b32 s13, 0
	v_mov_b32_e32 v30, 1
	s_wait_xcnt 0x0
	s_delay_alu instid0(VALU_DEP_2) | instskip(SKIP_2) | instid1(VALU_DEP_3)
	v_cmp_gt_i32_e64 s0, 32, v1
	v_and_b32_e32 v4, 31, v0
	v_and_b32_e32 v0, 0xc0, v0
	v_dual_ashrrev_i32 v13, 31, v12 :: v_dual_cndmask_b32 v1, v5, v1, s0
	s_delay_alu instid0(VALU_DEP_2) | instskip(SKIP_2) | instid1(VALU_DEP_4)
	v_lshl_or_b32 v20, v0, 3, v7
	v_xor_b32_e32 v0, 4, v5
	v_xor_b32_e32 v8, 8, v5
	v_lshlrev_b32_e32 v21, 2, v1
	s_delay_alu instid0(VALU_DEP_2) | instskip(NEXT) | instid1(VALU_DEP_1)
	v_cmp_gt_i32_e64 s0, 32, v8
	v_dual_cndmask_b32 v7, v5, v8, s0 :: v_dual_bitop2_b32 v1, 2, v5 bitop3:0x14
	v_cmp_gt_i32_e64 s0, 32, v0
	s_delay_alu instid0(VALU_DEP_1) | instskip(NEXT) | instid1(VALU_DEP_3)
	v_dual_lshlrev_b32 v22, 2, v7 :: v_dual_cndmask_b32 v0, v5, v0, s0
	v_cmp_gt_i32_e64 s0, 32, v1
	s_delay_alu instid0(VALU_DEP_2) | instskip(NEXT) | instid1(VALU_DEP_2)
	v_dual_lshlrev_b32 v23, 2, v0 :: v_dual_bitop2_b32 v7, 1, v5 bitop3:0x14
	v_cndmask_b32_e64 v1, v5, v1, s0
	v_cmp_gt_u32_e64 s0, s7, v4
	v_mul_lo_u32 v0, s6, v4
	s_and_b32 s4, vcc_lo, s0
	v_cmp_gt_i32_e32 vcc_lo, 32, v7
	s_cmp_lg_u32 s12, 0
	v_lshlrev_b32_e32 v24, 2, v1
	s_cselect_b32 s18, -1, 0
	s_abs_i32 s19, s7
	v_cndmask_b32_e32 v1, v5, v7, vcc_lo
	s_cvt_f32_u32 s0, s19
	v_lshlrev_b32_e32 v10, 3, v4
	s_mov_b32 s12, s6
	s_ashr_i32 s1, s7, 31
	v_rcp_iflag_f32_e32 v7, s0
	v_dual_lshlrev_b32 v25, 2, v1 :: v_dual_mov_b32 v1, 0
	v_or_b32_e32 v27, v20, v10
	s_mov_b32 s0, s7
	s_wait_kmcnt 0x0
	s_delay_alu instid0(VALU_DEP_2) | instskip(SKIP_4) | instid1(VALU_DEP_4)
	v_lshl_add_u64 v[8:9], v[0:1], 3, s[14:15]
	v_dual_lshlrev_b32 v0, 3, v3 :: v_dual_bitop2_b32 v3, 32, v5 bitop3:0x54
	v_readfirstlane_b32 s6, v7
	v_lshl_add_u64 v[12:13], v[12:13], 3, s[14:15]
	v_mov_b32_e32 v11, v1
	v_add_nc_u64_e32 v[8:9], v[8:9], v[0:1]
	v_cmp_gt_i32_e32 vcc_lo, 32, v3
	s_mul_f32 s6, s6, 0x4f7ffffe
	s_sub_co_i32 s14, 0, s19
	v_cndmask_b32_e32 v0, v5, v3, vcc_lo
	s_delay_alu instid0(SALU_CYCLE_1)
	s_cvt_u32_f32 s6, s6
	v_mov_b32_e32 v5, v1
	v_add_nc_u64_e32 v[10:11], v[12:13], v[10:11]
	v_mov_b64_e32 v[12:13], 0
	s_mul_i32 s14, s14, s6
	v_dual_mov_b32 v3, 0 :: v_dual_lshlrev_b32 v28, 2, v0
	s_mul_hi_u32 s20, s6, s14
	s_mul_u64 s[14:15], s[0:1], s[12:13]
	s_add_co_i32 s12, s6, s20
	s_mov_b32 s6, s13
	s_branch .LBB129_10
.LBB129_8:                              ;   in Loop: Header=BB129_10 Depth=1
	s_wait_xcnt 0x0
	s_or_b32 exec_lo, exec_lo, s20
	v_mov_b32_e32 v0, 1
.LBB129_9:                              ;   in Loop: Header=BB129_10 Depth=1
	s_or_b32 exec_lo, exec_lo, s0
	ds_bpermute_b32 v3, v28, v31
	s_wait_storecnt_dscnt 0x0
	v_dual_add_nc_u32 v2, v0, v2 :: v_dual_min_i32 v3, v3, v31
	ds_bpermute_b32 v7, v21, v3
	s_wait_dscnt 0x0
	v_min_i32_e32 v3, v7, v3
	ds_bpermute_b32 v7, v22, v3
	s_wait_dscnt 0x0
	v_min_i32_e32 v3, v7, v3
	;; [unrolled: 3-line block ×5, first 2 shown]
	ds_bpermute_b32 v3, v29, v3
	s_wait_dscnt 0x0
	v_cmp_le_i32_e32 vcc_lo, s5, v3
	s_or_b32 s6, vcc_lo, s6
	s_delay_alu instid0(SALU_CYCLE_1)
	s_and_not1_b32 exec_lo, exec_lo, s6
	s_cbranch_execz .LBB129_24
.LBB129_10:                             ; =>This Loop Header: Depth=1
                                        ;     Child Loop BB129_13 Depth 2
	v_dual_mov_b32 v31, s5 :: v_dual_add_nc_u32 v16, v6, v4
	v_mov_b32_e32 v32, v19
	s_mov_b32 s20, exec_lo
	ds_store_b8 v18, v1 offset:2048
	ds_store_b64 v27, v[12:13]
	s_wait_dscnt 0x0
	v_cmpx_lt_i32_e64 v16, v19
	s_cbranch_execz .LBB129_18
; %bb.11:                               ;   in Loop: Header=BB129_10 Depth=1
	v_dual_ashrrev_i32 v7, 31, v6 :: v_dual_mov_b32 v31, s5
	v_mul_lo_u32 v17, v3, s7
	v_mov_b32_e32 v32, v19
	s_mov_b32 s21, 0
	s_delay_alu instid0(VALU_DEP_3) | instskip(NEXT) | instid1(VALU_DEP_1)
	v_add_nc_u64_e32 v[14:15], v[4:5], v[6:7]
	v_lshl_add_u64 v[6:7], v[14:15], 2, s[10:11]
	v_lshl_add_u64 v[14:15], v[14:15], 3, s[8:9]
	s_branch .LBB129_13
.LBB129_12:                             ;   in Loop: Header=BB129_13 Depth=2
	s_wait_xcnt 0x0
	s_or_b32 exec_lo, exec_lo, s0
	v_add_nc_u32_e32 v16, 32, v16
	s_xor_b32 s22, vcc_lo, -1
	v_add_nc_u64_e32 v[6:7], 0x80, v[6:7]
	v_add_nc_u64_e32 v[14:15], 0x100, v[14:15]
	s_delay_alu instid0(VALU_DEP_3) | instskip(SKIP_1) | instid1(SALU_CYCLE_1)
	v_cmp_ge_i32_e64 s0, v16, v19
	s_or_b32 s0, s22, s0
	s_and_b32 s0, exec_lo, s0
	s_delay_alu instid0(SALU_CYCLE_1) | instskip(NEXT) | instid1(SALU_CYCLE_1)
	s_or_b32 s21, s0, s21
	s_and_not1_b32 exec_lo, exec_lo, s21
	s_cbranch_execz .LBB129_17
.LBB129_13:                             ;   Parent Loop BB129_10 Depth=1
                                        ; =>  This Inner Loop Header: Depth=2
	global_load_b32 v0, v[6:7], off
	s_wait_loadcnt 0x0
	v_subrev_nc_u32_e32 v33, s16, v0
	s_delay_alu instid0(VALU_DEP_1) | instskip(NEXT) | instid1(VALU_DEP_1)
	v_sub_nc_u32_e32 v0, 0, v33
	v_max_i32_e32 v0, v33, v0
	s_delay_alu instid0(VALU_DEP_1) | instskip(NEXT) | instid1(VALU_DEP_1)
	v_mul_u64_e32 v[34:35], s[12:13], v[0:1]
	v_mul_lo_u32 v34, v35, s19
	s_delay_alu instid0(VALU_DEP_1) | instskip(NEXT) | instid1(VALU_DEP_1)
	v_dual_sub_nc_u32 v0, v0, v34 :: v_dual_add_nc_u32 v34, 1, v35
	v_cmp_le_u32_e32 vcc_lo, s19, v0
	s_delay_alu instid0(VALU_DEP_2) | instskip(SKIP_1) | instid1(VALU_DEP_1)
	v_dual_cndmask_b32 v34, v35, v34 :: v_dual_ashrrev_i32 v35, 31, v33
	v_subrev_nc_u32_e32 v36, s19, v0
	v_dual_cndmask_b32 v0, v0, v36, vcc_lo :: v_dual_add_nc_u32 v36, 1, v34
	s_delay_alu instid0(VALU_DEP_1) | instskip(NEXT) | instid1(VALU_DEP_2)
	v_cmp_le_u32_e32 vcc_lo, s19, v0
	v_dual_cndmask_b32 v0, v34, v36, vcc_lo :: v_dual_bitop2_b32 v35, s1, v35 bitop3:0x14
	s_delay_alu instid0(VALU_DEP_1) | instskip(NEXT) | instid1(VALU_DEP_1)
	v_xor_b32_e32 v0, v0, v35
	v_sub_nc_u32_e32 v34, v0, v35
	v_mov_b32_e32 v0, v32
	s_delay_alu instid0(VALU_DEP_2) | instskip(SKIP_3) | instid1(SALU_CYCLE_1)
	v_cmp_ne_u32_e64 s0, v34, v3
	v_cmp_eq_u32_e32 vcc_lo, v34, v3
	s_wait_xcnt 0x0
	s_and_saveexec_b32 s22, s0
	s_xor_b32 s0, exec_lo, s22
; %bb.14:                               ;   in Loop: Header=BB129_13 Depth=2
	v_min_i32_e32 v31, v34, v31
                                        ; implicit-def: $vgpr33
                                        ; implicit-def: $vgpr0
; %bb.15:                               ;   in Loop: Header=BB129_13 Depth=2
	s_or_saveexec_b32 s0, s0
	v_mov_b32_e32 v32, v16
	s_xor_b32 exec_lo, exec_lo, s0
	s_cbranch_execz .LBB129_12
; %bb.16:                               ;   in Loop: Header=BB129_13 Depth=2
	global_load_b64 v[34:35], v[14:15], off
	v_sub_nc_u32_e32 v32, v33, v17
	s_delay_alu instid0(VALU_DEP_1)
	v_lshl_add_u32 v33, v32, 3, v20
	v_mov_b32_e32 v32, v0
	ds_store_b8 v18, v30 offset:2048
	s_wait_loadcnt 0x0
	ds_store_b64 v33, v[34:35]
	s_branch .LBB129_12
.LBB129_17:                             ;   in Loop: Header=BB129_10 Depth=1
	s_or_b32 exec_lo, exec_lo, s21
.LBB129_18:                             ;   in Loop: Header=BB129_10 Depth=1
	s_delay_alu instid0(SALU_CYCLE_1)
	s_or_b32 exec_lo, exec_lo, s20
	ds_bpermute_b32 v0, v21, v32
	s_wait_dscnt 0x0
	ds_load_u8 v7, v18 offset:2048
	v_min_i32_e32 v0, v0, v32
	ds_bpermute_b32 v6, v22, v0
	s_wait_dscnt 0x0
	v_min_i32_e32 v0, v6, v0
	ds_bpermute_b32 v6, v23, v0
	s_wait_dscnt 0x0
	;; [unrolled: 3-line block ×4, first 2 shown]
	v_min_i32_e32 v0, v6, v0
	ds_bpermute_b32 v6, v26, v0
	v_and_b32_e32 v0, 1, v7
	s_delay_alu instid0(VALU_DEP_1)
	v_cmp_eq_u32_e32 vcc_lo, 1, v0
	v_mov_b32_e32 v0, 0
	s_and_saveexec_b32 s0, vcc_lo
	s_cbranch_execz .LBB129_9
; %bb.19:                               ;   in Loop: Header=BB129_10 Depth=1
	v_add_nc_u32_e32 v0, s17, v3
	global_store_b32 v2, v0, s[2:3] scale_offset
	s_wait_xcnt 0x0
	s_and_saveexec_b32 s20, s4
	s_cbranch_execz .LBB129_8
; %bb.20:                               ;   in Loop: Header=BB129_10 Depth=1
	v_ashrrev_i32_e32 v3, 31, v2
	ds_load_b64 v[16:17], v27
	s_and_b32 vcc_lo, exec_lo, s18
	v_mul_u64_e32 v[14:15], s[14:15], v[2:3]
	s_cbranch_vccz .LBB129_22
; %bb.21:                               ;   in Loop: Header=BB129_10 Depth=1
	s_delay_alu instid0(VALU_DEP_1)
	v_lshl_add_u64 v[32:33], v[14:15], 3, v[8:9]
	s_wait_dscnt 0x0
	global_store_b64 v[32:33], v[16:17], off
	s_cbranch_execnz .LBB129_8
	s_branch .LBB129_23
.LBB129_22:                             ;   in Loop: Header=BB129_10 Depth=1
.LBB129_23:                             ;   in Loop: Header=BB129_10 Depth=1
	s_delay_alu instid0(VALU_DEP_1)
	v_lshl_add_u64 v[14:15], v[14:15], 3, v[10:11]
	s_wait_dscnt 0x0
	global_store_b64 v[14:15], v[16:17], off
	s_branch .LBB129_8
.LBB129_24:
	s_endpgm
	.section	.rodata,"a",@progbits
	.p2align	6, 0x0
	.amdhsa_kernel _ZN9rocsparseL44csr2gebsr_wavefront_per_row_multipass_kernelILi256ELi2ELi32ELi64E21rocsparse_complex_numIfEEEv20rocsparse_direction_iiiiii21rocsparse_index_base_PKT3_PKiS9_S4_PS5_PiSB_
		.amdhsa_group_segment_fixed_size 2052
		.amdhsa_private_segment_fixed_size 0
		.amdhsa_kernarg_size 88
		.amdhsa_user_sgpr_count 2
		.amdhsa_user_sgpr_dispatch_ptr 0
		.amdhsa_user_sgpr_queue_ptr 0
		.amdhsa_user_sgpr_kernarg_segment_ptr 1
		.amdhsa_user_sgpr_dispatch_id 0
		.amdhsa_user_sgpr_kernarg_preload_length 0
		.amdhsa_user_sgpr_kernarg_preload_offset 0
		.amdhsa_user_sgpr_private_segment_size 0
		.amdhsa_wavefront_size32 1
		.amdhsa_uses_dynamic_stack 0
		.amdhsa_enable_private_segment 0
		.amdhsa_system_sgpr_workgroup_id_x 1
		.amdhsa_system_sgpr_workgroup_id_y 0
		.amdhsa_system_sgpr_workgroup_id_z 0
		.amdhsa_system_sgpr_workgroup_info 0
		.amdhsa_system_vgpr_workitem_id 0
		.amdhsa_next_free_vgpr 37
		.amdhsa_next_free_sgpr 23
		.amdhsa_named_barrier_count 0
		.amdhsa_reserve_vcc 1
		.amdhsa_float_round_mode_32 0
		.amdhsa_float_round_mode_16_64 0
		.amdhsa_float_denorm_mode_32 3
		.amdhsa_float_denorm_mode_16_64 3
		.amdhsa_fp16_overflow 0
		.amdhsa_memory_ordered 1
		.amdhsa_forward_progress 1
		.amdhsa_inst_pref_size 12
		.amdhsa_round_robin_scheduling 0
		.amdhsa_exception_fp_ieee_invalid_op 0
		.amdhsa_exception_fp_denorm_src 0
		.amdhsa_exception_fp_ieee_div_zero 0
		.amdhsa_exception_fp_ieee_overflow 0
		.amdhsa_exception_fp_ieee_underflow 0
		.amdhsa_exception_fp_ieee_inexact 0
		.amdhsa_exception_int_div_zero 0
	.end_amdhsa_kernel
	.section	.text._ZN9rocsparseL44csr2gebsr_wavefront_per_row_multipass_kernelILi256ELi2ELi32ELi64E21rocsparse_complex_numIfEEEv20rocsparse_direction_iiiiii21rocsparse_index_base_PKT3_PKiS9_S4_PS5_PiSB_,"axG",@progbits,_ZN9rocsparseL44csr2gebsr_wavefront_per_row_multipass_kernelILi256ELi2ELi32ELi64E21rocsparse_complex_numIfEEEv20rocsparse_direction_iiiiii21rocsparse_index_base_PKT3_PKiS9_S4_PS5_PiSB_,comdat
.Lfunc_end129:
	.size	_ZN9rocsparseL44csr2gebsr_wavefront_per_row_multipass_kernelILi256ELi2ELi32ELi64E21rocsparse_complex_numIfEEEv20rocsparse_direction_iiiiii21rocsparse_index_base_PKT3_PKiS9_S4_PS5_PiSB_, .Lfunc_end129-_ZN9rocsparseL44csr2gebsr_wavefront_per_row_multipass_kernelILi256ELi2ELi32ELi64E21rocsparse_complex_numIfEEEv20rocsparse_direction_iiiiii21rocsparse_index_base_PKT3_PKiS9_S4_PS5_PiSB_
                                        ; -- End function
	.set _ZN9rocsparseL44csr2gebsr_wavefront_per_row_multipass_kernelILi256ELi2ELi32ELi64E21rocsparse_complex_numIfEEEv20rocsparse_direction_iiiiii21rocsparse_index_base_PKT3_PKiS9_S4_PS5_PiSB_.num_vgpr, 37
	.set _ZN9rocsparseL44csr2gebsr_wavefront_per_row_multipass_kernelILi256ELi2ELi32ELi64E21rocsparse_complex_numIfEEEv20rocsparse_direction_iiiiii21rocsparse_index_base_PKT3_PKiS9_S4_PS5_PiSB_.num_agpr, 0
	.set _ZN9rocsparseL44csr2gebsr_wavefront_per_row_multipass_kernelILi256ELi2ELi32ELi64E21rocsparse_complex_numIfEEEv20rocsparse_direction_iiiiii21rocsparse_index_base_PKT3_PKiS9_S4_PS5_PiSB_.numbered_sgpr, 23
	.set _ZN9rocsparseL44csr2gebsr_wavefront_per_row_multipass_kernelILi256ELi2ELi32ELi64E21rocsparse_complex_numIfEEEv20rocsparse_direction_iiiiii21rocsparse_index_base_PKT3_PKiS9_S4_PS5_PiSB_.num_named_barrier, 0
	.set _ZN9rocsparseL44csr2gebsr_wavefront_per_row_multipass_kernelILi256ELi2ELi32ELi64E21rocsparse_complex_numIfEEEv20rocsparse_direction_iiiiii21rocsparse_index_base_PKT3_PKiS9_S4_PS5_PiSB_.private_seg_size, 0
	.set _ZN9rocsparseL44csr2gebsr_wavefront_per_row_multipass_kernelILi256ELi2ELi32ELi64E21rocsparse_complex_numIfEEEv20rocsparse_direction_iiiiii21rocsparse_index_base_PKT3_PKiS9_S4_PS5_PiSB_.uses_vcc, 1
	.set _ZN9rocsparseL44csr2gebsr_wavefront_per_row_multipass_kernelILi256ELi2ELi32ELi64E21rocsparse_complex_numIfEEEv20rocsparse_direction_iiiiii21rocsparse_index_base_PKT3_PKiS9_S4_PS5_PiSB_.uses_flat_scratch, 0
	.set _ZN9rocsparseL44csr2gebsr_wavefront_per_row_multipass_kernelILi256ELi2ELi32ELi64E21rocsparse_complex_numIfEEEv20rocsparse_direction_iiiiii21rocsparse_index_base_PKT3_PKiS9_S4_PS5_PiSB_.has_dyn_sized_stack, 0
	.set _ZN9rocsparseL44csr2gebsr_wavefront_per_row_multipass_kernelILi256ELi2ELi32ELi64E21rocsparse_complex_numIfEEEv20rocsparse_direction_iiiiii21rocsparse_index_base_PKT3_PKiS9_S4_PS5_PiSB_.has_recursion, 0
	.set _ZN9rocsparseL44csr2gebsr_wavefront_per_row_multipass_kernelILi256ELi2ELi32ELi64E21rocsparse_complex_numIfEEEv20rocsparse_direction_iiiiii21rocsparse_index_base_PKT3_PKiS9_S4_PS5_PiSB_.has_indirect_call, 0
	.section	.AMDGPU.csdata,"",@progbits
; Kernel info:
; codeLenInByte = 1528
; TotalNumSgprs: 25
; NumVgprs: 37
; ScratchSize: 0
; MemoryBound: 0
; FloatMode: 240
; IeeeMode: 1
; LDSByteSize: 2052 bytes/workgroup (compile time only)
; SGPRBlocks: 0
; VGPRBlocks: 2
; NumSGPRsForWavesPerEU: 25
; NumVGPRsForWavesPerEU: 37
; NamedBarCnt: 0
; Occupancy: 16
; WaveLimiterHint : 0
; COMPUTE_PGM_RSRC2:SCRATCH_EN: 0
; COMPUTE_PGM_RSRC2:USER_SGPR: 2
; COMPUTE_PGM_RSRC2:TRAP_HANDLER: 0
; COMPUTE_PGM_RSRC2:TGID_X_EN: 1
; COMPUTE_PGM_RSRC2:TGID_Y_EN: 0
; COMPUTE_PGM_RSRC2:TGID_Z_EN: 0
; COMPUTE_PGM_RSRC2:TIDIG_COMP_CNT: 0
	.section	.text._ZN9rocsparseL44csr2gebsr_wavefront_per_row_multipass_kernelILi256ELi2ELi32ELi32E21rocsparse_complex_numIfEEEv20rocsparse_direction_iiiiii21rocsparse_index_base_PKT3_PKiS9_S4_PS5_PiSB_,"axG",@progbits,_ZN9rocsparseL44csr2gebsr_wavefront_per_row_multipass_kernelILi256ELi2ELi32ELi32E21rocsparse_complex_numIfEEEv20rocsparse_direction_iiiiii21rocsparse_index_base_PKT3_PKiS9_S4_PS5_PiSB_,comdat
	.globl	_ZN9rocsparseL44csr2gebsr_wavefront_per_row_multipass_kernelILi256ELi2ELi32ELi32E21rocsparse_complex_numIfEEEv20rocsparse_direction_iiiiii21rocsparse_index_base_PKT3_PKiS9_S4_PS5_PiSB_ ; -- Begin function _ZN9rocsparseL44csr2gebsr_wavefront_per_row_multipass_kernelILi256ELi2ELi32ELi32E21rocsparse_complex_numIfEEEv20rocsparse_direction_iiiiii21rocsparse_index_base_PKT3_PKiS9_S4_PS5_PiSB_
	.p2align	8
	.type	_ZN9rocsparseL44csr2gebsr_wavefront_per_row_multipass_kernelILi256ELi2ELi32ELi32E21rocsparse_complex_numIfEEEv20rocsparse_direction_iiiiii21rocsparse_index_base_PKT3_PKiS9_S4_PS5_PiSB_,@function
_ZN9rocsparseL44csr2gebsr_wavefront_per_row_multipass_kernelILi256ELi2ELi32ELi32E21rocsparse_complex_numIfEEEv20rocsparse_direction_iiiiii21rocsparse_index_base_PKT3_PKiS9_S4_PS5_PiSB_: ; @_ZN9rocsparseL44csr2gebsr_wavefront_per_row_multipass_kernelILi256ELi2ELi32ELi32E21rocsparse_complex_numIfEEEv20rocsparse_direction_iiiiii21rocsparse_index_base_PKT3_PKiS9_S4_PS5_PiSB_
; %bb.0:
	s_clause 0x1
	s_load_b128 s[4:7], s[0:1], 0xc
	s_load_b64 s[12:13], s[0:1], 0x0
	s_bfe_u32 s2, ttmp6, 0x4000c
	s_and_b32 s3, ttmp6, 15
	s_add_co_i32 s2, s2, 1
	s_getreg_b32 s8, hwreg(HW_REG_IB_STS2, 6, 4)
	s_mul_i32 s2, ttmp9, s2
	v_dual_lshrrev_b32 v20, 5, v0 :: v_dual_mov_b32 v2, 0
	s_add_co_i32 s3, s3, s2
	s_cmp_eq_u32 s8, 0
	v_bfe_u32 v3, v0, 4, 1
	s_cselect_b32 s2, ttmp9, s3
	s_clause 0x1
	s_load_b32 s18, s[0:1], 0x1c
	s_load_b64 s[8:9], s[0:1], 0x28
	v_lshl_or_b32 v1, s2, 3, v20
	v_mov_b32_e32 v18, 0
	s_wait_kmcnt 0x0
	s_delay_alu instid0(VALU_DEP_2) | instskip(SKIP_1) | instid1(VALU_DEP_2)
	v_mad_u32 v4, v1, s6, v3
	v_cmp_gt_i32_e32 vcc_lo, s6, v3
	v_cmp_gt_i32_e64 s2, s13, v4
	s_and_b32 s2, vcc_lo, s2
	s_delay_alu instid0(SALU_CYCLE_1)
	s_and_saveexec_b32 s3, s2
	s_cbranch_execz .LBB130_2
; %bb.1:
	global_load_b32 v5, v4, s[8:9] scale_offset
	s_wait_loadcnt 0x0
	v_subrev_nc_u32_e32 v18, s18, v5
.LBB130_2:
	s_or_b32 exec_lo, exec_lo, s3
	v_mov_b32_e32 v21, 0
	s_and_saveexec_b32 s3, s2
	s_cbranch_execz .LBB130_4
; %bb.3:
	global_load_b32 v4, v4, s[8:9] offset:4 scale_offset
	s_wait_loadcnt 0x0
	v_subrev_nc_u32_e32 v21, s18, v4
.LBB130_4:
	s_or_b32 exec_lo, exec_lo, s3
	s_load_b32 s19, s[0:1], 0x38
	s_mov_b32 s3, exec_lo
	v_cmpx_gt_i32_e64 s4, v1
	s_cbranch_execz .LBB130_6
; %bb.5:
	s_load_b64 s[8:9], s[0:1], 0x48
	s_wait_kmcnt 0x0
	global_load_b32 v1, v1, s[8:9] scale_offset
	s_wait_loadcnt 0x0
	v_subrev_nc_u32_e32 v2, s19, v1
.LBB130_6:
	s_or_b32 exec_lo, exec_lo, s3
	s_cmp_lt_i32 s5, 1
	s_cbranch_scc1 .LBB130_31
; %bb.7:
	v_mbcnt_lo_u32_b32 v6, -1, 0
	v_lshlrev_b32_e32 v1, 8, v3
	s_clause 0x3
	s_load_b64 s[2:3], s[0:1], 0x50
	s_load_b64 s[20:21], s[0:1], 0x40
	s_load_b64 s[8:9], s[0:1], 0x20
	s_load_b64 s[10:11], s[0:1], 0x30
	v_and_b32_e32 v22, 15, v0
	s_cmp_lg_u32 s12, 0
	v_xor_b32_e32 v4, 8, v6
	v_lshl_or_b32 v23, v20, 9, v1
	v_xor_b32_e32 v5, 1, v6
	v_xor_b32_e32 v1, 2, v6
	s_mov_b32 s13, 0
	s_wait_xcnt 0x0
	v_cmp_gt_i32_e64 s0, 32, v4
	v_xor_b32_e32 v0, 4, v6
	s_cselect_b32 s4, -1, 0
	s_mov_b32 s12, s6
	s_ashr_i32 s15, s7, 31
	v_cndmask_b32_e64 v4, v6, v4, s0
	v_cmp_gt_i32_e64 s0, 32, v0
	s_mov_b32 s14, s7
	v_xor_b32_e32 v7, 16, v6
	s_mul_u64 s[16:17], s[14:15], s[12:13]
	s_abs_i32 s14, s7
	v_cndmask_b32_e64 v0, v6, v0, s0
	v_cmp_gt_i32_e64 s0, 32, v1
	v_lshl_or_b32 v28, v6, 2, 60
	v_mov_b64_e32 v[12:13], 0
	v_mov_b32_e32 v31, 0x7c
	v_dual_mov_b32 v33, 1 :: v_dual_bitop2_b32 v32, -16, v22 bitop3:0x54
	v_cndmask_b32_e64 v1, v6, v1, s0
	v_cmp_gt_i32_e64 s0, 32, v5
	v_lshlrev_b32_e32 v24, 2, v4
	v_mul_lo_u32 v4, s7, v3
	s_delay_alu instid0(VALU_DEP_4) | instskip(NEXT) | instid1(VALU_DEP_4)
	v_dual_lshlrev_b32 v8, 3, v22 :: v_dual_lshlrev_b32 v26, 2, v1
	v_cndmask_b32_e64 v5, v6, v5, s0
	s_cvt_f32_u32 s0, s14
	v_dual_lshlrev_b32 v25, 2, v0 :: v_dual_lshlrev_b32 v0, 3, v3
	v_mov_b32_e32 v1, 0
	s_delay_alu instid0(SALU_CYCLE_1) | instskip(SKIP_4) | instid1(VALU_DEP_3)
	v_rcp_iflag_f32_e32 v3, s0
	v_lshlrev_b32_e32 v27, 2, v5
	v_cmp_gt_i32_e64 s0, 32, v7
	v_ashrrev_i32_e32 v5, 31, v4
	v_dual_mov_b32 v9, v1 :: v_dual_bitop2_b32 v29, v23, v8 bitop3:0x54
	v_dual_mov_b32 v35, 0 :: v_dual_cndmask_b32 v7, v6, v7, s0
	v_mul_lo_u32 v6, v22, s6
	v_readfirstlane_b32 s0, v3
	s_wait_kmcnt 0x0
	v_lshl_add_u64 v[10:11], v[4:5], 3, s[20:21]
	v_add_nc_u64_e32 v[4:5], s[20:21], v[0:1]
	v_dual_lshlrev_b32 v30, 2, v7 :: v_dual_bitop2_b32 v0, 16, v22 bitop3:0x54
	s_mul_f32 s12, s0, 0x4f7ffffe
	v_cmp_gt_u32_e64 s0, s7, v22
	v_add_nc_u64_e32 v[8:9], v[10:11], v[8:9]
	v_dual_mov_b32 v7, v1 :: v_dual_mov_b32 v11, v1
	s_cvt_u32_f32 s12, s12
	v_lshl_add_u32 v10, s6, 4, v6
	s_sub_co_i32 s6, 0, s14
	v_cmp_gt_u32_e64 s1, s7, v0
	s_mul_i32 s20, s6, s12
	s_and_b32 s6, s0, vcc_lo
	s_mul_hi_u32 s0, s12, s20
	s_mov_b32 s20, s13
	s_and_b32 s1, vcc_lo, s1
	s_add_co_i32 s12, s12, s0
	s_branch .LBB130_10
.LBB130_8:                              ;   in Loop: Header=BB130_10 Depth=1
	s_wait_xcnt 0x0
	s_or_b32 exec_lo, exec_lo, s21
	v_mov_b32_e32 v0, 1
.LBB130_9:                              ;   in Loop: Header=BB130_10 Depth=1
	s_or_b32 exec_lo, exec_lo, s0
	ds_bpermute_b32 v3, v30, v34
	s_wait_storecnt_dscnt 0x0
	v_add_nc_u32_e32 v2, v0, v2
	v_min_i32_e32 v3, v3, v34
	ds_bpermute_b32 v14, v24, v3
	s_wait_dscnt 0x0
	v_min_i32_e32 v3, v14, v3
	ds_bpermute_b32 v14, v25, v3
	s_wait_dscnt 0x0
	;; [unrolled: 3-line block ×5, first 2 shown]
	v_cmp_le_i32_e32 vcc_lo, s5, v35
	s_or_b32 s20, vcc_lo, s20
	s_delay_alu instid0(SALU_CYCLE_1)
	s_and_not1_b32 exec_lo, exec_lo, s20
	s_cbranch_execz .LBB130_31
.LBB130_10:                             ; =>This Loop Header: Depth=1
                                        ;     Child Loop BB130_11 Depth 2
                                        ;     Child Loop BB130_15 Depth 2
	v_dual_mov_b32 v0, v29 :: v_dual_mov_b32 v3, v32
	s_mov_b32 s0, 0
	ds_store_b8 v20, v1 offset:4096
.LBB130_11:                             ;   Parent Loop BB130_10 Depth=1
                                        ; =>  This Inner Loop Header: Depth=2
	v_add_co_u32 v3, s21, v3, 16
	s_xor_b32 s21, s21, -1
	ds_store_b64 v0, v[12:13]
	v_add_nc_u32_e32 v0, 0x80, v0
	s_and_b32 s21, exec_lo, s21
	s_delay_alu instid0(SALU_CYCLE_1) | instskip(NEXT) | instid1(SALU_CYCLE_1)
	s_or_b32 s0, s21, s0
	s_and_not1_b32 exec_lo, exec_lo, s0
	s_cbranch_execnz .LBB130_11
; %bb.12:                               ;   in Loop: Header=BB130_10 Depth=1
	s_or_b32 exec_lo, exec_lo, s0
	v_dual_add_nc_u32 v14, v18, v22 :: v_dual_mov_b32 v34, s5
	v_mov_b32_e32 v15, v21
	s_mov_b32 s21, exec_lo
	s_wait_dscnt 0x0
	s_delay_alu instid0(VALU_DEP_2)
	v_cmpx_lt_i32_e64 v14, v21
	s_cbranch_execz .LBB130_20
; %bb.13:                               ;   in Loop: Header=BB130_10 Depth=1
	v_mul_lo_u32 v3, v35, s7
	v_dual_mov_b32 v34, s5 :: v_dual_ashrrev_i32 v15, 31, v14
	s_mov_b32 s22, 0
	s_delay_alu instid0(VALU_DEP_1)
	v_lshl_add_u64 v[16:17], v[14:15], 2, s[10:11]
	v_lshl_add_u64 v[18:19], v[14:15], 3, s[8:9]
	v_mov_b32_e32 v15, v21
	s_branch .LBB130_15
.LBB130_14:                             ;   in Loop: Header=BB130_15 Depth=2
	s_wait_xcnt 0x0
	s_or_b32 exec_lo, exec_lo, s0
	v_add_nc_u32_e32 v14, 16, v14
	s_xor_b32 s23, vcc_lo, -1
	v_add_nc_u64_e32 v[16:17], 64, v[16:17]
	v_add_nc_u64_e32 v[18:19], 0x80, v[18:19]
	s_delay_alu instid0(VALU_DEP_3) | instskip(SKIP_1) | instid1(SALU_CYCLE_1)
	v_cmp_ge_i32_e64 s0, v14, v21
	s_or_b32 s0, s23, s0
	s_and_b32 s0, exec_lo, s0
	s_delay_alu instid0(SALU_CYCLE_1) | instskip(NEXT) | instid1(SALU_CYCLE_1)
	s_or_b32 s22, s0, s22
	s_and_not1_b32 exec_lo, exec_lo, s22
	s_cbranch_execz .LBB130_19
.LBB130_15:                             ;   Parent Loop BB130_10 Depth=1
                                        ; =>  This Inner Loop Header: Depth=2
	global_load_b32 v0, v[16:17], off
	s_wait_loadcnt 0x0
	v_subrev_nc_u32_e32 v36, s18, v0
	s_delay_alu instid0(VALU_DEP_1) | instskip(NEXT) | instid1(VALU_DEP_1)
	v_sub_nc_u32_e32 v0, 0, v36
	v_max_i32_e32 v0, v36, v0
	s_delay_alu instid0(VALU_DEP_1) | instskip(NEXT) | instid1(VALU_DEP_1)
	v_mul_u64_e32 v[38:39], s[12:13], v[0:1]
	v_mul_lo_u32 v37, v39, s14
	s_delay_alu instid0(VALU_DEP_1) | instskip(NEXT) | instid1(VALU_DEP_1)
	v_dual_sub_nc_u32 v0, v0, v37 :: v_dual_add_nc_u32 v37, 1, v39
	v_cmp_le_u32_e32 vcc_lo, s14, v0
	s_delay_alu instid0(VALU_DEP_2) | instskip(SKIP_1) | instid1(VALU_DEP_1)
	v_dual_cndmask_b32 v37, v39, v37, vcc_lo :: v_dual_ashrrev_i32 v39, 31, v36
	v_subrev_nc_u32_e32 v38, s14, v0
	v_dual_cndmask_b32 v0, v0, v38, vcc_lo :: v_dual_add_nc_u32 v38, 1, v37
	s_delay_alu instid0(VALU_DEP_1) | instskip(NEXT) | instid1(VALU_DEP_2)
	v_cmp_le_u32_e32 vcc_lo, s14, v0
	v_dual_cndmask_b32 v0, v37, v38, vcc_lo :: v_dual_bitop2_b32 v39, s15, v39 bitop3:0x14
	s_delay_alu instid0(VALU_DEP_1) | instskip(NEXT) | instid1(VALU_DEP_1)
	v_xor_b32_e32 v0, v0, v39
	v_dual_mov_b32 v0, v15 :: v_dual_sub_nc_u32 v37, v0, v39
	s_delay_alu instid0(VALU_DEP_1) | instskip(SKIP_3) | instid1(SALU_CYCLE_1)
	v_cmp_ne_u32_e64 s0, v37, v35
	v_cmp_eq_u32_e32 vcc_lo, v37, v35
	s_wait_xcnt 0x0
	s_and_saveexec_b32 s23, s0
	s_xor_b32 s0, exec_lo, s23
; %bb.16:                               ;   in Loop: Header=BB130_15 Depth=2
	v_min_i32_e32 v34, v37, v34
                                        ; implicit-def: $vgpr36
                                        ; implicit-def: $vgpr0
; %bb.17:                               ;   in Loop: Header=BB130_15 Depth=2
	s_or_saveexec_b32 s0, s0
	v_mov_b32_e32 v15, v14
	s_xor_b32 exec_lo, exec_lo, s0
	s_cbranch_execz .LBB130_14
; %bb.18:                               ;   in Loop: Header=BB130_15 Depth=2
	global_load_b64 v[38:39], v[18:19], off
	v_sub_nc_u32_e32 v15, v36, v3
	s_delay_alu instid0(VALU_DEP_1)
	v_lshl_add_u32 v36, v15, 3, v23
	v_mov_b32_e32 v15, v0
	ds_store_b8 v20, v33 offset:4096
	s_wait_loadcnt 0x0
	ds_store_b64 v36, v[38:39]
	s_branch .LBB130_14
.LBB130_19:                             ;   in Loop: Header=BB130_10 Depth=1
	s_or_b32 exec_lo, exec_lo, s22
.LBB130_20:                             ;   in Loop: Header=BB130_10 Depth=1
	s_delay_alu instid0(SALU_CYCLE_1)
	s_or_b32 exec_lo, exec_lo, s21
	ds_bpermute_b32 v0, v24, v15
	s_wait_dscnt 0x0
	ds_load_u8 v14, v20 offset:4096
	v_min_i32_e32 v0, v0, v15
	ds_bpermute_b32 v3, v25, v0
	s_wait_dscnt 0x0
	v_min_i32_e32 v0, v3, v0
	ds_bpermute_b32 v3, v26, v0
	s_wait_dscnt 0x0
	;; [unrolled: 3-line block ×3, first 2 shown]
	v_min_i32_e32 v0, v3, v0
	ds_bpermute_b32 v18, v28, v0
	v_and_b32_e32 v0, 1, v14
	s_delay_alu instid0(VALU_DEP_1)
	v_cmp_eq_u32_e32 vcc_lo, 1, v0
	v_mov_b32_e32 v0, 0
	s_and_saveexec_b32 s0, vcc_lo
	s_cbranch_execz .LBB130_9
; %bb.21:                               ;   in Loop: Header=BB130_10 Depth=1
	v_dual_ashrrev_i32 v3, 31, v2 :: v_dual_add_nc_u32 v0, s19, v35
	s_delay_alu instid0(VALU_DEP_1) | instskip(SKIP_2) | instid1(VALU_DEP_1)
	v_mul_u64_e32 v[14:15], s[16:17], v[2:3]
	global_store_b32 v2, v0, s[2:3] scale_offset
	v_lshlrev_b64_e32 v[14:15], 3, v[14:15]
	v_add_nc_u64_e32 v[16:17], v[4:5], v[14:15]
	v_add_nc_u64_e32 v[14:15], v[8:9], v[14:15]
	s_wait_xcnt 0x0
	s_and_saveexec_b32 s21, s6
	s_cbranch_execz .LBB130_25
; %bb.22:                               ;   in Loop: Header=BB130_10 Depth=1
	s_and_b32 vcc_lo, exec_lo, s4
	s_cbranch_vccz .LBB130_28
; %bb.23:                               ;   in Loop: Header=BB130_10 Depth=1
	ds_load_b64 v[36:37], v29
	v_lshl_add_u64 v[38:39], v[6:7], 3, v[16:17]
	s_wait_dscnt 0x0
	global_store_b64 v[38:39], v[36:37], off
	s_cbranch_execnz .LBB130_25
.LBB130_24:                             ;   in Loop: Header=BB130_10 Depth=1
	s_wait_xcnt 0x0
	ds_load_b64 v[36:37], v29
	s_wait_dscnt 0x0
	global_store_b64 v[14:15], v[36:37], off
.LBB130_25:                             ;   in Loop: Header=BB130_10 Depth=1
	s_wait_xcnt 0x0
	s_or_b32 exec_lo, exec_lo, s21
	s_and_saveexec_b32 s21, s1
	s_cbranch_execz .LBB130_8
; %bb.26:                               ;   in Loop: Header=BB130_10 Depth=1
	s_and_not1_b32 vcc_lo, exec_lo, s4
	s_cbranch_vccnz .LBB130_29
; %bb.27:                               ;   in Loop: Header=BB130_10 Depth=1
	ds_load_b64 v[36:37], v29 offset:128
	v_lshl_add_u64 v[16:17], v[10:11], 3, v[16:17]
	s_wait_dscnt 0x0
	global_store_b64 v[16:17], v[36:37], off
	s_cbranch_execnz .LBB130_8
	s_branch .LBB130_30
.LBB130_28:                             ;   in Loop: Header=BB130_10 Depth=1
	s_branch .LBB130_24
.LBB130_29:                             ;   in Loop: Header=BB130_10 Depth=1
.LBB130_30:                             ;   in Loop: Header=BB130_10 Depth=1
	s_wait_xcnt 0x0
	ds_load_b64 v[16:17], v29 offset:128
	s_wait_dscnt 0x0
	global_store_b64 v[14:15], v[16:17], off offset:128
	s_branch .LBB130_8
.LBB130_31:
	s_endpgm
	.section	.rodata,"a",@progbits
	.p2align	6, 0x0
	.amdhsa_kernel _ZN9rocsparseL44csr2gebsr_wavefront_per_row_multipass_kernelILi256ELi2ELi32ELi32E21rocsparse_complex_numIfEEEv20rocsparse_direction_iiiiii21rocsparse_index_base_PKT3_PKiS9_S4_PS5_PiSB_
		.amdhsa_group_segment_fixed_size 4104
		.amdhsa_private_segment_fixed_size 0
		.amdhsa_kernarg_size 88
		.amdhsa_user_sgpr_count 2
		.amdhsa_user_sgpr_dispatch_ptr 0
		.amdhsa_user_sgpr_queue_ptr 0
		.amdhsa_user_sgpr_kernarg_segment_ptr 1
		.amdhsa_user_sgpr_dispatch_id 0
		.amdhsa_user_sgpr_kernarg_preload_length 0
		.amdhsa_user_sgpr_kernarg_preload_offset 0
		.amdhsa_user_sgpr_private_segment_size 0
		.amdhsa_wavefront_size32 1
		.amdhsa_uses_dynamic_stack 0
		.amdhsa_enable_private_segment 0
		.amdhsa_system_sgpr_workgroup_id_x 1
		.amdhsa_system_sgpr_workgroup_id_y 0
		.amdhsa_system_sgpr_workgroup_id_z 0
		.amdhsa_system_sgpr_workgroup_info 0
		.amdhsa_system_vgpr_workitem_id 0
		.amdhsa_next_free_vgpr 40
		.amdhsa_next_free_sgpr 24
		.amdhsa_named_barrier_count 0
		.amdhsa_reserve_vcc 1
		.amdhsa_float_round_mode_32 0
		.amdhsa_float_round_mode_16_64 0
		.amdhsa_float_denorm_mode_32 3
		.amdhsa_float_denorm_mode_16_64 3
		.amdhsa_fp16_overflow 0
		.amdhsa_memory_ordered 1
		.amdhsa_forward_progress 1
		.amdhsa_inst_pref_size 13
		.amdhsa_round_robin_scheduling 0
		.amdhsa_exception_fp_ieee_invalid_op 0
		.amdhsa_exception_fp_denorm_src 0
		.amdhsa_exception_fp_ieee_div_zero 0
		.amdhsa_exception_fp_ieee_overflow 0
		.amdhsa_exception_fp_ieee_underflow 0
		.amdhsa_exception_fp_ieee_inexact 0
		.amdhsa_exception_int_div_zero 0
	.end_amdhsa_kernel
	.section	.text._ZN9rocsparseL44csr2gebsr_wavefront_per_row_multipass_kernelILi256ELi2ELi32ELi32E21rocsparse_complex_numIfEEEv20rocsparse_direction_iiiiii21rocsparse_index_base_PKT3_PKiS9_S4_PS5_PiSB_,"axG",@progbits,_ZN9rocsparseL44csr2gebsr_wavefront_per_row_multipass_kernelILi256ELi2ELi32ELi32E21rocsparse_complex_numIfEEEv20rocsparse_direction_iiiiii21rocsparse_index_base_PKT3_PKiS9_S4_PS5_PiSB_,comdat
.Lfunc_end130:
	.size	_ZN9rocsparseL44csr2gebsr_wavefront_per_row_multipass_kernelILi256ELi2ELi32ELi32E21rocsparse_complex_numIfEEEv20rocsparse_direction_iiiiii21rocsparse_index_base_PKT3_PKiS9_S4_PS5_PiSB_, .Lfunc_end130-_ZN9rocsparseL44csr2gebsr_wavefront_per_row_multipass_kernelILi256ELi2ELi32ELi32E21rocsparse_complex_numIfEEEv20rocsparse_direction_iiiiii21rocsparse_index_base_PKT3_PKiS9_S4_PS5_PiSB_
                                        ; -- End function
	.set _ZN9rocsparseL44csr2gebsr_wavefront_per_row_multipass_kernelILi256ELi2ELi32ELi32E21rocsparse_complex_numIfEEEv20rocsparse_direction_iiiiii21rocsparse_index_base_PKT3_PKiS9_S4_PS5_PiSB_.num_vgpr, 40
	.set _ZN9rocsparseL44csr2gebsr_wavefront_per_row_multipass_kernelILi256ELi2ELi32ELi32E21rocsparse_complex_numIfEEEv20rocsparse_direction_iiiiii21rocsparse_index_base_PKT3_PKiS9_S4_PS5_PiSB_.num_agpr, 0
	.set _ZN9rocsparseL44csr2gebsr_wavefront_per_row_multipass_kernelILi256ELi2ELi32ELi32E21rocsparse_complex_numIfEEEv20rocsparse_direction_iiiiii21rocsparse_index_base_PKT3_PKiS9_S4_PS5_PiSB_.numbered_sgpr, 24
	.set _ZN9rocsparseL44csr2gebsr_wavefront_per_row_multipass_kernelILi256ELi2ELi32ELi32E21rocsparse_complex_numIfEEEv20rocsparse_direction_iiiiii21rocsparse_index_base_PKT3_PKiS9_S4_PS5_PiSB_.num_named_barrier, 0
	.set _ZN9rocsparseL44csr2gebsr_wavefront_per_row_multipass_kernelILi256ELi2ELi32ELi32E21rocsparse_complex_numIfEEEv20rocsparse_direction_iiiiii21rocsparse_index_base_PKT3_PKiS9_S4_PS5_PiSB_.private_seg_size, 0
	.set _ZN9rocsparseL44csr2gebsr_wavefront_per_row_multipass_kernelILi256ELi2ELi32ELi32E21rocsparse_complex_numIfEEEv20rocsparse_direction_iiiiii21rocsparse_index_base_PKT3_PKiS9_S4_PS5_PiSB_.uses_vcc, 1
	.set _ZN9rocsparseL44csr2gebsr_wavefront_per_row_multipass_kernelILi256ELi2ELi32ELi32E21rocsparse_complex_numIfEEEv20rocsparse_direction_iiiiii21rocsparse_index_base_PKT3_PKiS9_S4_PS5_PiSB_.uses_flat_scratch, 0
	.set _ZN9rocsparseL44csr2gebsr_wavefront_per_row_multipass_kernelILi256ELi2ELi32ELi32E21rocsparse_complex_numIfEEEv20rocsparse_direction_iiiiii21rocsparse_index_base_PKT3_PKiS9_S4_PS5_PiSB_.has_dyn_sized_stack, 0
	.set _ZN9rocsparseL44csr2gebsr_wavefront_per_row_multipass_kernelILi256ELi2ELi32ELi32E21rocsparse_complex_numIfEEEv20rocsparse_direction_iiiiii21rocsparse_index_base_PKT3_PKiS9_S4_PS5_PiSB_.has_recursion, 0
	.set _ZN9rocsparseL44csr2gebsr_wavefront_per_row_multipass_kernelILi256ELi2ELi32ELi32E21rocsparse_complex_numIfEEEv20rocsparse_direction_iiiiii21rocsparse_index_base_PKT3_PKiS9_S4_PS5_PiSB_.has_indirect_call, 0
	.section	.AMDGPU.csdata,"",@progbits
; Kernel info:
; codeLenInByte = 1656
; TotalNumSgprs: 26
; NumVgprs: 40
; ScratchSize: 0
; MemoryBound: 0
; FloatMode: 240
; IeeeMode: 1
; LDSByteSize: 4104 bytes/workgroup (compile time only)
; SGPRBlocks: 0
; VGPRBlocks: 2
; NumSGPRsForWavesPerEU: 26
; NumVGPRsForWavesPerEU: 40
; NamedBarCnt: 0
; Occupancy: 16
; WaveLimiterHint : 0
; COMPUTE_PGM_RSRC2:SCRATCH_EN: 0
; COMPUTE_PGM_RSRC2:USER_SGPR: 2
; COMPUTE_PGM_RSRC2:TRAP_HANDLER: 0
; COMPUTE_PGM_RSRC2:TGID_X_EN: 1
; COMPUTE_PGM_RSRC2:TGID_Y_EN: 0
; COMPUTE_PGM_RSRC2:TGID_Z_EN: 0
; COMPUTE_PGM_RSRC2:TIDIG_COMP_CNT: 0
	.section	.text._ZN9rocsparseL44csr2gebsr_wavefront_per_row_multipass_kernelILi256ELi2ELi64ELi64E21rocsparse_complex_numIfEEEv20rocsparse_direction_iiiiii21rocsparse_index_base_PKT3_PKiS9_S4_PS5_PiSB_,"axG",@progbits,_ZN9rocsparseL44csr2gebsr_wavefront_per_row_multipass_kernelILi256ELi2ELi64ELi64E21rocsparse_complex_numIfEEEv20rocsparse_direction_iiiiii21rocsparse_index_base_PKT3_PKiS9_S4_PS5_PiSB_,comdat
	.globl	_ZN9rocsparseL44csr2gebsr_wavefront_per_row_multipass_kernelILi256ELi2ELi64ELi64E21rocsparse_complex_numIfEEEv20rocsparse_direction_iiiiii21rocsparse_index_base_PKT3_PKiS9_S4_PS5_PiSB_ ; -- Begin function _ZN9rocsparseL44csr2gebsr_wavefront_per_row_multipass_kernelILi256ELi2ELi64ELi64E21rocsparse_complex_numIfEEEv20rocsparse_direction_iiiiii21rocsparse_index_base_PKT3_PKiS9_S4_PS5_PiSB_
	.p2align	8
	.type	_ZN9rocsparseL44csr2gebsr_wavefront_per_row_multipass_kernelILi256ELi2ELi64ELi64E21rocsparse_complex_numIfEEEv20rocsparse_direction_iiiiii21rocsparse_index_base_PKT3_PKiS9_S4_PS5_PiSB_,@function
_ZN9rocsparseL44csr2gebsr_wavefront_per_row_multipass_kernelILi256ELi2ELi64ELi64E21rocsparse_complex_numIfEEEv20rocsparse_direction_iiiiii21rocsparse_index_base_PKT3_PKiS9_S4_PS5_PiSB_: ; @_ZN9rocsparseL44csr2gebsr_wavefront_per_row_multipass_kernelILi256ELi2ELi64ELi64E21rocsparse_complex_numIfEEEv20rocsparse_direction_iiiiii21rocsparse_index_base_PKT3_PKiS9_S4_PS5_PiSB_
; %bb.0:
	s_clause 0x1
	s_load_b128 s[4:7], s[0:1], 0xc
	s_load_b64 s[12:13], s[0:1], 0x0
	s_bfe_u32 s2, ttmp6, 0x4000c
	s_and_b32 s3, ttmp6, 15
	s_add_co_i32 s2, s2, 1
	s_getreg_b32 s8, hwreg(HW_REG_IB_STS2, 6, 4)
	s_mul_i32 s2, ttmp9, s2
	v_dual_lshrrev_b32 v20, 6, v0 :: v_dual_mov_b32 v2, 0
	s_add_co_i32 s3, s3, s2
	s_cmp_eq_u32 s8, 0
	v_bfe_u32 v3, v0, 5, 1
	s_cselect_b32 s2, ttmp9, s3
	s_clause 0x1
	s_load_b32 s18, s[0:1], 0x1c
	s_load_b64 s[8:9], s[0:1], 0x28
	v_lshl_or_b32 v1, s2, 2, v20
	v_mov_b32_e32 v18, 0
	s_wait_kmcnt 0x0
	s_delay_alu instid0(VALU_DEP_2) | instskip(SKIP_1) | instid1(VALU_DEP_2)
	v_mad_u32 v4, v1, s6, v3
	v_cmp_gt_i32_e32 vcc_lo, s6, v3
	v_cmp_gt_i32_e64 s2, s13, v4
	s_and_b32 s2, vcc_lo, s2
	s_delay_alu instid0(SALU_CYCLE_1)
	s_and_saveexec_b32 s3, s2
	s_cbranch_execz .LBB131_2
; %bb.1:
	global_load_b32 v5, v4, s[8:9] scale_offset
	s_wait_loadcnt 0x0
	v_subrev_nc_u32_e32 v18, s18, v5
.LBB131_2:
	s_or_b32 exec_lo, exec_lo, s3
	v_mov_b32_e32 v21, 0
	s_and_saveexec_b32 s3, s2
	s_cbranch_execz .LBB131_4
; %bb.3:
	global_load_b32 v4, v4, s[8:9] offset:4 scale_offset
	s_wait_loadcnt 0x0
	v_subrev_nc_u32_e32 v21, s18, v4
.LBB131_4:
	s_or_b32 exec_lo, exec_lo, s3
	s_load_b32 s19, s[0:1], 0x38
	s_mov_b32 s3, exec_lo
	v_cmpx_gt_i32_e64 s4, v1
	s_cbranch_execz .LBB131_6
; %bb.5:
	s_load_b64 s[8:9], s[0:1], 0x48
	s_wait_kmcnt 0x0
	global_load_b32 v1, v1, s[8:9] scale_offset
	s_wait_loadcnt 0x0
	v_subrev_nc_u32_e32 v2, s19, v1
.LBB131_6:
	s_or_b32 exec_lo, exec_lo, s3
	s_cmp_lt_i32 s5, 1
	s_cbranch_scc1 .LBB131_31
; %bb.7:
	v_mbcnt_lo_u32_b32 v6, -1, 0
	v_lshlrev_b32_e32 v1, 9, v3
	s_clause 0x3
	s_load_b64 s[2:3], s[0:1], 0x50
	s_load_b64 s[20:21], s[0:1], 0x40
	;; [unrolled: 1-line block ×4, first 2 shown]
	v_and_b32_e32 v22, 31, v0
	s_cmp_lg_u32 s12, 0
	v_xor_b32_e32 v4, 16, v6
	v_lshl_or_b32 v23, v20, 10, v1
	v_xor_b32_e32 v5, 2, v6
	s_mov_b32 s13, 0
	s_cselect_b32 s4, -1, 0
	s_wait_xcnt 0x0
	v_cmp_gt_i32_e64 s0, 32, v4
	v_xor_b32_e32 v0, 8, v6
	s_mov_b32 s12, s6
	s_ashr_i32 s15, s7, 31
	s_mov_b32 s14, s7
	v_dual_cndmask_b32 v1, v6, v4, s0 :: v_dual_bitop2_b32 v4, 4, v6 bitop3:0x14
	v_cmp_gt_i32_e64 s0, 32, v0
	v_xor_b32_e32 v7, 1, v6
	s_mul_u64 s[16:17], s[14:15], s[12:13]
	v_lshlrev_b32_e32 v24, 2, v1
	s_abs_i32 s14, s7
	v_cndmask_b32_e64 v0, v6, v0, s0
	v_cmp_gt_i32_e64 s0, 32, v4
	v_mov_b64_e32 v[12:13], 0
	v_bfrev_b32_e32 v32, 0.5
	v_or_b32_e32 v33, 0xffffffe0, v22
	v_dual_mov_b32 v34, 1 :: v_dual_mov_b32 v36, 0
	v_cndmask_b32_e64 v4, v6, v4, s0
	v_cmp_gt_i32_e64 s0, 32, v5
	v_dual_lshlrev_b32 v25, 2, v0 :: v_dual_lshlrev_b32 v0, 3, v3
	v_mov_b32_e32 v29, 0x7c
	s_delay_alu instid0(VALU_DEP_3) | instskip(SKIP_3) | instid1(VALU_DEP_4)
	v_dual_mov_b32 v1, 0 :: v_dual_cndmask_b32 v5, v6, v5, s0
	v_cmp_gt_i32_e64 s0, 32, v7
	v_lshlrev_b32_e32 v26, 2, v4
	v_mul_lo_u32 v4, s7, v3
	v_dual_lshlrev_b32 v8, 3, v22 :: v_dual_lshlrev_b32 v27, 2, v5
	s_delay_alu instid0(VALU_DEP_4) | instskip(SKIP_1) | instid1(VALU_DEP_1)
	v_cndmask_b32_e64 v7, v6, v7, s0
	s_cvt_f32_u32 s0, s14
	v_dual_lshlrev_b32 v28, 2, v7 :: v_dual_bitop2_b32 v7, 32, v6 bitop3:0x54
	s_delay_alu instid0(SALU_CYCLE_2) | instskip(NEXT) | instid1(VALU_DEP_4)
	v_rcp_iflag_f32_e32 v3, s0
	v_ashrrev_i32_e32 v5, 31, v4
	v_or_b32_e32 v30, v23, v8
	s_delay_alu instid0(VALU_DEP_3)
	v_cmp_gt_i32_e64 s0, 32, v7
	v_mov_b32_e32 v9, v1
	s_wait_kmcnt 0x0
	v_lshl_add_u64 v[10:11], v[4:5], 3, s[20:21]
	v_add_nc_u64_e32 v[4:5], s[20:21], v[0:1]
	v_dual_cndmask_b32 v7, v6, v7, s0 :: v_dual_bitop2_b32 v0, 32, v22 bitop3:0x54
	v_mul_lo_u32 v6, v22, s6
	v_readfirstlane_b32 s0, v3
	v_add_nc_u64_e32 v[8:9], v[10:11], v[8:9]
	s_delay_alu instid0(VALU_DEP_4)
	v_cmp_gt_u32_e64 s1, s7, v0
	v_dual_lshlrev_b32 v31, 2, v7 :: v_dual_mov_b32 v7, v1
	v_mov_b32_e32 v11, v1
	s_mul_f32 s12, s0, 0x4f7ffffe
	v_cmp_gt_u32_e64 s0, s7, v22
	s_and_b32 s1, vcc_lo, s1
	s_delay_alu instid0(SALU_CYCLE_1) | instskip(SKIP_2) | instid1(SALU_CYCLE_1)
	s_cvt_u32_f32 s12, s12
	v_lshl_add_u32 v10, s6, 5, v6
	s_sub_co_i32 s6, 0, s14
	s_mul_i32 s20, s6, s12
	s_and_b32 s6, s0, vcc_lo
	s_mul_hi_u32 s0, s12, s20
	s_mov_b32 s20, s13
	s_add_co_i32 s12, s12, s0
	s_branch .LBB131_10
.LBB131_8:                              ;   in Loop: Header=BB131_10 Depth=1
	s_wait_xcnt 0x0
	s_or_b32 exec_lo, exec_lo, s21
	v_mov_b32_e32 v0, 1
.LBB131_9:                              ;   in Loop: Header=BB131_10 Depth=1
	s_or_b32 exec_lo, exec_lo, s0
	ds_bpermute_b32 v3, v31, v35
	s_wait_storecnt_dscnt 0x0
	v_dual_add_nc_u32 v2, v0, v2 :: v_dual_min_i32 v3, v3, v35
	ds_bpermute_b32 v14, v24, v3
	s_wait_dscnt 0x0
	v_min_i32_e32 v3, v14, v3
	ds_bpermute_b32 v14, v25, v3
	s_wait_dscnt 0x0
	v_min_i32_e32 v3, v14, v3
	;; [unrolled: 3-line block ×5, first 2 shown]
	ds_bpermute_b32 v36, v32, v3
	s_wait_dscnt 0x0
	v_cmp_le_i32_e32 vcc_lo, s5, v36
	s_or_b32 s20, vcc_lo, s20
	s_delay_alu instid0(SALU_CYCLE_1)
	s_and_not1_b32 exec_lo, exec_lo, s20
	s_cbranch_execz .LBB131_31
.LBB131_10:                             ; =>This Loop Header: Depth=1
                                        ;     Child Loop BB131_11 Depth 2
                                        ;     Child Loop BB131_15 Depth 2
	v_dual_mov_b32 v0, v30 :: v_dual_mov_b32 v3, v33
	s_mov_b32 s0, 0
	ds_store_b8 v20, v1 offset:4096
.LBB131_11:                             ;   Parent Loop BB131_10 Depth=1
                                        ; =>  This Inner Loop Header: Depth=2
	v_add_co_u32 v3, s21, v3, 32
	s_xor_b32 s21, s21, -1
	ds_store_b64 v0, v[12:13]
	v_add_nc_u32_e32 v0, 0x100, v0
	s_and_b32 s21, exec_lo, s21
	s_delay_alu instid0(SALU_CYCLE_1) | instskip(NEXT) | instid1(SALU_CYCLE_1)
	s_or_b32 s0, s21, s0
	s_and_not1_b32 exec_lo, exec_lo, s0
	s_cbranch_execnz .LBB131_11
; %bb.12:                               ;   in Loop: Header=BB131_10 Depth=1
	s_or_b32 exec_lo, exec_lo, s0
	v_dual_mov_b32 v35, s5 :: v_dual_add_nc_u32 v14, v18, v22
	v_mov_b32_e32 v15, v21
	s_mov_b32 s21, exec_lo
	s_wait_dscnt 0x0
	s_delay_alu instid0(VALU_DEP_2)
	v_cmpx_lt_i32_e64 v14, v21
	s_cbranch_execz .LBB131_20
; %bb.13:                               ;   in Loop: Header=BB131_10 Depth=1
	v_mul_lo_u32 v3, v36, s7
	v_dual_ashrrev_i32 v15, 31, v14 :: v_dual_mov_b32 v35, s5
	s_mov_b32 s22, 0
	s_delay_alu instid0(VALU_DEP_1)
	v_lshl_add_u64 v[16:17], v[14:15], 2, s[10:11]
	v_lshl_add_u64 v[18:19], v[14:15], 3, s[8:9]
	v_mov_b32_e32 v15, v21
	s_branch .LBB131_15
.LBB131_14:                             ;   in Loop: Header=BB131_15 Depth=2
	s_wait_xcnt 0x0
	s_or_b32 exec_lo, exec_lo, s0
	v_add_nc_u32_e32 v14, 32, v14
	s_xor_b32 s23, vcc_lo, -1
	v_add_nc_u64_e32 v[16:17], 0x80, v[16:17]
	v_add_nc_u64_e32 v[18:19], 0x100, v[18:19]
	s_delay_alu instid0(VALU_DEP_3) | instskip(SKIP_1) | instid1(SALU_CYCLE_1)
	v_cmp_ge_i32_e64 s0, v14, v21
	s_or_b32 s0, s23, s0
	s_and_b32 s0, exec_lo, s0
	s_delay_alu instid0(SALU_CYCLE_1) | instskip(NEXT) | instid1(SALU_CYCLE_1)
	s_or_b32 s22, s0, s22
	s_and_not1_b32 exec_lo, exec_lo, s22
	s_cbranch_execz .LBB131_19
.LBB131_15:                             ;   Parent Loop BB131_10 Depth=1
                                        ; =>  This Inner Loop Header: Depth=2
	global_load_b32 v0, v[16:17], off
	s_wait_loadcnt 0x0
	v_subrev_nc_u32_e32 v37, s18, v0
	s_delay_alu instid0(VALU_DEP_1) | instskip(NEXT) | instid1(VALU_DEP_1)
	v_sub_nc_u32_e32 v0, 0, v37
	v_max_i32_e32 v0, v37, v0
	s_delay_alu instid0(VALU_DEP_1) | instskip(NEXT) | instid1(VALU_DEP_1)
	v_mul_u64_e32 v[38:39], s[12:13], v[0:1]
	v_mul_lo_u32 v38, v39, s14
	s_delay_alu instid0(VALU_DEP_1) | instskip(NEXT) | instid1(VALU_DEP_1)
	v_dual_sub_nc_u32 v0, v0, v38 :: v_dual_add_nc_u32 v38, 1, v39
	v_cmp_le_u32_e32 vcc_lo, s14, v0
	s_delay_alu instid0(VALU_DEP_2) | instskip(SKIP_1) | instid1(VALU_DEP_1)
	v_dual_cndmask_b32 v38, v39, v38 :: v_dual_ashrrev_i32 v39, 31, v37
	v_subrev_nc_u32_e32 v40, s14, v0
	v_dual_cndmask_b32 v0, v0, v40, vcc_lo :: v_dual_add_nc_u32 v40, 1, v38
	s_delay_alu instid0(VALU_DEP_1) | instskip(NEXT) | instid1(VALU_DEP_2)
	v_cmp_le_u32_e32 vcc_lo, s14, v0
	v_dual_cndmask_b32 v0, v38, v40, vcc_lo :: v_dual_bitop2_b32 v39, s15, v39 bitop3:0x14
	s_delay_alu instid0(VALU_DEP_1) | instskip(NEXT) | instid1(VALU_DEP_1)
	v_xor_b32_e32 v0, v0, v39
	v_dual_sub_nc_u32 v38, v0, v39 :: v_dual_mov_b32 v0, v15
	s_delay_alu instid0(VALU_DEP_1) | instskip(SKIP_3) | instid1(SALU_CYCLE_1)
	v_cmp_ne_u32_e64 s0, v38, v36
	v_cmp_eq_u32_e32 vcc_lo, v38, v36
	s_wait_xcnt 0x0
	s_and_saveexec_b32 s23, s0
	s_xor_b32 s0, exec_lo, s23
; %bb.16:                               ;   in Loop: Header=BB131_15 Depth=2
	v_min_i32_e32 v35, v38, v35
                                        ; implicit-def: $vgpr37
                                        ; implicit-def: $vgpr0
; %bb.17:                               ;   in Loop: Header=BB131_15 Depth=2
	s_or_saveexec_b32 s0, s0
	v_mov_b32_e32 v15, v14
	s_xor_b32 exec_lo, exec_lo, s0
	s_cbranch_execz .LBB131_14
; %bb.18:                               ;   in Loop: Header=BB131_15 Depth=2
	global_load_b64 v[38:39], v[18:19], off
	v_sub_nc_u32_e32 v15, v37, v3
	s_delay_alu instid0(VALU_DEP_1)
	v_lshl_add_u32 v37, v15, 3, v23
	v_mov_b32_e32 v15, v0
	ds_store_b8 v20, v34 offset:4096
	s_wait_loadcnt 0x0
	ds_store_b64 v37, v[38:39]
	s_branch .LBB131_14
.LBB131_19:                             ;   in Loop: Header=BB131_10 Depth=1
	s_or_b32 exec_lo, exec_lo, s22
.LBB131_20:                             ;   in Loop: Header=BB131_10 Depth=1
	s_delay_alu instid0(SALU_CYCLE_1)
	s_or_b32 exec_lo, exec_lo, s21
	ds_bpermute_b32 v0, v24, v15
	s_wait_dscnt 0x0
	ds_load_u8 v14, v20 offset:4096
	v_min_i32_e32 v0, v0, v15
	ds_bpermute_b32 v3, v25, v0
	s_wait_dscnt 0x0
	v_min_i32_e32 v0, v3, v0
	ds_bpermute_b32 v3, v26, v0
	s_wait_dscnt 0x0
	;; [unrolled: 3-line block ×4, first 2 shown]
	v_min_i32_e32 v0, v3, v0
	ds_bpermute_b32 v18, v29, v0
	v_and_b32_e32 v0, 1, v14
	s_delay_alu instid0(VALU_DEP_1)
	v_cmp_eq_u32_e32 vcc_lo, 1, v0
	v_mov_b32_e32 v0, 0
	s_and_saveexec_b32 s0, vcc_lo
	s_cbranch_execz .LBB131_9
; %bb.21:                               ;   in Loop: Header=BB131_10 Depth=1
	v_dual_ashrrev_i32 v3, 31, v2 :: v_dual_add_nc_u32 v0, s19, v36
	s_delay_alu instid0(VALU_DEP_1) | instskip(SKIP_2) | instid1(VALU_DEP_1)
	v_mul_u64_e32 v[14:15], s[16:17], v[2:3]
	global_store_b32 v2, v0, s[2:3] scale_offset
	v_lshlrev_b64_e32 v[14:15], 3, v[14:15]
	v_add_nc_u64_e32 v[16:17], v[4:5], v[14:15]
	v_add_nc_u64_e32 v[14:15], v[8:9], v[14:15]
	s_wait_xcnt 0x0
	s_and_saveexec_b32 s21, s6
	s_cbranch_execz .LBB131_25
; %bb.22:                               ;   in Loop: Header=BB131_10 Depth=1
	s_and_b32 vcc_lo, exec_lo, s4
	s_cbranch_vccz .LBB131_28
; %bb.23:                               ;   in Loop: Header=BB131_10 Depth=1
	ds_load_b64 v[36:37], v30
	v_lshl_add_u64 v[38:39], v[6:7], 3, v[16:17]
	s_wait_dscnt 0x0
	global_store_b64 v[38:39], v[36:37], off
	s_cbranch_execnz .LBB131_25
.LBB131_24:                             ;   in Loop: Header=BB131_10 Depth=1
	s_wait_xcnt 0x0
	ds_load_b64 v[36:37], v30
	s_wait_dscnt 0x0
	global_store_b64 v[14:15], v[36:37], off
.LBB131_25:                             ;   in Loop: Header=BB131_10 Depth=1
	s_wait_xcnt 0x0
	s_or_b32 exec_lo, exec_lo, s21
	s_and_saveexec_b32 s21, s1
	s_cbranch_execz .LBB131_8
; %bb.26:                               ;   in Loop: Header=BB131_10 Depth=1
	s_and_not1_b32 vcc_lo, exec_lo, s4
	s_cbranch_vccnz .LBB131_29
; %bb.27:                               ;   in Loop: Header=BB131_10 Depth=1
	ds_load_b64 v[36:37], v30 offset:256
	v_lshl_add_u64 v[16:17], v[10:11], 3, v[16:17]
	s_wait_dscnt 0x0
	global_store_b64 v[16:17], v[36:37], off
	s_cbranch_execnz .LBB131_8
	s_branch .LBB131_30
.LBB131_28:                             ;   in Loop: Header=BB131_10 Depth=1
	s_branch .LBB131_24
.LBB131_29:                             ;   in Loop: Header=BB131_10 Depth=1
.LBB131_30:                             ;   in Loop: Header=BB131_10 Depth=1
	s_wait_xcnt 0x0
	ds_load_b64 v[16:17], v30 offset:256
	s_wait_dscnt 0x0
	global_store_b64 v[14:15], v[16:17], off offset:256
	s_branch .LBB131_8
.LBB131_31:
	s_endpgm
	.section	.rodata,"a",@progbits
	.p2align	6, 0x0
	.amdhsa_kernel _ZN9rocsparseL44csr2gebsr_wavefront_per_row_multipass_kernelILi256ELi2ELi64ELi64E21rocsparse_complex_numIfEEEv20rocsparse_direction_iiiiii21rocsparse_index_base_PKT3_PKiS9_S4_PS5_PiSB_
		.amdhsa_group_segment_fixed_size 4100
		.amdhsa_private_segment_fixed_size 0
		.amdhsa_kernarg_size 88
		.amdhsa_user_sgpr_count 2
		.amdhsa_user_sgpr_dispatch_ptr 0
		.amdhsa_user_sgpr_queue_ptr 0
		.amdhsa_user_sgpr_kernarg_segment_ptr 1
		.amdhsa_user_sgpr_dispatch_id 0
		.amdhsa_user_sgpr_kernarg_preload_length 0
		.amdhsa_user_sgpr_kernarg_preload_offset 0
		.amdhsa_user_sgpr_private_segment_size 0
		.amdhsa_wavefront_size32 1
		.amdhsa_uses_dynamic_stack 0
		.amdhsa_enable_private_segment 0
		.amdhsa_system_sgpr_workgroup_id_x 1
		.amdhsa_system_sgpr_workgroup_id_y 0
		.amdhsa_system_sgpr_workgroup_id_z 0
		.amdhsa_system_sgpr_workgroup_info 0
		.amdhsa_system_vgpr_workitem_id 0
		.amdhsa_next_free_vgpr 41
		.amdhsa_next_free_sgpr 24
		.amdhsa_named_barrier_count 0
		.amdhsa_reserve_vcc 1
		.amdhsa_float_round_mode_32 0
		.amdhsa_float_round_mode_16_64 0
		.amdhsa_float_denorm_mode_32 3
		.amdhsa_float_denorm_mode_16_64 3
		.amdhsa_fp16_overflow 0
		.amdhsa_memory_ordered 1
		.amdhsa_forward_progress 1
		.amdhsa_inst_pref_size 14
		.amdhsa_round_robin_scheduling 0
		.amdhsa_exception_fp_ieee_invalid_op 0
		.amdhsa_exception_fp_denorm_src 0
		.amdhsa_exception_fp_ieee_div_zero 0
		.amdhsa_exception_fp_ieee_overflow 0
		.amdhsa_exception_fp_ieee_underflow 0
		.amdhsa_exception_fp_ieee_inexact 0
		.amdhsa_exception_int_div_zero 0
	.end_amdhsa_kernel
	.section	.text._ZN9rocsparseL44csr2gebsr_wavefront_per_row_multipass_kernelILi256ELi2ELi64ELi64E21rocsparse_complex_numIfEEEv20rocsparse_direction_iiiiii21rocsparse_index_base_PKT3_PKiS9_S4_PS5_PiSB_,"axG",@progbits,_ZN9rocsparseL44csr2gebsr_wavefront_per_row_multipass_kernelILi256ELi2ELi64ELi64E21rocsparse_complex_numIfEEEv20rocsparse_direction_iiiiii21rocsparse_index_base_PKT3_PKiS9_S4_PS5_PiSB_,comdat
.Lfunc_end131:
	.size	_ZN9rocsparseL44csr2gebsr_wavefront_per_row_multipass_kernelILi256ELi2ELi64ELi64E21rocsparse_complex_numIfEEEv20rocsparse_direction_iiiiii21rocsparse_index_base_PKT3_PKiS9_S4_PS5_PiSB_, .Lfunc_end131-_ZN9rocsparseL44csr2gebsr_wavefront_per_row_multipass_kernelILi256ELi2ELi64ELi64E21rocsparse_complex_numIfEEEv20rocsparse_direction_iiiiii21rocsparse_index_base_PKT3_PKiS9_S4_PS5_PiSB_
                                        ; -- End function
	.set _ZN9rocsparseL44csr2gebsr_wavefront_per_row_multipass_kernelILi256ELi2ELi64ELi64E21rocsparse_complex_numIfEEEv20rocsparse_direction_iiiiii21rocsparse_index_base_PKT3_PKiS9_S4_PS5_PiSB_.num_vgpr, 41
	.set _ZN9rocsparseL44csr2gebsr_wavefront_per_row_multipass_kernelILi256ELi2ELi64ELi64E21rocsparse_complex_numIfEEEv20rocsparse_direction_iiiiii21rocsparse_index_base_PKT3_PKiS9_S4_PS5_PiSB_.num_agpr, 0
	.set _ZN9rocsparseL44csr2gebsr_wavefront_per_row_multipass_kernelILi256ELi2ELi64ELi64E21rocsparse_complex_numIfEEEv20rocsparse_direction_iiiiii21rocsparse_index_base_PKT3_PKiS9_S4_PS5_PiSB_.numbered_sgpr, 24
	.set _ZN9rocsparseL44csr2gebsr_wavefront_per_row_multipass_kernelILi256ELi2ELi64ELi64E21rocsparse_complex_numIfEEEv20rocsparse_direction_iiiiii21rocsparse_index_base_PKT3_PKiS9_S4_PS5_PiSB_.num_named_barrier, 0
	.set _ZN9rocsparseL44csr2gebsr_wavefront_per_row_multipass_kernelILi256ELi2ELi64ELi64E21rocsparse_complex_numIfEEEv20rocsparse_direction_iiiiii21rocsparse_index_base_PKT3_PKiS9_S4_PS5_PiSB_.private_seg_size, 0
	.set _ZN9rocsparseL44csr2gebsr_wavefront_per_row_multipass_kernelILi256ELi2ELi64ELi64E21rocsparse_complex_numIfEEEv20rocsparse_direction_iiiiii21rocsparse_index_base_PKT3_PKiS9_S4_PS5_PiSB_.uses_vcc, 1
	.set _ZN9rocsparseL44csr2gebsr_wavefront_per_row_multipass_kernelILi256ELi2ELi64ELi64E21rocsparse_complex_numIfEEEv20rocsparse_direction_iiiiii21rocsparse_index_base_PKT3_PKiS9_S4_PS5_PiSB_.uses_flat_scratch, 0
	.set _ZN9rocsparseL44csr2gebsr_wavefront_per_row_multipass_kernelILi256ELi2ELi64ELi64E21rocsparse_complex_numIfEEEv20rocsparse_direction_iiiiii21rocsparse_index_base_PKT3_PKiS9_S4_PS5_PiSB_.has_dyn_sized_stack, 0
	.set _ZN9rocsparseL44csr2gebsr_wavefront_per_row_multipass_kernelILi256ELi2ELi64ELi64E21rocsparse_complex_numIfEEEv20rocsparse_direction_iiiiii21rocsparse_index_base_PKT3_PKiS9_S4_PS5_PiSB_.has_recursion, 0
	.set _ZN9rocsparseL44csr2gebsr_wavefront_per_row_multipass_kernelILi256ELi2ELi64ELi64E21rocsparse_complex_numIfEEEv20rocsparse_direction_iiiiii21rocsparse_index_base_PKT3_PKiS9_S4_PS5_PiSB_.has_indirect_call, 0
	.section	.AMDGPU.csdata,"",@progbits
; Kernel info:
; codeLenInByte = 1732
; TotalNumSgprs: 26
; NumVgprs: 41
; ScratchSize: 0
; MemoryBound: 0
; FloatMode: 240
; IeeeMode: 1
; LDSByteSize: 4100 bytes/workgroup (compile time only)
; SGPRBlocks: 0
; VGPRBlocks: 2
; NumSGPRsForWavesPerEU: 26
; NumVGPRsForWavesPerEU: 41
; NamedBarCnt: 0
; Occupancy: 16
; WaveLimiterHint : 0
; COMPUTE_PGM_RSRC2:SCRATCH_EN: 0
; COMPUTE_PGM_RSRC2:USER_SGPR: 2
; COMPUTE_PGM_RSRC2:TRAP_HANDLER: 0
; COMPUTE_PGM_RSRC2:TGID_X_EN: 1
; COMPUTE_PGM_RSRC2:TGID_Y_EN: 0
; COMPUTE_PGM_RSRC2:TGID_Z_EN: 0
; COMPUTE_PGM_RSRC2:TIDIG_COMP_CNT: 0
	.section	.text._ZN9rocsparseL44csr2gebsr_wavefront_per_row_multipass_kernelILi256ELi2ELi64ELi32E21rocsparse_complex_numIfEEEv20rocsparse_direction_iiiiii21rocsparse_index_base_PKT3_PKiS9_S4_PS5_PiSB_,"axG",@progbits,_ZN9rocsparseL44csr2gebsr_wavefront_per_row_multipass_kernelILi256ELi2ELi64ELi32E21rocsparse_complex_numIfEEEv20rocsparse_direction_iiiiii21rocsparse_index_base_PKT3_PKiS9_S4_PS5_PiSB_,comdat
	.globl	_ZN9rocsparseL44csr2gebsr_wavefront_per_row_multipass_kernelILi256ELi2ELi64ELi32E21rocsparse_complex_numIfEEEv20rocsparse_direction_iiiiii21rocsparse_index_base_PKT3_PKiS9_S4_PS5_PiSB_ ; -- Begin function _ZN9rocsparseL44csr2gebsr_wavefront_per_row_multipass_kernelILi256ELi2ELi64ELi32E21rocsparse_complex_numIfEEEv20rocsparse_direction_iiiiii21rocsparse_index_base_PKT3_PKiS9_S4_PS5_PiSB_
	.p2align	8
	.type	_ZN9rocsparseL44csr2gebsr_wavefront_per_row_multipass_kernelILi256ELi2ELi64ELi32E21rocsparse_complex_numIfEEEv20rocsparse_direction_iiiiii21rocsparse_index_base_PKT3_PKiS9_S4_PS5_PiSB_,@function
_ZN9rocsparseL44csr2gebsr_wavefront_per_row_multipass_kernelILi256ELi2ELi64ELi32E21rocsparse_complex_numIfEEEv20rocsparse_direction_iiiiii21rocsparse_index_base_PKT3_PKiS9_S4_PS5_PiSB_: ; @_ZN9rocsparseL44csr2gebsr_wavefront_per_row_multipass_kernelILi256ELi2ELi64ELi32E21rocsparse_complex_numIfEEEv20rocsparse_direction_iiiiii21rocsparse_index_base_PKT3_PKiS9_S4_PS5_PiSB_
; %bb.0:
	s_clause 0x1
	s_load_b128 s[4:7], s[0:1], 0xc
	s_load_b64 s[14:15], s[0:1], 0x0
	s_bfe_u32 s2, ttmp6, 0x4000c
	s_and_b32 s3, ttmp6, 15
	s_add_co_i32 s2, s2, 1
	s_getreg_b32 s8, hwreg(HW_REG_IB_STS2, 6, 4)
	s_mul_i32 s2, ttmp9, s2
	v_dual_lshrrev_b32 v24, 5, v0 :: v_dual_mov_b32 v2, 0
	s_add_co_i32 s3, s3, s2
	s_cmp_eq_u32 s8, 0
	v_bfe_u32 v3, v0, 4, 1
	s_cselect_b32 s2, ttmp9, s3
	s_clause 0x1
	s_load_b32 s20, s[0:1], 0x1c
	s_load_b64 s[8:9], s[0:1], 0x28
	v_lshl_or_b32 v1, s2, 3, v24
	v_mov_b32_e32 v22, 0
	s_wait_kmcnt 0x0
	s_delay_alu instid0(VALU_DEP_2) | instskip(SKIP_1) | instid1(VALU_DEP_2)
	v_mad_u32 v4, v1, s6, v3
	v_cmp_gt_i32_e32 vcc_lo, s6, v3
	v_cmp_gt_i32_e64 s2, s15, v4
	s_and_b32 s2, vcc_lo, s2
	s_delay_alu instid0(SALU_CYCLE_1)
	s_and_saveexec_b32 s3, s2
	s_cbranch_execz .LBB132_2
; %bb.1:
	global_load_b32 v5, v4, s[8:9] scale_offset
	s_wait_loadcnt 0x0
	v_subrev_nc_u32_e32 v22, s20, v5
.LBB132_2:
	s_or_b32 exec_lo, exec_lo, s3
	v_mov_b32_e32 v25, 0
	s_and_saveexec_b32 s3, s2
	s_cbranch_execz .LBB132_4
; %bb.3:
	global_load_b32 v4, v4, s[8:9] offset:4 scale_offset
	s_wait_loadcnt 0x0
	v_subrev_nc_u32_e32 v25, s20, v4
.LBB132_4:
	s_or_b32 exec_lo, exec_lo, s3
	s_load_b32 s21, s[0:1], 0x38
	s_mov_b32 s3, exec_lo
	v_cmpx_gt_i32_e64 s4, v1
	s_cbranch_execz .LBB132_6
; %bb.5:
	s_load_b64 s[8:9], s[0:1], 0x48
	s_wait_kmcnt 0x0
	global_load_b32 v1, v1, s[8:9] scale_offset
	s_wait_loadcnt 0x0
	v_subrev_nc_u32_e32 v2, s21, v1
.LBB132_6:
	s_or_b32 exec_lo, exec_lo, s3
	s_cmp_lt_i32 s5, 1
	s_cbranch_scc1 .LBB132_41
; %bb.7:
	v_mbcnt_lo_u32_b32 v10, -1, 0
	s_clause 0x3
	s_load_b64 s[8:9], s[0:1], 0x50
	s_load_b64 s[2:3], s[0:1], 0x40
	;; [unrolled: 1-line block ×4, first 2 shown]
	s_cmp_lg_u32 s14, 0
	s_mov_b32 s15, 0
	s_cselect_b32 s4, -1, 0
	v_xor_b32_e32 v1, 8, v10
	v_dual_lshlrev_b32 v0, 9, v3 :: v_dual_bitop2_b32 v26, 15, v0 bitop3:0x40
	v_xor_b32_e32 v11, 16, v10
	s_mov_b32 s14, s6
	s_wait_xcnt 0x0
	v_cmp_gt_i32_e64 s0, 32, v1
	s_ashr_i32 s17, s7, 31
	v_lshl_or_b32 v27, v24, 10, v0
	s_mov_b32 s16, s7
	v_lshl_or_b32 v32, v10, 2, 60
	v_dual_cndmask_b32 v1, v10, v1, s0 :: v_dual_bitop2_b32 v4, 4, v10 bitop3:0x14
	s_mul_u64 s[18:19], s[16:17], s[14:15]
	s_abs_i32 s16, s7
	v_mov_b64_e32 v[16:17], 0
	s_delay_alu instid0(VALU_DEP_2)
	v_lshlrev_b32_e32 v28, 2, v1
	v_cmp_gt_i32_e64 s0, 32, v4
	v_xor_b32_e32 v0, 2, v10
	s_cvt_f32_u32 s1, s16
	v_dual_mov_b32 v37, 1 :: v_dual_bitop2_b32 v36, -16, v26 bitop3:0x54
	v_cndmask_b32_e64 v1, v10, v4, s0
	s_delay_alu instid0(VALU_DEP_3) | instskip(SKIP_2) | instid1(VALU_DEP_4)
	v_cmp_gt_i32_e64 s0, 32, v0
	v_xor_b32_e32 v5, 1, v10
	v_mul_lo_u32 v4, s7, v3
	v_dual_lshlrev_b32 v6, 3, v26 :: v_dual_lshlrev_b32 v29, 2, v1
	s_delay_alu instid0(VALU_DEP_4) | instskip(NEXT) | instid1(VALU_DEP_4)
	v_cndmask_b32_e64 v0, v10, v0, s0
	v_cmp_gt_i32_e64 s0, 32, v5
	v_mov_b32_e32 v39, 0
	s_mov_b32 s22, s15
	v_dual_mov_b32 v1, 0 :: v_dual_lshlrev_b32 v30, 2, v0
	v_dual_cndmask_b32 v5, v10, v5, s0 :: v_dual_lshlrev_b32 v0, 3, v3
	v_cmp_gt_i32_e64 s0, 32, v11
	s_delay_alu instid0(VALU_DEP_3) | instskip(NEXT) | instid1(VALU_DEP_3)
	v_dual_mov_b32 v7, v1 :: v_dual_bitop2_b32 v33, v27, v6 bitop3:0x54
	v_dual_lshlrev_b32 v31, 2, v5 :: v_dual_ashrrev_i32 v5, 31, v4
	s_delay_alu instid0(VALU_DEP_3)
	v_cndmask_b32_e64 v3, v10, v11, s0
	v_cmp_gt_u32_e64 s0, s7, v26
	v_mov_b32_e32 v11, v1
	v_mov_b32_e32 v35, 0x7c
	s_wait_kmcnt 0x0
	v_lshl_add_u64 v[8:9], v[4:5], 3, s[2:3]
	v_lshlrev_b32_e32 v34, 2, v3
	v_rcp_iflag_f32_e32 v3, s1
	v_add_nc_u64_e32 v[4:5], s[2:3], v[0:1]
	v_or_b32_e32 v0, 16, v26
	v_add_nc_u64_e32 v[6:7], v[8:9], v[6:7]
	v_mul_lo_u32 v8, v26, s6
	s_lshl_b32 s6, s6, 4
	v_mov_b32_e32 v9, v1
	v_readfirstlane_b32 s3, v3
	v_cmp_gt_u32_e64 s1, s7, v0
	v_or_b32_e32 v3, 48, v26
	v_dual_mov_b32 v13, v1 :: v_dual_bitop2_b32 v0, 32, v26 bitop3:0x54
	s_mul_f32 s14, s3, 0x4f7ffffe
	s_and_b32 s1, vcc_lo, s1
	s_delay_alu instid0(VALU_DEP_2)
	v_cmp_gt_u32_e64 s3, s7, v3
	v_add_nc_u32_e32 v10, s6, v8
	s_cvt_u32_f32 s14, s14
	v_cmp_gt_u32_e64 s2, s7, v0
	v_mov_b32_e32 v15, v1
	s_and_b32 s3, vcc_lo, s3
	v_add_nc_u32_e32 v12, s6, v10
	s_and_b32 s2, vcc_lo, s2
	s_delay_alu instid0(VALU_DEP_1) | instskip(SKIP_2) | instid1(SALU_CYCLE_1)
	v_add_nc_u32_e32 v14, s6, v12
	s_and_b32 s6, s0, vcc_lo
	s_sub_co_i32 s0, 0, s16
	s_mul_i32 s0, s0, s14
	s_delay_alu instid0(SALU_CYCLE_1) | instskip(NEXT) | instid1(SALU_CYCLE_1)
	s_mul_hi_u32 s0, s14, s0
	s_add_co_i32 s14, s14, s0
	s_branch .LBB132_10
.LBB132_8:                              ;   in Loop: Header=BB132_10 Depth=1
	s_wait_xcnt 0x0
	s_or_b32 exec_lo, exec_lo, s23
	v_mov_b32_e32 v0, 1
.LBB132_9:                              ;   in Loop: Header=BB132_10 Depth=1
	s_or_b32 exec_lo, exec_lo, s0
	ds_bpermute_b32 v3, v34, v38
	s_wait_storecnt_dscnt 0x0
	v_add_nc_u32_e32 v2, v0, v2
	v_min_i32_e32 v3, v3, v38
	ds_bpermute_b32 v18, v28, v3
	s_wait_dscnt 0x0
	v_min_i32_e32 v3, v18, v3
	ds_bpermute_b32 v18, v29, v3
	s_wait_dscnt 0x0
	;; [unrolled: 3-line block ×5, first 2 shown]
	v_cmp_le_i32_e32 vcc_lo, s5, v39
	s_or_b32 s22, vcc_lo, s22
	s_delay_alu instid0(SALU_CYCLE_1)
	s_and_not1_b32 exec_lo, exec_lo, s22
	s_cbranch_execz .LBB132_41
.LBB132_10:                             ; =>This Loop Header: Depth=1
                                        ;     Child Loop BB132_11 Depth 2
                                        ;     Child Loop BB132_15 Depth 2
	v_dual_mov_b32 v0, v33 :: v_dual_mov_b32 v3, v36
	s_mov_b32 s0, 0
	ds_store_b8 v24, v1 offset:8192
.LBB132_11:                             ;   Parent Loop BB132_10 Depth=1
                                        ; =>  This Inner Loop Header: Depth=2
	v_add_nc_u32_e32 v3, 16, v3
	ds_store_b64 v0, v[16:17]
	v_add_nc_u32_e32 v0, 0x80, v0
	v_cmp_lt_u32_e32 vcc_lo, 47, v3
	s_or_b32 s0, vcc_lo, s0
	s_delay_alu instid0(SALU_CYCLE_1)
	s_and_not1_b32 exec_lo, exec_lo, s0
	s_cbranch_execnz .LBB132_11
; %bb.12:                               ;   in Loop: Header=BB132_10 Depth=1
	s_or_b32 exec_lo, exec_lo, s0
	v_dual_add_nc_u32 v18, v22, v26 :: v_dual_mov_b32 v38, s5
	v_mov_b32_e32 v19, v25
	s_mov_b32 s23, exec_lo
	s_wait_dscnt 0x0
	s_delay_alu instid0(VALU_DEP_2)
	v_cmpx_lt_i32_e64 v18, v25
	s_cbranch_execz .LBB132_20
; %bb.13:                               ;   in Loop: Header=BB132_10 Depth=1
	v_mul_lo_u32 v3, v39, s7
	v_dual_mov_b32 v38, s5 :: v_dual_ashrrev_i32 v19, 31, v18
	s_mov_b32 s24, 0
	s_delay_alu instid0(VALU_DEP_1)
	v_lshl_add_u64 v[20:21], v[18:19], 2, s[12:13]
	v_lshl_add_u64 v[22:23], v[18:19], 3, s[10:11]
	v_mov_b32_e32 v19, v25
	s_branch .LBB132_15
.LBB132_14:                             ;   in Loop: Header=BB132_15 Depth=2
	s_wait_xcnt 0x0
	s_or_b32 exec_lo, exec_lo, s0
	v_add_nc_u32_e32 v18, 16, v18
	s_xor_b32 s25, vcc_lo, -1
	v_add_nc_u64_e32 v[20:21], 64, v[20:21]
	v_add_nc_u64_e32 v[22:23], 0x80, v[22:23]
	s_delay_alu instid0(VALU_DEP_3) | instskip(SKIP_1) | instid1(SALU_CYCLE_1)
	v_cmp_ge_i32_e64 s0, v18, v25
	s_or_b32 s0, s25, s0
	s_and_b32 s0, exec_lo, s0
	s_delay_alu instid0(SALU_CYCLE_1) | instskip(NEXT) | instid1(SALU_CYCLE_1)
	s_or_b32 s24, s0, s24
	s_and_not1_b32 exec_lo, exec_lo, s24
	s_cbranch_execz .LBB132_19
.LBB132_15:                             ;   Parent Loop BB132_10 Depth=1
                                        ; =>  This Inner Loop Header: Depth=2
	global_load_b32 v0, v[20:21], off
	s_wait_loadcnt 0x0
	v_subrev_nc_u32_e32 v40, s20, v0
	s_delay_alu instid0(VALU_DEP_1) | instskip(NEXT) | instid1(VALU_DEP_1)
	v_sub_nc_u32_e32 v0, 0, v40
	v_max_i32_e32 v0, v40, v0
	s_delay_alu instid0(VALU_DEP_1) | instskip(NEXT) | instid1(VALU_DEP_1)
	v_mul_u64_e32 v[42:43], s[14:15], v[0:1]
	v_mul_lo_u32 v41, v43, s16
	s_delay_alu instid0(VALU_DEP_1) | instskip(NEXT) | instid1(VALU_DEP_1)
	v_dual_sub_nc_u32 v0, v0, v41 :: v_dual_add_nc_u32 v41, 1, v43
	v_cmp_le_u32_e32 vcc_lo, s16, v0
	s_delay_alu instid0(VALU_DEP_2) | instskip(SKIP_1) | instid1(VALU_DEP_1)
	v_dual_cndmask_b32 v41, v43, v41, vcc_lo :: v_dual_ashrrev_i32 v43, 31, v40
	v_subrev_nc_u32_e32 v42, s16, v0
	v_dual_cndmask_b32 v0, v0, v42, vcc_lo :: v_dual_add_nc_u32 v42, 1, v41
	s_delay_alu instid0(VALU_DEP_1) | instskip(NEXT) | instid1(VALU_DEP_2)
	v_cmp_le_u32_e32 vcc_lo, s16, v0
	v_dual_cndmask_b32 v0, v41, v42, vcc_lo :: v_dual_bitop2_b32 v43, s17, v43 bitop3:0x14
	s_delay_alu instid0(VALU_DEP_1) | instskip(NEXT) | instid1(VALU_DEP_1)
	v_xor_b32_e32 v0, v0, v43
	v_dual_mov_b32 v0, v19 :: v_dual_sub_nc_u32 v41, v0, v43
	s_delay_alu instid0(VALU_DEP_1) | instskip(SKIP_3) | instid1(SALU_CYCLE_1)
	v_cmp_ne_u32_e64 s0, v41, v39
	v_cmp_eq_u32_e32 vcc_lo, v41, v39
	s_wait_xcnt 0x0
	s_and_saveexec_b32 s25, s0
	s_xor_b32 s0, exec_lo, s25
; %bb.16:                               ;   in Loop: Header=BB132_15 Depth=2
	v_min_i32_e32 v38, v41, v38
                                        ; implicit-def: $vgpr40
                                        ; implicit-def: $vgpr0
; %bb.17:                               ;   in Loop: Header=BB132_15 Depth=2
	s_or_saveexec_b32 s0, s0
	v_mov_b32_e32 v19, v18
	s_xor_b32 exec_lo, exec_lo, s0
	s_cbranch_execz .LBB132_14
; %bb.18:                               ;   in Loop: Header=BB132_15 Depth=2
	global_load_b64 v[42:43], v[22:23], off
	v_sub_nc_u32_e32 v19, v40, v3
	s_delay_alu instid0(VALU_DEP_1)
	v_lshl_add_u32 v40, v19, 3, v27
	v_mov_b32_e32 v19, v0
	ds_store_b8 v24, v37 offset:8192
	s_wait_loadcnt 0x0
	ds_store_b64 v40, v[42:43]
	s_branch .LBB132_14
.LBB132_19:                             ;   in Loop: Header=BB132_10 Depth=1
	s_or_b32 exec_lo, exec_lo, s24
.LBB132_20:                             ;   in Loop: Header=BB132_10 Depth=1
	s_delay_alu instid0(SALU_CYCLE_1)
	s_or_b32 exec_lo, exec_lo, s23
	ds_bpermute_b32 v0, v28, v19
	s_wait_dscnt 0x0
	ds_load_u8 v18, v24 offset:8192
	v_min_i32_e32 v0, v0, v19
	ds_bpermute_b32 v3, v29, v0
	s_wait_dscnt 0x0
	v_min_i32_e32 v0, v3, v0
	ds_bpermute_b32 v3, v30, v0
	s_wait_dscnt 0x0
	;; [unrolled: 3-line block ×3, first 2 shown]
	v_min_i32_e32 v0, v3, v0
	ds_bpermute_b32 v22, v32, v0
	v_and_b32_e32 v0, 1, v18
	s_delay_alu instid0(VALU_DEP_1)
	v_cmp_eq_u32_e32 vcc_lo, 1, v0
	v_mov_b32_e32 v0, 0
	s_and_saveexec_b32 s0, vcc_lo
	s_cbranch_execz .LBB132_9
; %bb.21:                               ;   in Loop: Header=BB132_10 Depth=1
	v_dual_ashrrev_i32 v3, 31, v2 :: v_dual_add_nc_u32 v0, s21, v39
	s_delay_alu instid0(VALU_DEP_1) | instskip(SKIP_2) | instid1(VALU_DEP_1)
	v_mul_u64_e32 v[18:19], s[18:19], v[2:3]
	global_store_b32 v2, v0, s[8:9] scale_offset
	v_lshlrev_b64_e32 v[18:19], 3, v[18:19]
	v_add_nc_u64_e32 v[20:21], v[4:5], v[18:19]
	v_add_nc_u64_e32 v[18:19], v[6:7], v[18:19]
	s_wait_xcnt 0x0
	s_and_saveexec_b32 s23, s6
	s_cbranch_execz .LBB132_25
; %bb.22:                               ;   in Loop: Header=BB132_10 Depth=1
	s_and_b32 vcc_lo, exec_lo, s4
	s_cbranch_vccz .LBB132_36
; %bb.23:                               ;   in Loop: Header=BB132_10 Depth=1
	ds_load_b64 v[40:41], v33
	v_lshl_add_u64 v[42:43], v[8:9], 3, v[20:21]
	s_wait_dscnt 0x0
	global_store_b64 v[42:43], v[40:41], off
	s_cbranch_execnz .LBB132_25
.LBB132_24:                             ;   in Loop: Header=BB132_10 Depth=1
	s_wait_xcnt 0x0
	ds_load_b64 v[40:41], v33
	s_wait_dscnt 0x0
	global_store_b64 v[18:19], v[40:41], off
.LBB132_25:                             ;   in Loop: Header=BB132_10 Depth=1
	s_wait_xcnt 0x0
	s_or_b32 exec_lo, exec_lo, s23
	s_and_saveexec_b32 s23, s1
	s_cbranch_execz .LBB132_29
; %bb.26:                               ;   in Loop: Header=BB132_10 Depth=1
	s_and_not1_b32 vcc_lo, exec_lo, s4
	s_cbranch_vccnz .LBB132_37
; %bb.27:                               ;   in Loop: Header=BB132_10 Depth=1
	ds_load_b64 v[40:41], v33 offset:128
	v_lshl_add_u64 v[42:43], v[10:11], 3, v[20:21]
	s_wait_dscnt 0x0
	global_store_b64 v[42:43], v[40:41], off
	s_cbranch_execnz .LBB132_29
.LBB132_28:                             ;   in Loop: Header=BB132_10 Depth=1
	s_wait_xcnt 0x0
	ds_load_b64 v[40:41], v33 offset:128
	s_wait_dscnt 0x0
	global_store_b64 v[18:19], v[40:41], off offset:128
.LBB132_29:                             ;   in Loop: Header=BB132_10 Depth=1
	s_wait_xcnt 0x0
	s_or_b32 exec_lo, exec_lo, s23
	s_and_saveexec_b32 s23, s2
	s_cbranch_execz .LBB132_33
; %bb.30:                               ;   in Loop: Header=BB132_10 Depth=1
	s_and_not1_b32 vcc_lo, exec_lo, s4
	s_cbranch_vccnz .LBB132_38
; %bb.31:                               ;   in Loop: Header=BB132_10 Depth=1
	ds_load_b64 v[40:41], v33 offset:256
	v_lshl_add_u64 v[42:43], v[12:13], 3, v[20:21]
	s_wait_dscnt 0x0
	global_store_b64 v[42:43], v[40:41], off
	s_cbranch_execnz .LBB132_33
.LBB132_32:                             ;   in Loop: Header=BB132_10 Depth=1
	s_wait_xcnt 0x0
	ds_load_b64 v[40:41], v33 offset:256
	s_wait_dscnt 0x0
	global_store_b64 v[18:19], v[40:41], off offset:256
.LBB132_33:                             ;   in Loop: Header=BB132_10 Depth=1
	s_wait_xcnt 0x0
	s_or_b32 exec_lo, exec_lo, s23
	s_and_saveexec_b32 s23, s3
	s_cbranch_execz .LBB132_8
; %bb.34:                               ;   in Loop: Header=BB132_10 Depth=1
	s_and_not1_b32 vcc_lo, exec_lo, s4
	s_cbranch_vccnz .LBB132_39
; %bb.35:                               ;   in Loop: Header=BB132_10 Depth=1
	ds_load_b64 v[40:41], v33 offset:384
	v_lshl_add_u64 v[20:21], v[14:15], 3, v[20:21]
	s_wait_dscnt 0x0
	global_store_b64 v[20:21], v[40:41], off
	s_cbranch_execnz .LBB132_8
	s_branch .LBB132_40
.LBB132_36:                             ;   in Loop: Header=BB132_10 Depth=1
	s_branch .LBB132_24
.LBB132_37:                             ;   in Loop: Header=BB132_10 Depth=1
	s_branch .LBB132_28
.LBB132_38:                             ;   in Loop: Header=BB132_10 Depth=1
	s_branch .LBB132_32
.LBB132_39:                             ;   in Loop: Header=BB132_10 Depth=1
.LBB132_40:                             ;   in Loop: Header=BB132_10 Depth=1
	s_wait_xcnt 0x0
	ds_load_b64 v[20:21], v33 offset:384
	s_wait_dscnt 0x0
	global_store_b64 v[18:19], v[20:21], off offset:384
	s_branch .LBB132_8
.LBB132_41:
	s_endpgm
	.section	.rodata,"a",@progbits
	.p2align	6, 0x0
	.amdhsa_kernel _ZN9rocsparseL44csr2gebsr_wavefront_per_row_multipass_kernelILi256ELi2ELi64ELi32E21rocsparse_complex_numIfEEEv20rocsparse_direction_iiiiii21rocsparse_index_base_PKT3_PKiS9_S4_PS5_PiSB_
		.amdhsa_group_segment_fixed_size 8200
		.amdhsa_private_segment_fixed_size 0
		.amdhsa_kernarg_size 88
		.amdhsa_user_sgpr_count 2
		.amdhsa_user_sgpr_dispatch_ptr 0
		.amdhsa_user_sgpr_queue_ptr 0
		.amdhsa_user_sgpr_kernarg_segment_ptr 1
		.amdhsa_user_sgpr_dispatch_id 0
		.amdhsa_user_sgpr_kernarg_preload_length 0
		.amdhsa_user_sgpr_kernarg_preload_offset 0
		.amdhsa_user_sgpr_private_segment_size 0
		.amdhsa_wavefront_size32 1
		.amdhsa_uses_dynamic_stack 0
		.amdhsa_enable_private_segment 0
		.amdhsa_system_sgpr_workgroup_id_x 1
		.amdhsa_system_sgpr_workgroup_id_y 0
		.amdhsa_system_sgpr_workgroup_id_z 0
		.amdhsa_system_sgpr_workgroup_info 0
		.amdhsa_system_vgpr_workitem_id 0
		.amdhsa_next_free_vgpr 44
		.amdhsa_next_free_sgpr 26
		.amdhsa_named_barrier_count 0
		.amdhsa_reserve_vcc 1
		.amdhsa_float_round_mode_32 0
		.amdhsa_float_round_mode_16_64 0
		.amdhsa_float_denorm_mode_32 3
		.amdhsa_float_denorm_mode_16_64 3
		.amdhsa_fp16_overflow 0
		.amdhsa_memory_ordered 1
		.amdhsa_forward_progress 1
		.amdhsa_inst_pref_size 15
		.amdhsa_round_robin_scheduling 0
		.amdhsa_exception_fp_ieee_invalid_op 0
		.amdhsa_exception_fp_denorm_src 0
		.amdhsa_exception_fp_ieee_div_zero 0
		.amdhsa_exception_fp_ieee_overflow 0
		.amdhsa_exception_fp_ieee_underflow 0
		.amdhsa_exception_fp_ieee_inexact 0
		.amdhsa_exception_int_div_zero 0
	.end_amdhsa_kernel
	.section	.text._ZN9rocsparseL44csr2gebsr_wavefront_per_row_multipass_kernelILi256ELi2ELi64ELi32E21rocsparse_complex_numIfEEEv20rocsparse_direction_iiiiii21rocsparse_index_base_PKT3_PKiS9_S4_PS5_PiSB_,"axG",@progbits,_ZN9rocsparseL44csr2gebsr_wavefront_per_row_multipass_kernelILi256ELi2ELi64ELi32E21rocsparse_complex_numIfEEEv20rocsparse_direction_iiiiii21rocsparse_index_base_PKT3_PKiS9_S4_PS5_PiSB_,comdat
.Lfunc_end132:
	.size	_ZN9rocsparseL44csr2gebsr_wavefront_per_row_multipass_kernelILi256ELi2ELi64ELi32E21rocsparse_complex_numIfEEEv20rocsparse_direction_iiiiii21rocsparse_index_base_PKT3_PKiS9_S4_PS5_PiSB_, .Lfunc_end132-_ZN9rocsparseL44csr2gebsr_wavefront_per_row_multipass_kernelILi256ELi2ELi64ELi32E21rocsparse_complex_numIfEEEv20rocsparse_direction_iiiiii21rocsparse_index_base_PKT3_PKiS9_S4_PS5_PiSB_
                                        ; -- End function
	.set _ZN9rocsparseL44csr2gebsr_wavefront_per_row_multipass_kernelILi256ELi2ELi64ELi32E21rocsparse_complex_numIfEEEv20rocsparse_direction_iiiiii21rocsparse_index_base_PKT3_PKiS9_S4_PS5_PiSB_.num_vgpr, 44
	.set _ZN9rocsparseL44csr2gebsr_wavefront_per_row_multipass_kernelILi256ELi2ELi64ELi32E21rocsparse_complex_numIfEEEv20rocsparse_direction_iiiiii21rocsparse_index_base_PKT3_PKiS9_S4_PS5_PiSB_.num_agpr, 0
	.set _ZN9rocsparseL44csr2gebsr_wavefront_per_row_multipass_kernelILi256ELi2ELi64ELi32E21rocsparse_complex_numIfEEEv20rocsparse_direction_iiiiii21rocsparse_index_base_PKT3_PKiS9_S4_PS5_PiSB_.numbered_sgpr, 26
	.set _ZN9rocsparseL44csr2gebsr_wavefront_per_row_multipass_kernelILi256ELi2ELi64ELi32E21rocsparse_complex_numIfEEEv20rocsparse_direction_iiiiii21rocsparse_index_base_PKT3_PKiS9_S4_PS5_PiSB_.num_named_barrier, 0
	.set _ZN9rocsparseL44csr2gebsr_wavefront_per_row_multipass_kernelILi256ELi2ELi64ELi32E21rocsparse_complex_numIfEEEv20rocsparse_direction_iiiiii21rocsparse_index_base_PKT3_PKiS9_S4_PS5_PiSB_.private_seg_size, 0
	.set _ZN9rocsparseL44csr2gebsr_wavefront_per_row_multipass_kernelILi256ELi2ELi64ELi32E21rocsparse_complex_numIfEEEv20rocsparse_direction_iiiiii21rocsparse_index_base_PKT3_PKiS9_S4_PS5_PiSB_.uses_vcc, 1
	.set _ZN9rocsparseL44csr2gebsr_wavefront_per_row_multipass_kernelILi256ELi2ELi64ELi32E21rocsparse_complex_numIfEEEv20rocsparse_direction_iiiiii21rocsparse_index_base_PKT3_PKiS9_S4_PS5_PiSB_.uses_flat_scratch, 0
	.set _ZN9rocsparseL44csr2gebsr_wavefront_per_row_multipass_kernelILi256ELi2ELi64ELi32E21rocsparse_complex_numIfEEEv20rocsparse_direction_iiiiii21rocsparse_index_base_PKT3_PKiS9_S4_PS5_PiSB_.has_dyn_sized_stack, 0
	.set _ZN9rocsparseL44csr2gebsr_wavefront_per_row_multipass_kernelILi256ELi2ELi64ELi32E21rocsparse_complex_numIfEEEv20rocsparse_direction_iiiiii21rocsparse_index_base_PKT3_PKiS9_S4_PS5_PiSB_.has_recursion, 0
	.set _ZN9rocsparseL44csr2gebsr_wavefront_per_row_multipass_kernelILi256ELi2ELi64ELi32E21rocsparse_complex_numIfEEEv20rocsparse_direction_iiiiii21rocsparse_index_base_PKT3_PKiS9_S4_PS5_PiSB_.has_indirect_call, 0
	.section	.AMDGPU.csdata,"",@progbits
; Kernel info:
; codeLenInByte = 1904
; TotalNumSgprs: 28
; NumVgprs: 44
; ScratchSize: 0
; MemoryBound: 0
; FloatMode: 240
; IeeeMode: 1
; LDSByteSize: 8200 bytes/workgroup (compile time only)
; SGPRBlocks: 0
; VGPRBlocks: 2
; NumSGPRsForWavesPerEU: 28
; NumVGPRsForWavesPerEU: 44
; NamedBarCnt: 0
; Occupancy: 16
; WaveLimiterHint : 0
; COMPUTE_PGM_RSRC2:SCRATCH_EN: 0
; COMPUTE_PGM_RSRC2:USER_SGPR: 2
; COMPUTE_PGM_RSRC2:TRAP_HANDLER: 0
; COMPUTE_PGM_RSRC2:TGID_X_EN: 1
; COMPUTE_PGM_RSRC2:TGID_Y_EN: 0
; COMPUTE_PGM_RSRC2:TGID_Z_EN: 0
; COMPUTE_PGM_RSRC2:TIDIG_COMP_CNT: 0
	.section	.text._ZN9rocsparseL44csr2gebsr_wavefront_per_row_multipass_kernelILi256ELi4ELi2ELi8E21rocsparse_complex_numIfEEEv20rocsparse_direction_iiiiii21rocsparse_index_base_PKT3_PKiS9_S4_PS5_PiSB_,"axG",@progbits,_ZN9rocsparseL44csr2gebsr_wavefront_per_row_multipass_kernelILi256ELi4ELi2ELi8E21rocsparse_complex_numIfEEEv20rocsparse_direction_iiiiii21rocsparse_index_base_PKT3_PKiS9_S4_PS5_PiSB_,comdat
	.globl	_ZN9rocsparseL44csr2gebsr_wavefront_per_row_multipass_kernelILi256ELi4ELi2ELi8E21rocsparse_complex_numIfEEEv20rocsparse_direction_iiiiii21rocsparse_index_base_PKT3_PKiS9_S4_PS5_PiSB_ ; -- Begin function _ZN9rocsparseL44csr2gebsr_wavefront_per_row_multipass_kernelILi256ELi4ELi2ELi8E21rocsparse_complex_numIfEEEv20rocsparse_direction_iiiiii21rocsparse_index_base_PKT3_PKiS9_S4_PS5_PiSB_
	.p2align	8
	.type	_ZN9rocsparseL44csr2gebsr_wavefront_per_row_multipass_kernelILi256ELi4ELi2ELi8E21rocsparse_complex_numIfEEEv20rocsparse_direction_iiiiii21rocsparse_index_base_PKT3_PKiS9_S4_PS5_PiSB_,@function
_ZN9rocsparseL44csr2gebsr_wavefront_per_row_multipass_kernelILi256ELi4ELi2ELi8E21rocsparse_complex_numIfEEEv20rocsparse_direction_iiiiii21rocsparse_index_base_PKT3_PKiS9_S4_PS5_PiSB_: ; @_ZN9rocsparseL44csr2gebsr_wavefront_per_row_multipass_kernelILi256ELi4ELi2ELi8E21rocsparse_complex_numIfEEEv20rocsparse_direction_iiiiii21rocsparse_index_base_PKT3_PKiS9_S4_PS5_PiSB_
; %bb.0:
	s_clause 0x1
	s_load_b128 s[4:7], s[0:1], 0xc
	s_load_b64 s[12:13], s[0:1], 0x0
	s_bfe_u32 s2, ttmp6, 0x4000c
	s_and_b32 s3, ttmp6, 15
	s_add_co_i32 s2, s2, 1
	s_getreg_b32 s8, hwreg(HW_REG_IB_STS2, 6, 4)
	s_mul_i32 s2, ttmp9, s2
	v_dual_lshrrev_b32 v18, 3, v0 :: v_dual_mov_b32 v2, 0
	s_add_co_i32 s3, s3, s2
	s_cmp_eq_u32 s8, 0
	v_bfe_u32 v3, v0, 1, 2
	s_cselect_b32 s2, ttmp9, s3
	s_clause 0x1
	s_load_b32 s16, s[0:1], 0x1c
	s_load_b64 s[8:9], s[0:1], 0x28
	v_lshl_or_b32 v1, s2, 5, v18
	v_mov_b32_e32 v8, 0
	s_wait_kmcnt 0x0
	s_delay_alu instid0(VALU_DEP_2) | instskip(SKIP_1) | instid1(VALU_DEP_2)
	v_mad_u32 v4, v1, s6, v3
	v_cmp_gt_i32_e32 vcc_lo, s6, v3
	v_cmp_gt_i32_e64 s2, s13, v4
	s_and_b32 s2, vcc_lo, s2
	s_delay_alu instid0(SALU_CYCLE_1)
	s_and_saveexec_b32 s3, s2
	s_cbranch_execz .LBB133_2
; %bb.1:
	global_load_b32 v5, v4, s[8:9] scale_offset
	s_wait_loadcnt 0x0
	v_subrev_nc_u32_e32 v8, s16, v5
.LBB133_2:
	s_or_b32 exec_lo, exec_lo, s3
	v_mov_b32_e32 v19, 0
	s_and_saveexec_b32 s3, s2
	s_cbranch_execz .LBB133_4
; %bb.3:
	global_load_b32 v4, v4, s[8:9] offset:4 scale_offset
	s_wait_loadcnt 0x0
	v_subrev_nc_u32_e32 v19, s16, v4
.LBB133_4:
	s_or_b32 exec_lo, exec_lo, s3
	s_load_b32 s17, s[0:1], 0x38
	s_mov_b32 s3, exec_lo
	v_cmpx_gt_i32_e64 s4, v1
	s_cbranch_execz .LBB133_6
; %bb.5:
	s_load_b64 s[8:9], s[0:1], 0x48
	s_wait_kmcnt 0x0
	global_load_b32 v1, v1, s[8:9] scale_offset
	s_wait_loadcnt 0x0
	v_subrev_nc_u32_e32 v2, s17, v1
.LBB133_6:
	s_or_b32 exec_lo, exec_lo, s3
	s_cmp_lt_i32 s5, 1
	s_cbranch_scc1 .LBB133_24
; %bb.7:
	v_mbcnt_lo_u32_b32 v9, -1, 0
	s_clause 0x3
	s_load_b64 s[2:3], s[0:1], 0x50
	s_load_b64 s[14:15], s[0:1], 0x40
	;; [unrolled: 1-line block ×4, first 2 shown]
	v_mul_lo_u32 v12, s7, v3
	s_mov_b32 s13, 0
	v_dual_lshlrev_b32 v5, 4, v3 :: v_dual_bitop2_b32 v1, 1, v9 bitop3:0x14
	v_mov_b32_e32 v27, 1
	s_wait_xcnt 0x0
	s_delay_alu instid0(VALU_DEP_2) | instskip(SKIP_2) | instid1(VALU_DEP_3)
	v_cmp_gt_i32_e64 s0, 32, v1
	v_and_b32_e32 v4, 1, v0
	v_and_b32_e32 v0, 0xf8, v0
	v_dual_ashrrev_i32 v13, 31, v12 :: v_dual_cndmask_b32 v1, v9, v1, s0
	s_delay_alu instid0(VALU_DEP_3) | instskip(NEXT) | instid1(VALU_DEP_3)
	v_cmp_gt_u32_e64 s0, s7, v4
	v_lshl_or_b32 v20, v0, 3, v5
	v_mul_lo_u32 v0, s6, v4
	v_dual_lshlrev_b32 v14, 2, v9 :: v_dual_lshlrev_b32 v10, 3, v4
	s_and_b32 s4, vcc_lo, s0
	v_lshlrev_b32_e32 v21, 2, v1
	s_cmp_lg_u32 s12, 0
	s_delay_alu instid0(VALU_DEP_2)
	v_dual_mov_b32 v1, 0 :: v_dual_bitop2_b32 v23, v20, v10 bitop3:0x54
	s_cselect_b32 s18, -1, 0
	s_abs_i32 s19, s7
	s_mov_b32 s12, s6
	s_cvt_f32_u32 s0, s19
	s_wait_kmcnt 0x0
	v_lshl_add_u64 v[6:7], v[0:1], 3, s[14:15]
	v_dual_mov_b32 v5, v1 :: v_dual_lshlrev_b32 v0, 3, v3
	v_rcp_iflag_f32_e32 v3, s0
	v_lshl_add_u64 v[12:13], v[12:13], 3, s[14:15]
	s_sub_co_i32 s14, 0, s19
	s_delay_alu instid0(VALU_DEP_2) | instskip(SKIP_2) | instid1(TRANS32_DEP_1)
	v_add_nc_u64_e32 v[6:7], v[6:7], v[0:1]
	v_dual_mov_b32 v11, v1 :: v_dual_bitop2_b32 v0, 4, v9 bitop3:0x14
	v_or_b32_e32 v22, 4, v14
	v_readfirstlane_b32 s6, v3
	v_xor_b32_e32 v3, 2, v9
	s_delay_alu instid0(VALU_DEP_4)
	v_cmp_gt_i32_e32 vcc_lo, 32, v0
	v_add_nc_u64_e32 v[10:11], v[12:13], v[10:11]
	v_mov_b64_e32 v[12:13], 0
	s_mul_f32 s6, s6, 0x4f7ffffe
	v_dual_cndmask_b32 v0, v9, v0, vcc_lo :: v_dual_bitop2_b32 v26, 28, v14 bitop3:0x54
	v_cmp_gt_i32_e32 vcc_lo, 32, v3
	s_delay_alu instid0(SALU_CYCLE_1)
	s_cvt_u32_f32 s6, s6
	s_ashr_i32 s1, s7, 31
	s_mov_b32 s0, s7
	v_cndmask_b32_e32 v3, v9, v3, vcc_lo
	s_mul_i32 s14, s14, s6
	v_lshlrev_b32_e32 v24, 2, v0
	s_mul_hi_u32 s20, s6, s14
	s_mul_u64 s[14:15], s[0:1], s[12:13]
	v_dual_lshlrev_b32 v25, 2, v3 :: v_dual_mov_b32 v3, 0
	s_add_co_i32 s12, s6, s20
	s_mov_b32 s6, s13
	s_branch .LBB133_10
.LBB133_8:                              ;   in Loop: Header=BB133_10 Depth=1
	s_wait_xcnt 0x0
	s_or_b32 exec_lo, exec_lo, s20
	v_mov_b32_e32 v0, 1
.LBB133_9:                              ;   in Loop: Header=BB133_10 Depth=1
	s_or_b32 exec_lo, exec_lo, s0
	ds_bpermute_b32 v3, v24, v28
	s_wait_storecnt_dscnt 0x0
	v_dual_add_nc_u32 v2, v0, v2 :: v_dual_min_i32 v3, v3, v28
	ds_bpermute_b32 v9, v25, v3
	s_wait_dscnt 0x0
	v_min_i32_e32 v3, v9, v3
	ds_bpermute_b32 v9, v21, v3
	s_wait_dscnt 0x0
	v_min_i32_e32 v3, v9, v3
	ds_bpermute_b32 v3, v26, v3
	s_wait_dscnt 0x0
	v_cmp_le_i32_e32 vcc_lo, s5, v3
	s_or_b32 s6, vcc_lo, s6
	s_delay_alu instid0(SALU_CYCLE_1)
	s_and_not1_b32 exec_lo, exec_lo, s6
	s_cbranch_execz .LBB133_24
.LBB133_10:                             ; =>This Loop Header: Depth=1
                                        ;     Child Loop BB133_13 Depth 2
	v_dual_add_nc_u32 v16, v8, v4 :: v_dual_mov_b32 v28, s5
	v_mov_b32_e32 v29, v19
	s_mov_b32 s20, exec_lo
	ds_store_b8 v18, v1 offset:2048
	ds_store_b64 v23, v[12:13]
	s_wait_dscnt 0x0
	v_cmpx_lt_i32_e64 v16, v19
	s_cbranch_execz .LBB133_18
; %bb.11:                               ;   in Loop: Header=BB133_10 Depth=1
	v_dual_mov_b32 v28, s5 :: v_dual_ashrrev_i32 v9, 31, v8
	v_mul_lo_u32 v17, v3, s7
	v_mov_b32_e32 v29, v19
	s_mov_b32 s21, 0
	s_delay_alu instid0(VALU_DEP_3) | instskip(NEXT) | instid1(VALU_DEP_1)
	v_add_nc_u64_e32 v[14:15], v[4:5], v[8:9]
	v_lshl_add_u64 v[8:9], v[14:15], 2, s[10:11]
	v_lshl_add_u64 v[14:15], v[14:15], 3, s[8:9]
	s_branch .LBB133_13
.LBB133_12:                             ;   in Loop: Header=BB133_13 Depth=2
	s_wait_xcnt 0x0
	s_or_b32 exec_lo, exec_lo, s0
	v_add_nc_u32_e32 v16, 2, v16
	s_xor_b32 s22, vcc_lo, -1
	v_add_nc_u64_e32 v[8:9], 8, v[8:9]
	v_add_nc_u64_e32 v[14:15], 16, v[14:15]
	s_delay_alu instid0(VALU_DEP_3) | instskip(SKIP_1) | instid1(SALU_CYCLE_1)
	v_cmp_ge_i32_e64 s0, v16, v19
	s_or_b32 s0, s22, s0
	s_and_b32 s0, exec_lo, s0
	s_delay_alu instid0(SALU_CYCLE_1) | instskip(NEXT) | instid1(SALU_CYCLE_1)
	s_or_b32 s21, s0, s21
	s_and_not1_b32 exec_lo, exec_lo, s21
	s_cbranch_execz .LBB133_17
.LBB133_13:                             ;   Parent Loop BB133_10 Depth=1
                                        ; =>  This Inner Loop Header: Depth=2
	global_load_b32 v0, v[8:9], off
	s_wait_loadcnt 0x0
	v_subrev_nc_u32_e32 v30, s16, v0
	s_delay_alu instid0(VALU_DEP_1) | instskip(NEXT) | instid1(VALU_DEP_1)
	v_sub_nc_u32_e32 v0, 0, v30
	v_max_i32_e32 v0, v30, v0
	s_delay_alu instid0(VALU_DEP_1) | instskip(NEXT) | instid1(VALU_DEP_1)
	v_mul_u64_e32 v[32:33], s[12:13], v[0:1]
	v_mul_lo_u32 v31, v33, s19
	s_delay_alu instid0(VALU_DEP_1) | instskip(NEXT) | instid1(VALU_DEP_1)
	v_dual_sub_nc_u32 v0, v0, v31 :: v_dual_add_nc_u32 v31, 1, v33
	v_cmp_le_u32_e32 vcc_lo, s19, v0
	s_delay_alu instid0(VALU_DEP_2) | instskip(SKIP_1) | instid1(VALU_DEP_1)
	v_dual_cndmask_b32 v31, v33, v31, vcc_lo :: v_dual_ashrrev_i32 v33, 31, v30
	v_subrev_nc_u32_e32 v32, s19, v0
	v_dual_cndmask_b32 v0, v0, v32, vcc_lo :: v_dual_add_nc_u32 v32, 1, v31
	s_delay_alu instid0(VALU_DEP_1) | instskip(NEXT) | instid1(VALU_DEP_2)
	v_cmp_le_u32_e32 vcc_lo, s19, v0
	v_dual_cndmask_b32 v0, v31, v32, vcc_lo :: v_dual_bitop2_b32 v33, s1, v33 bitop3:0x14
	s_delay_alu instid0(VALU_DEP_1) | instskip(NEXT) | instid1(VALU_DEP_1)
	v_xor_b32_e32 v0, v0, v33
	v_dual_mov_b32 v0, v29 :: v_dual_sub_nc_u32 v31, v0, v33
	s_delay_alu instid0(VALU_DEP_1) | instskip(SKIP_3) | instid1(SALU_CYCLE_1)
	v_cmp_ne_u32_e64 s0, v31, v3
	v_cmp_eq_u32_e32 vcc_lo, v31, v3
	s_wait_xcnt 0x0
	s_and_saveexec_b32 s22, s0
	s_xor_b32 s0, exec_lo, s22
; %bb.14:                               ;   in Loop: Header=BB133_13 Depth=2
	v_min_i32_e32 v28, v31, v28
                                        ; implicit-def: $vgpr30
                                        ; implicit-def: $vgpr0
; %bb.15:                               ;   in Loop: Header=BB133_13 Depth=2
	s_or_saveexec_b32 s0, s0
	v_mov_b32_e32 v29, v16
	s_xor_b32 exec_lo, exec_lo, s0
	s_cbranch_execz .LBB133_12
; %bb.16:                               ;   in Loop: Header=BB133_13 Depth=2
	global_load_b64 v[32:33], v[14:15], off
	v_sub_nc_u32_e32 v29, v30, v17
	s_delay_alu instid0(VALU_DEP_1)
	v_lshl_add_u32 v30, v29, 3, v20
	v_mov_b32_e32 v29, v0
	ds_store_b8 v18, v27 offset:2048
	s_wait_loadcnt 0x0
	ds_store_b64 v30, v[32:33]
	s_branch .LBB133_12
.LBB133_17:                             ;   in Loop: Header=BB133_10 Depth=1
	s_or_b32 exec_lo, exec_lo, s21
.LBB133_18:                             ;   in Loop: Header=BB133_10 Depth=1
	s_delay_alu instid0(SALU_CYCLE_1)
	s_or_b32 exec_lo, exec_lo, s20
	ds_bpermute_b32 v0, v21, v29
	s_wait_dscnt 0x0
	ds_load_u8 v9, v18 offset:2048
	v_min_i32_e32 v0, v0, v29
	ds_bpermute_b32 v8, v22, v0
	s_wait_dscnt 0x1
	v_and_b32_e32 v0, 1, v9
	s_delay_alu instid0(VALU_DEP_1)
	v_cmp_eq_u32_e32 vcc_lo, 1, v0
	v_mov_b32_e32 v0, 0
	s_and_saveexec_b32 s0, vcc_lo
	s_cbranch_execz .LBB133_9
; %bb.19:                               ;   in Loop: Header=BB133_10 Depth=1
	v_add_nc_u32_e32 v0, s17, v3
	global_store_b32 v2, v0, s[2:3] scale_offset
	s_wait_xcnt 0x0
	s_and_saveexec_b32 s20, s4
	s_cbranch_execz .LBB133_8
; %bb.20:                               ;   in Loop: Header=BB133_10 Depth=1
	v_ashrrev_i32_e32 v3, 31, v2
	ds_load_b64 v[16:17], v23
	s_and_b32 vcc_lo, exec_lo, s18
	v_mul_u64_e32 v[14:15], s[14:15], v[2:3]
	s_cbranch_vccz .LBB133_22
; %bb.21:                               ;   in Loop: Header=BB133_10 Depth=1
	s_delay_alu instid0(VALU_DEP_1)
	v_lshl_add_u64 v[30:31], v[14:15], 3, v[6:7]
	s_wait_dscnt 0x0
	global_store_b64 v[30:31], v[16:17], off
	s_cbranch_execnz .LBB133_8
	s_branch .LBB133_23
.LBB133_22:                             ;   in Loop: Header=BB133_10 Depth=1
.LBB133_23:                             ;   in Loop: Header=BB133_10 Depth=1
	s_delay_alu instid0(VALU_DEP_1)
	v_lshl_add_u64 v[14:15], v[14:15], 3, v[10:11]
	s_wait_dscnt 0x0
	global_store_b64 v[14:15], v[16:17], off
	s_branch .LBB133_8
.LBB133_24:
	s_endpgm
	.section	.rodata,"a",@progbits
	.p2align	6, 0x0
	.amdhsa_kernel _ZN9rocsparseL44csr2gebsr_wavefront_per_row_multipass_kernelILi256ELi4ELi2ELi8E21rocsparse_complex_numIfEEEv20rocsparse_direction_iiiiii21rocsparse_index_base_PKT3_PKiS9_S4_PS5_PiSB_
		.amdhsa_group_segment_fixed_size 2080
		.amdhsa_private_segment_fixed_size 0
		.amdhsa_kernarg_size 88
		.amdhsa_user_sgpr_count 2
		.amdhsa_user_sgpr_dispatch_ptr 0
		.amdhsa_user_sgpr_queue_ptr 0
		.amdhsa_user_sgpr_kernarg_segment_ptr 1
		.amdhsa_user_sgpr_dispatch_id 0
		.amdhsa_user_sgpr_kernarg_preload_length 0
		.amdhsa_user_sgpr_kernarg_preload_offset 0
		.amdhsa_user_sgpr_private_segment_size 0
		.amdhsa_wavefront_size32 1
		.amdhsa_uses_dynamic_stack 0
		.amdhsa_enable_private_segment 0
		.amdhsa_system_sgpr_workgroup_id_x 1
		.amdhsa_system_sgpr_workgroup_id_y 0
		.amdhsa_system_sgpr_workgroup_id_z 0
		.amdhsa_system_sgpr_workgroup_info 0
		.amdhsa_system_vgpr_workitem_id 0
		.amdhsa_next_free_vgpr 34
		.amdhsa_next_free_sgpr 23
		.amdhsa_named_barrier_count 0
		.amdhsa_reserve_vcc 1
		.amdhsa_float_round_mode_32 0
		.amdhsa_float_round_mode_16_64 0
		.amdhsa_float_denorm_mode_32 3
		.amdhsa_float_denorm_mode_16_64 3
		.amdhsa_fp16_overflow 0
		.amdhsa_memory_ordered 1
		.amdhsa_forward_progress 1
		.amdhsa_inst_pref_size 11
		.amdhsa_round_robin_scheduling 0
		.amdhsa_exception_fp_ieee_invalid_op 0
		.amdhsa_exception_fp_denorm_src 0
		.amdhsa_exception_fp_ieee_div_zero 0
		.amdhsa_exception_fp_ieee_overflow 0
		.amdhsa_exception_fp_ieee_underflow 0
		.amdhsa_exception_fp_ieee_inexact 0
		.amdhsa_exception_int_div_zero 0
	.end_amdhsa_kernel
	.section	.text._ZN9rocsparseL44csr2gebsr_wavefront_per_row_multipass_kernelILi256ELi4ELi2ELi8E21rocsparse_complex_numIfEEEv20rocsparse_direction_iiiiii21rocsparse_index_base_PKT3_PKiS9_S4_PS5_PiSB_,"axG",@progbits,_ZN9rocsparseL44csr2gebsr_wavefront_per_row_multipass_kernelILi256ELi4ELi2ELi8E21rocsparse_complex_numIfEEEv20rocsparse_direction_iiiiii21rocsparse_index_base_PKT3_PKiS9_S4_PS5_PiSB_,comdat
.Lfunc_end133:
	.size	_ZN9rocsparseL44csr2gebsr_wavefront_per_row_multipass_kernelILi256ELi4ELi2ELi8E21rocsparse_complex_numIfEEEv20rocsparse_direction_iiiiii21rocsparse_index_base_PKT3_PKiS9_S4_PS5_PiSB_, .Lfunc_end133-_ZN9rocsparseL44csr2gebsr_wavefront_per_row_multipass_kernelILi256ELi4ELi2ELi8E21rocsparse_complex_numIfEEEv20rocsparse_direction_iiiiii21rocsparse_index_base_PKT3_PKiS9_S4_PS5_PiSB_
                                        ; -- End function
	.set _ZN9rocsparseL44csr2gebsr_wavefront_per_row_multipass_kernelILi256ELi4ELi2ELi8E21rocsparse_complex_numIfEEEv20rocsparse_direction_iiiiii21rocsparse_index_base_PKT3_PKiS9_S4_PS5_PiSB_.num_vgpr, 34
	.set _ZN9rocsparseL44csr2gebsr_wavefront_per_row_multipass_kernelILi256ELi4ELi2ELi8E21rocsparse_complex_numIfEEEv20rocsparse_direction_iiiiii21rocsparse_index_base_PKT3_PKiS9_S4_PS5_PiSB_.num_agpr, 0
	.set _ZN9rocsparseL44csr2gebsr_wavefront_per_row_multipass_kernelILi256ELi4ELi2ELi8E21rocsparse_complex_numIfEEEv20rocsparse_direction_iiiiii21rocsparse_index_base_PKT3_PKiS9_S4_PS5_PiSB_.numbered_sgpr, 23
	.set _ZN9rocsparseL44csr2gebsr_wavefront_per_row_multipass_kernelILi256ELi4ELi2ELi8E21rocsparse_complex_numIfEEEv20rocsparse_direction_iiiiii21rocsparse_index_base_PKT3_PKiS9_S4_PS5_PiSB_.num_named_barrier, 0
	.set _ZN9rocsparseL44csr2gebsr_wavefront_per_row_multipass_kernelILi256ELi4ELi2ELi8E21rocsparse_complex_numIfEEEv20rocsparse_direction_iiiiii21rocsparse_index_base_PKT3_PKiS9_S4_PS5_PiSB_.private_seg_size, 0
	.set _ZN9rocsparseL44csr2gebsr_wavefront_per_row_multipass_kernelILi256ELi4ELi2ELi8E21rocsparse_complex_numIfEEEv20rocsparse_direction_iiiiii21rocsparse_index_base_PKT3_PKiS9_S4_PS5_PiSB_.uses_vcc, 1
	.set _ZN9rocsparseL44csr2gebsr_wavefront_per_row_multipass_kernelILi256ELi4ELi2ELi8E21rocsparse_complex_numIfEEEv20rocsparse_direction_iiiiii21rocsparse_index_base_PKT3_PKiS9_S4_PS5_PiSB_.uses_flat_scratch, 0
	.set _ZN9rocsparseL44csr2gebsr_wavefront_per_row_multipass_kernelILi256ELi4ELi2ELi8E21rocsparse_complex_numIfEEEv20rocsparse_direction_iiiiii21rocsparse_index_base_PKT3_PKiS9_S4_PS5_PiSB_.has_dyn_sized_stack, 0
	.set _ZN9rocsparseL44csr2gebsr_wavefront_per_row_multipass_kernelILi256ELi4ELi2ELi8E21rocsparse_complex_numIfEEEv20rocsparse_direction_iiiiii21rocsparse_index_base_PKT3_PKiS9_S4_PS5_PiSB_.has_recursion, 0
	.set _ZN9rocsparseL44csr2gebsr_wavefront_per_row_multipass_kernelILi256ELi4ELi2ELi8E21rocsparse_complex_numIfEEEv20rocsparse_direction_iiiiii21rocsparse_index_base_PKT3_PKiS9_S4_PS5_PiSB_.has_indirect_call, 0
	.section	.AMDGPU.csdata,"",@progbits
; Kernel info:
; codeLenInByte = 1348
; TotalNumSgprs: 25
; NumVgprs: 34
; ScratchSize: 0
; MemoryBound: 0
; FloatMode: 240
; IeeeMode: 1
; LDSByteSize: 2080 bytes/workgroup (compile time only)
; SGPRBlocks: 0
; VGPRBlocks: 2
; NumSGPRsForWavesPerEU: 25
; NumVGPRsForWavesPerEU: 34
; NamedBarCnt: 0
; Occupancy: 16
; WaveLimiterHint : 0
; COMPUTE_PGM_RSRC2:SCRATCH_EN: 0
; COMPUTE_PGM_RSRC2:USER_SGPR: 2
; COMPUTE_PGM_RSRC2:TRAP_HANDLER: 0
; COMPUTE_PGM_RSRC2:TGID_X_EN: 1
; COMPUTE_PGM_RSRC2:TGID_Y_EN: 0
; COMPUTE_PGM_RSRC2:TGID_Z_EN: 0
; COMPUTE_PGM_RSRC2:TIDIG_COMP_CNT: 0
	.section	.text._ZN9rocsparseL44csr2gebsr_wavefront_per_row_multipass_kernelILi256ELi4ELi4ELi16E21rocsparse_complex_numIfEEEv20rocsparse_direction_iiiiii21rocsparse_index_base_PKT3_PKiS9_S4_PS5_PiSB_,"axG",@progbits,_ZN9rocsparseL44csr2gebsr_wavefront_per_row_multipass_kernelILi256ELi4ELi4ELi16E21rocsparse_complex_numIfEEEv20rocsparse_direction_iiiiii21rocsparse_index_base_PKT3_PKiS9_S4_PS5_PiSB_,comdat
	.globl	_ZN9rocsparseL44csr2gebsr_wavefront_per_row_multipass_kernelILi256ELi4ELi4ELi16E21rocsparse_complex_numIfEEEv20rocsparse_direction_iiiiii21rocsparse_index_base_PKT3_PKiS9_S4_PS5_PiSB_ ; -- Begin function _ZN9rocsparseL44csr2gebsr_wavefront_per_row_multipass_kernelILi256ELi4ELi4ELi16E21rocsparse_complex_numIfEEEv20rocsparse_direction_iiiiii21rocsparse_index_base_PKT3_PKiS9_S4_PS5_PiSB_
	.p2align	8
	.type	_ZN9rocsparseL44csr2gebsr_wavefront_per_row_multipass_kernelILi256ELi4ELi4ELi16E21rocsparse_complex_numIfEEEv20rocsparse_direction_iiiiii21rocsparse_index_base_PKT3_PKiS9_S4_PS5_PiSB_,@function
_ZN9rocsparseL44csr2gebsr_wavefront_per_row_multipass_kernelILi256ELi4ELi4ELi16E21rocsparse_complex_numIfEEEv20rocsparse_direction_iiiiii21rocsparse_index_base_PKT3_PKiS9_S4_PS5_PiSB_: ; @_ZN9rocsparseL44csr2gebsr_wavefront_per_row_multipass_kernelILi256ELi4ELi4ELi16E21rocsparse_complex_numIfEEEv20rocsparse_direction_iiiiii21rocsparse_index_base_PKT3_PKiS9_S4_PS5_PiSB_
; %bb.0:
	s_clause 0x1
	s_load_b128 s[4:7], s[0:1], 0xc
	s_load_b64 s[12:13], s[0:1], 0x0
	s_bfe_u32 s2, ttmp6, 0x4000c
	s_and_b32 s3, ttmp6, 15
	s_add_co_i32 s2, s2, 1
	s_getreg_b32 s8, hwreg(HW_REG_IB_STS2, 6, 4)
	s_mul_i32 s2, ttmp9, s2
	v_dual_lshrrev_b32 v18, 4, v0 :: v_dual_mov_b32 v2, 0
	s_add_co_i32 s3, s3, s2
	s_cmp_eq_u32 s8, 0
	v_bfe_u32 v1, v0, 2, 2
	s_cselect_b32 s2, ttmp9, s3
	s_clause 0x1
	s_load_b32 s16, s[0:1], 0x1c
	s_load_b64 s[8:9], s[0:1], 0x28
	v_lshl_or_b32 v3, s2, 4, v18
	v_mov_b32_e32 v8, 0
	s_wait_kmcnt 0x0
	s_delay_alu instid0(VALU_DEP_2) | instskip(SKIP_1) | instid1(VALU_DEP_2)
	v_mad_u32 v4, v3, s6, v1
	v_cmp_gt_i32_e32 vcc_lo, s6, v1
	v_cmp_gt_i32_e64 s2, s13, v4
	s_and_b32 s2, vcc_lo, s2
	s_delay_alu instid0(SALU_CYCLE_1)
	s_and_saveexec_b32 s3, s2
	s_cbranch_execz .LBB134_2
; %bb.1:
	global_load_b32 v5, v4, s[8:9] scale_offset
	s_wait_loadcnt 0x0
	v_subrev_nc_u32_e32 v8, s16, v5
.LBB134_2:
	s_or_b32 exec_lo, exec_lo, s3
	v_mov_b32_e32 v19, 0
	s_and_saveexec_b32 s3, s2
	s_cbranch_execz .LBB134_4
; %bb.3:
	global_load_b32 v4, v4, s[8:9] offset:4 scale_offset
	s_wait_loadcnt 0x0
	v_subrev_nc_u32_e32 v19, s16, v4
.LBB134_4:
	s_or_b32 exec_lo, exec_lo, s3
	s_load_b32 s17, s[0:1], 0x38
	s_mov_b32 s3, exec_lo
	v_cmpx_gt_i32_e64 s4, v3
	s_cbranch_execz .LBB134_6
; %bb.5:
	s_load_b64 s[8:9], s[0:1], 0x48
	s_wait_kmcnt 0x0
	global_load_b32 v2, v3, s[8:9] scale_offset
	s_wait_loadcnt 0x0
	v_subrev_nc_u32_e32 v2, s17, v2
.LBB134_6:
	s_or_b32 exec_lo, exec_lo, s3
	s_cmp_lt_i32 s5, 1
	s_cbranch_scc1 .LBB134_24
; %bb.7:
	v_mbcnt_lo_u32_b32 v3, -1, 0
	v_lshlrev_b32_e32 v5, 5, v1
	v_and_b32_e32 v4, 0xf0, v0
	s_clause 0x3
	s_load_b64 s[2:3], s[0:1], 0x50
	s_load_b64 s[14:15], s[0:1], 0x40
	;; [unrolled: 1-line block ×4, first 2 shown]
	v_mul_lo_u32 v12, s7, v1
	v_dual_mov_b32 v28, 1 :: v_dual_bitop2_b32 v6, 2, v3 bitop3:0x14
	v_lshl_or_b32 v20, v4, 3, v5
	s_mov_b32 s13, 0
	s_wait_xcnt 0x0
	s_delay_alu instid0(VALU_DEP_2) | instskip(NEXT) | instid1(VALU_DEP_1)
	v_cmp_gt_i32_e64 s0, 32, v6
	v_dual_cndmask_b32 v4, v3, v6, s0 :: v_dual_bitop2_b32 v7, 1, v3 bitop3:0x14
	s_delay_alu instid0(VALU_DEP_1) | instskip(SKIP_1) | instid1(VALU_DEP_2)
	v_cmp_gt_i32_e64 s0, 32, v7
	v_dual_lshlrev_b32 v9, 2, v3 :: v_dual_bitop2_b32 v0, 3, v0 bitop3:0x40
	v_dual_lshlrev_b32 v21, 2, v4 :: v_dual_cndmask_b32 v5, v3, v7, s0
	s_delay_alu instid0(VALU_DEP_2) | instskip(SKIP_1) | instid1(VALU_DEP_4)
	v_cmp_gt_u32_e64 s0, s7, v0
	v_mul_lo_u32 v4, s6, v0
	v_dual_lshlrev_b32 v10, 3, v0 :: v_dual_bitop2_b32 v23, 12, v9 bitop3:0x54
	s_delay_alu instid0(VALU_DEP_4)
	v_lshlrev_b32_e32 v22, 2, v5
	s_and_b32 s4, vcc_lo, s0
	s_cmp_lg_u32 s12, 0
	v_mov_b32_e32 v5, 0
	s_cselect_b32 s18, -1, 0
	s_abs_i32 s19, s7
	v_or_b32_e32 v24, v20, v10
	s_cvt_f32_u32 s0, s19
	s_wait_kmcnt 0x0
	v_lshl_add_u64 v[6:7], v[4:5], 3, s[14:15]
	v_lshlrev_b32_e32 v4, 3, v1
	s_mov_b32 s12, s6
	v_rcp_iflag_f32_e32 v11, s0
	v_dual_ashrrev_i32 v13, 31, v12 :: v_dual_mov_b32 v1, v5
	s_delay_alu instid0(VALU_DEP_2) | instskip(SKIP_2) | instid1(VALU_DEP_3)
	v_add_nc_u64_e32 v[6:7], v[6:7], v[4:5]
	v_xor_b32_e32 v4, 8, v3
	s_ashr_i32 s1, s7, 31
	v_lshl_add_u64 v[12:13], v[12:13], 3, s[14:15]
	s_delay_alu instid0(TRANS32_DEP_1)
	v_readfirstlane_b32 s6, v11
	v_mov_b32_e32 v11, v5
	v_cmp_gt_i32_e32 vcc_lo, 32, v4
	v_xor_b32_e32 v14, 4, v3
	s_sub_co_i32 s14, 0, s19
	s_mul_f32 s6, s6, 0x4f7ffffe
	v_add_nc_u64_e32 v[10:11], v[12:13], v[10:11]
	v_cndmask_b32_e32 v4, v3, v4, vcc_lo
	v_cmp_gt_i32_e32 vcc_lo, 32, v14
	s_cvt_u32_f32 s6, s6
	v_mov_b64_e32 v[12:13], 0
	s_mov_b32 s0, s7
	v_dual_lshlrev_b32 v25, 2, v4 :: v_dual_cndmask_b32 v3, v3, v14, vcc_lo
	s_mul_i32 s14, s14, s6
	v_or_b32_e32 v27, 60, v9
	s_mul_hi_u32 s20, s6, s14
	s_mul_u64 s[14:15], s[0:1], s[12:13]
	v_dual_mov_b32 v3, 0 :: v_dual_lshlrev_b32 v26, 2, v3
	s_add_co_i32 s12, s6, s20
	s_mov_b32 s6, s13
	s_branch .LBB134_10
.LBB134_8:                              ;   in Loop: Header=BB134_10 Depth=1
	s_wait_xcnt 0x0
	s_or_b32 exec_lo, exec_lo, s20
	v_mov_b32_e32 v4, 1
.LBB134_9:                              ;   in Loop: Header=BB134_10 Depth=1
	s_or_b32 exec_lo, exec_lo, s0
	ds_bpermute_b32 v3, v25, v29
	s_wait_storecnt_dscnt 0x0
	v_dual_add_nc_u32 v2, v4, v2 :: v_dual_min_i32 v3, v3, v29
	ds_bpermute_b32 v9, v26, v3
	s_wait_dscnt 0x0
	v_min_i32_e32 v3, v9, v3
	ds_bpermute_b32 v9, v21, v3
	s_wait_dscnt 0x0
	v_min_i32_e32 v3, v9, v3
	;; [unrolled: 3-line block ×3, first 2 shown]
	ds_bpermute_b32 v3, v27, v3
	s_wait_dscnt 0x0
	v_cmp_le_i32_e32 vcc_lo, s5, v3
	s_or_b32 s6, vcc_lo, s6
	s_delay_alu instid0(SALU_CYCLE_1)
	s_and_not1_b32 exec_lo, exec_lo, s6
	s_cbranch_execz .LBB134_24
.LBB134_10:                             ; =>This Loop Header: Depth=1
                                        ;     Child Loop BB134_13 Depth 2
	v_dual_mov_b32 v29, s5 :: v_dual_add_nc_u32 v16, v8, v0
	v_mov_b32_e32 v30, v19
	s_mov_b32 s20, exec_lo
	ds_store_b8 v18, v5 offset:2048
	ds_store_b64 v24, v[12:13]
	s_wait_dscnt 0x0
	v_cmpx_lt_i32_e64 v16, v19
	s_cbranch_execz .LBB134_18
; %bb.11:                               ;   in Loop: Header=BB134_10 Depth=1
	v_dual_ashrrev_i32 v9, 31, v8 :: v_dual_mov_b32 v29, s5
	v_mul_lo_u32 v17, v3, s7
	v_mov_b32_e32 v30, v19
	s_mov_b32 s21, 0
	s_delay_alu instid0(VALU_DEP_3) | instskip(NEXT) | instid1(VALU_DEP_1)
	v_add_nc_u64_e32 v[14:15], v[0:1], v[8:9]
	v_lshl_add_u64 v[8:9], v[14:15], 2, s[10:11]
	v_lshl_add_u64 v[14:15], v[14:15], 3, s[8:9]
	s_branch .LBB134_13
.LBB134_12:                             ;   in Loop: Header=BB134_13 Depth=2
	s_wait_xcnt 0x0
	s_or_b32 exec_lo, exec_lo, s0
	v_add_nc_u32_e32 v16, 4, v16
	s_xor_b32 s22, vcc_lo, -1
	v_add_nc_u64_e32 v[8:9], 16, v[8:9]
	v_add_nc_u64_e32 v[14:15], 32, v[14:15]
	s_delay_alu instid0(VALU_DEP_3) | instskip(SKIP_1) | instid1(SALU_CYCLE_1)
	v_cmp_ge_i32_e64 s0, v16, v19
	s_or_b32 s0, s22, s0
	s_and_b32 s0, exec_lo, s0
	s_delay_alu instid0(SALU_CYCLE_1) | instskip(NEXT) | instid1(SALU_CYCLE_1)
	s_or_b32 s21, s0, s21
	s_and_not1_b32 exec_lo, exec_lo, s21
	s_cbranch_execz .LBB134_17
.LBB134_13:                             ;   Parent Loop BB134_10 Depth=1
                                        ; =>  This Inner Loop Header: Depth=2
	global_load_b32 v4, v[8:9], off
	s_wait_loadcnt 0x0
	v_subrev_nc_u32_e32 v31, s16, v4
	s_delay_alu instid0(VALU_DEP_1) | instskip(NEXT) | instid1(VALU_DEP_1)
	v_sub_nc_u32_e32 v4, 0, v31
	v_max_i32_e32 v4, v31, v4
	s_delay_alu instid0(VALU_DEP_1) | instskip(NEXT) | instid1(VALU_DEP_1)
	v_mul_u64_e32 v[32:33], s[12:13], v[4:5]
	v_mul_lo_u32 v32, v33, s19
	s_delay_alu instid0(VALU_DEP_1) | instskip(NEXT) | instid1(VALU_DEP_1)
	v_dual_sub_nc_u32 v4, v4, v32 :: v_dual_add_nc_u32 v32, 1, v33
	v_cmp_le_u32_e32 vcc_lo, s19, v4
	s_delay_alu instid0(VALU_DEP_2) | instskip(SKIP_1) | instid1(VALU_DEP_1)
	v_cndmask_b32_e32 v32, v33, v32, vcc_lo
	v_subrev_nc_u32_e32 v34, s19, v4
	v_dual_cndmask_b32 v4, v4, v34 :: v_dual_ashrrev_i32 v33, 31, v31
	s_delay_alu instid0(VALU_DEP_3) | instskip(NEXT) | instid1(VALU_DEP_2)
	v_add_nc_u32_e32 v34, 1, v32
	v_cmp_le_u32_e32 vcc_lo, s19, v4
	s_delay_alu instid0(VALU_DEP_2) | instskip(NEXT) | instid1(VALU_DEP_1)
	v_dual_cndmask_b32 v4, v32, v34, vcc_lo :: v_dual_bitop2_b32 v33, s1, v33 bitop3:0x14
	v_xor_b32_e32 v4, v4, v33
	s_delay_alu instid0(VALU_DEP_1) | instskip(NEXT) | instid1(VALU_DEP_1)
	v_dual_sub_nc_u32 v32, v4, v33 :: v_dual_mov_b32 v4, v30
	v_cmp_ne_u32_e64 s0, v32, v3
	v_cmp_eq_u32_e32 vcc_lo, v32, v3
	s_wait_xcnt 0x0
	s_and_saveexec_b32 s22, s0
	s_delay_alu instid0(SALU_CYCLE_1)
	s_xor_b32 s0, exec_lo, s22
; %bb.14:                               ;   in Loop: Header=BB134_13 Depth=2
	v_min_i32_e32 v29, v32, v29
                                        ; implicit-def: $vgpr31
                                        ; implicit-def: $vgpr4
; %bb.15:                               ;   in Loop: Header=BB134_13 Depth=2
	s_or_saveexec_b32 s0, s0
	v_mov_b32_e32 v30, v16
	s_xor_b32 exec_lo, exec_lo, s0
	s_cbranch_execz .LBB134_12
; %bb.16:                               ;   in Loop: Header=BB134_13 Depth=2
	global_load_b64 v[32:33], v[14:15], off
	v_sub_nc_u32_e32 v30, v31, v17
	s_delay_alu instid0(VALU_DEP_1)
	v_lshl_add_u32 v31, v30, 3, v20
	v_mov_b32_e32 v30, v4
	ds_store_b8 v18, v28 offset:2048
	s_wait_loadcnt 0x0
	ds_store_b64 v31, v[32:33]
	s_branch .LBB134_12
.LBB134_17:                             ;   in Loop: Header=BB134_10 Depth=1
	s_or_b32 exec_lo, exec_lo, s21
.LBB134_18:                             ;   in Loop: Header=BB134_10 Depth=1
	s_delay_alu instid0(SALU_CYCLE_1)
	s_or_b32 exec_lo, exec_lo, s20
	ds_bpermute_b32 v4, v21, v30
	s_wait_dscnt 0x0
	ds_load_u8 v9, v18 offset:2048
	v_min_i32_e32 v4, v4, v30
	ds_bpermute_b32 v8, v22, v4
	s_wait_dscnt 0x0
	v_min_i32_e32 v4, v8, v4
	ds_bpermute_b32 v8, v23, v4
	v_and_b32_e32 v4, 1, v9
	s_delay_alu instid0(VALU_DEP_1)
	v_cmp_eq_u32_e32 vcc_lo, 1, v4
	v_mov_b32_e32 v4, 0
	s_and_saveexec_b32 s0, vcc_lo
	s_cbranch_execz .LBB134_9
; %bb.19:                               ;   in Loop: Header=BB134_10 Depth=1
	v_add_nc_u32_e32 v3, s17, v3
	global_store_b32 v2, v3, s[2:3] scale_offset
	s_wait_xcnt 0x0
	s_and_saveexec_b32 s20, s4
	s_cbranch_execz .LBB134_8
; %bb.20:                               ;   in Loop: Header=BB134_10 Depth=1
	v_ashrrev_i32_e32 v3, 31, v2
	ds_load_b64 v[16:17], v24
	s_and_b32 vcc_lo, exec_lo, s18
	v_mul_u64_e32 v[14:15], s[14:15], v[2:3]
	s_cbranch_vccz .LBB134_22
; %bb.21:                               ;   in Loop: Header=BB134_10 Depth=1
	s_delay_alu instid0(VALU_DEP_1)
	v_lshl_add_u64 v[30:31], v[14:15], 3, v[6:7]
	s_wait_dscnt 0x0
	global_store_b64 v[30:31], v[16:17], off
	s_cbranch_execnz .LBB134_8
	s_branch .LBB134_23
.LBB134_22:                             ;   in Loop: Header=BB134_10 Depth=1
.LBB134_23:                             ;   in Loop: Header=BB134_10 Depth=1
	s_delay_alu instid0(VALU_DEP_1)
	v_lshl_add_u64 v[14:15], v[14:15], 3, v[10:11]
	s_wait_dscnt 0x0
	global_store_b64 v[14:15], v[16:17], off
	s_branch .LBB134_8
.LBB134_24:
	s_endpgm
	.section	.rodata,"a",@progbits
	.p2align	6, 0x0
	.amdhsa_kernel _ZN9rocsparseL44csr2gebsr_wavefront_per_row_multipass_kernelILi256ELi4ELi4ELi16E21rocsparse_complex_numIfEEEv20rocsparse_direction_iiiiii21rocsparse_index_base_PKT3_PKiS9_S4_PS5_PiSB_
		.amdhsa_group_segment_fixed_size 2064
		.amdhsa_private_segment_fixed_size 0
		.amdhsa_kernarg_size 88
		.amdhsa_user_sgpr_count 2
		.amdhsa_user_sgpr_dispatch_ptr 0
		.amdhsa_user_sgpr_queue_ptr 0
		.amdhsa_user_sgpr_kernarg_segment_ptr 1
		.amdhsa_user_sgpr_dispatch_id 0
		.amdhsa_user_sgpr_kernarg_preload_length 0
		.amdhsa_user_sgpr_kernarg_preload_offset 0
		.amdhsa_user_sgpr_private_segment_size 0
		.amdhsa_wavefront_size32 1
		.amdhsa_uses_dynamic_stack 0
		.amdhsa_enable_private_segment 0
		.amdhsa_system_sgpr_workgroup_id_x 1
		.amdhsa_system_sgpr_workgroup_id_y 0
		.amdhsa_system_sgpr_workgroup_id_z 0
		.amdhsa_system_sgpr_workgroup_info 0
		.amdhsa_system_vgpr_workitem_id 0
		.amdhsa_next_free_vgpr 35
		.amdhsa_next_free_sgpr 23
		.amdhsa_named_barrier_count 0
		.amdhsa_reserve_vcc 1
		.amdhsa_float_round_mode_32 0
		.amdhsa_float_round_mode_16_64 0
		.amdhsa_float_denorm_mode_32 3
		.amdhsa_float_denorm_mode_16_64 3
		.amdhsa_fp16_overflow 0
		.amdhsa_memory_ordered 1
		.amdhsa_forward_progress 1
		.amdhsa_inst_pref_size 11
		.amdhsa_round_robin_scheduling 0
		.amdhsa_exception_fp_ieee_invalid_op 0
		.amdhsa_exception_fp_denorm_src 0
		.amdhsa_exception_fp_ieee_div_zero 0
		.amdhsa_exception_fp_ieee_overflow 0
		.amdhsa_exception_fp_ieee_underflow 0
		.amdhsa_exception_fp_ieee_inexact 0
		.amdhsa_exception_int_div_zero 0
	.end_amdhsa_kernel
	.section	.text._ZN9rocsparseL44csr2gebsr_wavefront_per_row_multipass_kernelILi256ELi4ELi4ELi16E21rocsparse_complex_numIfEEEv20rocsparse_direction_iiiiii21rocsparse_index_base_PKT3_PKiS9_S4_PS5_PiSB_,"axG",@progbits,_ZN9rocsparseL44csr2gebsr_wavefront_per_row_multipass_kernelILi256ELi4ELi4ELi16E21rocsparse_complex_numIfEEEv20rocsparse_direction_iiiiii21rocsparse_index_base_PKT3_PKiS9_S4_PS5_PiSB_,comdat
.Lfunc_end134:
	.size	_ZN9rocsparseL44csr2gebsr_wavefront_per_row_multipass_kernelILi256ELi4ELi4ELi16E21rocsparse_complex_numIfEEEv20rocsparse_direction_iiiiii21rocsparse_index_base_PKT3_PKiS9_S4_PS5_PiSB_, .Lfunc_end134-_ZN9rocsparseL44csr2gebsr_wavefront_per_row_multipass_kernelILi256ELi4ELi4ELi16E21rocsparse_complex_numIfEEEv20rocsparse_direction_iiiiii21rocsparse_index_base_PKT3_PKiS9_S4_PS5_PiSB_
                                        ; -- End function
	.set _ZN9rocsparseL44csr2gebsr_wavefront_per_row_multipass_kernelILi256ELi4ELi4ELi16E21rocsparse_complex_numIfEEEv20rocsparse_direction_iiiiii21rocsparse_index_base_PKT3_PKiS9_S4_PS5_PiSB_.num_vgpr, 35
	.set _ZN9rocsparseL44csr2gebsr_wavefront_per_row_multipass_kernelILi256ELi4ELi4ELi16E21rocsparse_complex_numIfEEEv20rocsparse_direction_iiiiii21rocsparse_index_base_PKT3_PKiS9_S4_PS5_PiSB_.num_agpr, 0
	.set _ZN9rocsparseL44csr2gebsr_wavefront_per_row_multipass_kernelILi256ELi4ELi4ELi16E21rocsparse_complex_numIfEEEv20rocsparse_direction_iiiiii21rocsparse_index_base_PKT3_PKiS9_S4_PS5_PiSB_.numbered_sgpr, 23
	.set _ZN9rocsparseL44csr2gebsr_wavefront_per_row_multipass_kernelILi256ELi4ELi4ELi16E21rocsparse_complex_numIfEEEv20rocsparse_direction_iiiiii21rocsparse_index_base_PKT3_PKiS9_S4_PS5_PiSB_.num_named_barrier, 0
	.set _ZN9rocsparseL44csr2gebsr_wavefront_per_row_multipass_kernelILi256ELi4ELi4ELi16E21rocsparse_complex_numIfEEEv20rocsparse_direction_iiiiii21rocsparse_index_base_PKT3_PKiS9_S4_PS5_PiSB_.private_seg_size, 0
	.set _ZN9rocsparseL44csr2gebsr_wavefront_per_row_multipass_kernelILi256ELi4ELi4ELi16E21rocsparse_complex_numIfEEEv20rocsparse_direction_iiiiii21rocsparse_index_base_PKT3_PKiS9_S4_PS5_PiSB_.uses_vcc, 1
	.set _ZN9rocsparseL44csr2gebsr_wavefront_per_row_multipass_kernelILi256ELi4ELi4ELi16E21rocsparse_complex_numIfEEEv20rocsparse_direction_iiiiii21rocsparse_index_base_PKT3_PKiS9_S4_PS5_PiSB_.uses_flat_scratch, 0
	.set _ZN9rocsparseL44csr2gebsr_wavefront_per_row_multipass_kernelILi256ELi4ELi4ELi16E21rocsparse_complex_numIfEEEv20rocsparse_direction_iiiiii21rocsparse_index_base_PKT3_PKiS9_S4_PS5_PiSB_.has_dyn_sized_stack, 0
	.set _ZN9rocsparseL44csr2gebsr_wavefront_per_row_multipass_kernelILi256ELi4ELi4ELi16E21rocsparse_complex_numIfEEEv20rocsparse_direction_iiiiii21rocsparse_index_base_PKT3_PKiS9_S4_PS5_PiSB_.has_recursion, 0
	.set _ZN9rocsparseL44csr2gebsr_wavefront_per_row_multipass_kernelILi256ELi4ELi4ELi16E21rocsparse_complex_numIfEEEv20rocsparse_direction_iiiiii21rocsparse_index_base_PKT3_PKiS9_S4_PS5_PiSB_.has_indirect_call, 0
	.section	.AMDGPU.csdata,"",@progbits
; Kernel info:
; codeLenInByte = 1396
; TotalNumSgprs: 25
; NumVgprs: 35
; ScratchSize: 0
; MemoryBound: 0
; FloatMode: 240
; IeeeMode: 1
; LDSByteSize: 2064 bytes/workgroup (compile time only)
; SGPRBlocks: 0
; VGPRBlocks: 2
; NumSGPRsForWavesPerEU: 25
; NumVGPRsForWavesPerEU: 35
; NamedBarCnt: 0
; Occupancy: 16
; WaveLimiterHint : 0
; COMPUTE_PGM_RSRC2:SCRATCH_EN: 0
; COMPUTE_PGM_RSRC2:USER_SGPR: 2
; COMPUTE_PGM_RSRC2:TRAP_HANDLER: 0
; COMPUTE_PGM_RSRC2:TGID_X_EN: 1
; COMPUTE_PGM_RSRC2:TGID_Y_EN: 0
; COMPUTE_PGM_RSRC2:TGID_Z_EN: 0
; COMPUTE_PGM_RSRC2:TIDIG_COMP_CNT: 0
	.section	.text._ZN9rocsparseL44csr2gebsr_wavefront_per_row_multipass_kernelILi256ELi4ELi8ELi32E21rocsparse_complex_numIfEEEv20rocsparse_direction_iiiiii21rocsparse_index_base_PKT3_PKiS9_S4_PS5_PiSB_,"axG",@progbits,_ZN9rocsparseL44csr2gebsr_wavefront_per_row_multipass_kernelILi256ELi4ELi8ELi32E21rocsparse_complex_numIfEEEv20rocsparse_direction_iiiiii21rocsparse_index_base_PKT3_PKiS9_S4_PS5_PiSB_,comdat
	.globl	_ZN9rocsparseL44csr2gebsr_wavefront_per_row_multipass_kernelILi256ELi4ELi8ELi32E21rocsparse_complex_numIfEEEv20rocsparse_direction_iiiiii21rocsparse_index_base_PKT3_PKiS9_S4_PS5_PiSB_ ; -- Begin function _ZN9rocsparseL44csr2gebsr_wavefront_per_row_multipass_kernelILi256ELi4ELi8ELi32E21rocsparse_complex_numIfEEEv20rocsparse_direction_iiiiii21rocsparse_index_base_PKT3_PKiS9_S4_PS5_PiSB_
	.p2align	8
	.type	_ZN9rocsparseL44csr2gebsr_wavefront_per_row_multipass_kernelILi256ELi4ELi8ELi32E21rocsparse_complex_numIfEEEv20rocsparse_direction_iiiiii21rocsparse_index_base_PKT3_PKiS9_S4_PS5_PiSB_,@function
_ZN9rocsparseL44csr2gebsr_wavefront_per_row_multipass_kernelILi256ELi4ELi8ELi32E21rocsparse_complex_numIfEEEv20rocsparse_direction_iiiiii21rocsparse_index_base_PKT3_PKiS9_S4_PS5_PiSB_: ; @_ZN9rocsparseL44csr2gebsr_wavefront_per_row_multipass_kernelILi256ELi4ELi8ELi32E21rocsparse_complex_numIfEEEv20rocsparse_direction_iiiiii21rocsparse_index_base_PKT3_PKiS9_S4_PS5_PiSB_
; %bb.0:
	s_clause 0x1
	s_load_b128 s[4:7], s[0:1], 0xc
	s_load_b64 s[12:13], s[0:1], 0x0
	s_bfe_u32 s2, ttmp6, 0x4000c
	s_and_b32 s3, ttmp6, 15
	s_add_co_i32 s2, s2, 1
	s_getreg_b32 s8, hwreg(HW_REG_IB_STS2, 6, 4)
	s_mul_i32 s2, ttmp9, s2
	v_dual_lshrrev_b32 v18, 5, v0 :: v_dual_mov_b32 v2, 0
	s_add_co_i32 s3, s3, s2
	s_cmp_eq_u32 s8, 0
	v_bfe_u32 v1, v0, 3, 2
	s_cselect_b32 s2, ttmp9, s3
	s_clause 0x1
	s_load_b32 s16, s[0:1], 0x1c
	s_load_b64 s[8:9], s[0:1], 0x28
	v_lshl_or_b32 v3, s2, 3, v18
	v_mov_b32_e32 v6, 0
	s_wait_kmcnt 0x0
	s_delay_alu instid0(VALU_DEP_2) | instskip(SKIP_1) | instid1(VALU_DEP_2)
	v_mad_u32 v4, v3, s6, v1
	v_cmp_gt_i32_e32 vcc_lo, s6, v1
	v_cmp_gt_i32_e64 s2, s13, v4
	s_and_b32 s2, vcc_lo, s2
	s_delay_alu instid0(SALU_CYCLE_1)
	s_and_saveexec_b32 s3, s2
	s_cbranch_execz .LBB135_2
; %bb.1:
	global_load_b32 v5, v4, s[8:9] scale_offset
	s_wait_loadcnt 0x0
	v_subrev_nc_u32_e32 v6, s16, v5
.LBB135_2:
	s_or_b32 exec_lo, exec_lo, s3
	v_mov_b32_e32 v19, 0
	s_and_saveexec_b32 s3, s2
	s_cbranch_execz .LBB135_4
; %bb.3:
	global_load_b32 v4, v4, s[8:9] offset:4 scale_offset
	s_wait_loadcnt 0x0
	v_subrev_nc_u32_e32 v19, s16, v4
.LBB135_4:
	s_or_b32 exec_lo, exec_lo, s3
	s_load_b32 s17, s[0:1], 0x38
	s_mov_b32 s3, exec_lo
	v_cmpx_gt_i32_e64 s4, v3
	s_cbranch_execz .LBB135_6
; %bb.5:
	s_load_b64 s[8:9], s[0:1], 0x48
	s_wait_kmcnt 0x0
	global_load_b32 v2, v3, s[8:9] scale_offset
	s_wait_loadcnt 0x0
	v_subrev_nc_u32_e32 v2, s17, v2
.LBB135_6:
	s_or_b32 exec_lo, exec_lo, s3
	s_cmp_lt_i32 s5, 1
	s_cbranch_scc1 .LBB135_24
; %bb.7:
	v_mbcnt_lo_u32_b32 v7, -1, 0
	v_lshlrev_b32_e32 v4, 6, v1
	v_and_b32_e32 v3, 0xe0, v0
	s_clause 0x3
	s_load_b64 s[2:3], s[0:1], 0x50
	s_load_b64 s[14:15], s[0:1], 0x40
	;; [unrolled: 1-line block ×4, first 2 shown]
	v_mul_lo_u32 v12, s7, v1
	v_xor_b32_e32 v5, 4, v7
	v_lshl_or_b32 v24, v7, 2, 28
	v_lshl_or_b32 v20, v3, 3, v4
	v_dual_mov_b32 v28, 0x7c :: v_dual_mov_b32 v29, 1
	s_wait_xcnt 0x0
	v_cmp_gt_i32_e64 s0, 32, v5
	v_and_b32_e32 v0, 7, v0
	s_mov_b32 s13, 0
	v_dual_cndmask_b32 v4, v7, v5, s0 :: v_dual_bitop2_b32 v8, 2, v7 bitop3:0x14
	s_delay_alu instid0(VALU_DEP_2) | instskip(SKIP_1) | instid1(VALU_DEP_3)
	v_lshlrev_b32_e32 v10, 3, v0
	v_ashrrev_i32_e32 v13, 31, v12
	v_lshlrev_b32_e32 v21, 2, v4
	s_delay_alu instid0(VALU_DEP_4)
	v_cmp_gt_i32_e64 s0, 32, v8
	v_xor_b32_e32 v3, 1, v7
	v_mul_lo_u32 v4, s6, v0
	v_or_b32_e32 v25, v20, v10
	s_wait_kmcnt 0x0
	v_lshl_add_u64 v[12:13], v[12:13], 3, s[14:15]
	v_cndmask_b32_e64 v5, v7, v8, s0
	v_cmp_gt_i32_e64 s0, 32, v3
	s_delay_alu instid0(VALU_DEP_1) | instskip(SKIP_1) | instid1(VALU_DEP_2)
	v_dual_lshlrev_b32 v22, 2, v5 :: v_dual_cndmask_b32 v3, v7, v3, s0
	v_cmp_gt_u32_e64 s0, s7, v0
	v_dual_mov_b32 v5, 0 :: v_dual_lshlrev_b32 v23, 2, v3
	s_and_b32 s4, vcc_lo, s0
	s_cmp_lg_u32 s12, 0
	s_delay_alu instid0(VALU_DEP_1)
	v_lshl_add_u64 v[8:9], v[4:5], 3, s[14:15]
	s_cselect_b32 s18, -1, 0
	s_abs_i32 s19, s7
	v_lshlrev_b32_e32 v4, 3, v1
	s_cvt_f32_u32 s0, s19
	v_mov_b32_e32 v1, v5
	s_mov_b32 s12, s6
	s_sub_co_i32 s14, 0, s19
	v_rcp_iflag_f32_e32 v3, s0
	v_add_nc_u64_e32 v[8:9], v[8:9], v[4:5]
	v_dual_mov_b32 v11, v5 :: v_dual_bitop2_b32 v4, 16, v7 bitop3:0x14
	s_ashr_i32 s1, s7, 31
	s_mov_b32 s0, s7
	s_delay_alu instid0(TRANS32_DEP_1)
	v_readfirstlane_b32 s6, v3
	v_xor_b32_e32 v3, 8, v7
	v_cmp_gt_i32_e32 vcc_lo, 32, v4
	v_add_nc_u64_e32 v[10:11], v[12:13], v[10:11]
	v_mov_b64_e32 v[12:13], 0
	s_mul_f32 s6, s6, 0x4f7ffffe
	v_cndmask_b32_e32 v4, v7, v4, vcc_lo
	v_cmp_gt_i32_e32 vcc_lo, 32, v3
	s_delay_alu instid0(SALU_CYCLE_1) | instskip(SKIP_1) | instid1(SALU_CYCLE_2)
	s_cvt_u32_f32 s6, s6
	v_cndmask_b32_e32 v3, v7, v3, vcc_lo
	s_mul_i32 s14, s14, s6
	v_lshlrev_b32_e32 v26, 2, v4
	s_mul_hi_u32 s20, s6, s14
	s_mul_u64 s[14:15], s[0:1], s[12:13]
	v_dual_lshlrev_b32 v27, 2, v3 :: v_dual_mov_b32 v3, 0
	s_add_co_i32 s12, s6, s20
	s_mov_b32 s6, s13
	s_branch .LBB135_10
.LBB135_8:                              ;   in Loop: Header=BB135_10 Depth=1
	s_wait_xcnt 0x0
	s_or_b32 exec_lo, exec_lo, s20
	v_mov_b32_e32 v4, 1
.LBB135_9:                              ;   in Loop: Header=BB135_10 Depth=1
	s_or_b32 exec_lo, exec_lo, s0
	ds_bpermute_b32 v3, v26, v30
	s_wait_storecnt_dscnt 0x0
	v_add_nc_u32_e32 v2, v4, v2
	v_min_i32_e32 v3, v3, v30
	ds_bpermute_b32 v7, v27, v3
	s_wait_dscnt 0x0
	v_min_i32_e32 v3, v7, v3
	ds_bpermute_b32 v7, v21, v3
	s_wait_dscnt 0x0
	;; [unrolled: 3-line block ×5, first 2 shown]
	v_cmp_le_i32_e32 vcc_lo, s5, v3
	s_or_b32 s6, vcc_lo, s6
	s_delay_alu instid0(SALU_CYCLE_1)
	s_and_not1_b32 exec_lo, exec_lo, s6
	s_cbranch_execz .LBB135_24
.LBB135_10:                             ; =>This Loop Header: Depth=1
                                        ;     Child Loop BB135_13 Depth 2
	v_dual_add_nc_u32 v16, v6, v0 :: v_dual_mov_b32 v30, s5
	v_mov_b32_e32 v31, v19
	s_mov_b32 s20, exec_lo
	ds_store_b8 v18, v5 offset:2048
	ds_store_b64 v25, v[12:13]
	s_wait_dscnt 0x0
	v_cmpx_lt_i32_e64 v16, v19
	s_cbranch_execz .LBB135_18
; %bb.11:                               ;   in Loop: Header=BB135_10 Depth=1
	v_dual_mov_b32 v30, s5 :: v_dual_ashrrev_i32 v7, 31, v6
	v_mul_lo_u32 v17, v3, s7
	v_mov_b32_e32 v31, v19
	s_mov_b32 s21, 0
	s_delay_alu instid0(VALU_DEP_3) | instskip(NEXT) | instid1(VALU_DEP_1)
	v_add_nc_u64_e32 v[14:15], v[0:1], v[6:7]
	v_lshl_add_u64 v[6:7], v[14:15], 2, s[10:11]
	v_lshl_add_u64 v[14:15], v[14:15], 3, s[8:9]
	s_branch .LBB135_13
.LBB135_12:                             ;   in Loop: Header=BB135_13 Depth=2
	s_wait_xcnt 0x0
	s_or_b32 exec_lo, exec_lo, s0
	v_add_nc_u32_e32 v16, 8, v16
	s_xor_b32 s22, vcc_lo, -1
	v_add_nc_u64_e32 v[6:7], 32, v[6:7]
	v_add_nc_u64_e32 v[14:15], 64, v[14:15]
	s_delay_alu instid0(VALU_DEP_3) | instskip(SKIP_1) | instid1(SALU_CYCLE_1)
	v_cmp_ge_i32_e64 s0, v16, v19
	s_or_b32 s0, s22, s0
	s_and_b32 s0, exec_lo, s0
	s_delay_alu instid0(SALU_CYCLE_1) | instskip(NEXT) | instid1(SALU_CYCLE_1)
	s_or_b32 s21, s0, s21
	s_and_not1_b32 exec_lo, exec_lo, s21
	s_cbranch_execz .LBB135_17
.LBB135_13:                             ;   Parent Loop BB135_10 Depth=1
                                        ; =>  This Inner Loop Header: Depth=2
	global_load_b32 v4, v[6:7], off
	s_wait_loadcnt 0x0
	v_subrev_nc_u32_e32 v32, s16, v4
	s_delay_alu instid0(VALU_DEP_1) | instskip(NEXT) | instid1(VALU_DEP_1)
	v_sub_nc_u32_e32 v4, 0, v32
	v_max_i32_e32 v4, v32, v4
	s_delay_alu instid0(VALU_DEP_1) | instskip(NEXT) | instid1(VALU_DEP_1)
	v_mul_u64_e32 v[34:35], s[12:13], v[4:5]
	v_mul_lo_u32 v33, v35, s19
	s_delay_alu instid0(VALU_DEP_1) | instskip(NEXT) | instid1(VALU_DEP_1)
	v_dual_sub_nc_u32 v4, v4, v33 :: v_dual_add_nc_u32 v33, 1, v35
	v_cmp_le_u32_e32 vcc_lo, s19, v4
	s_delay_alu instid0(VALU_DEP_2) | instskip(SKIP_1) | instid1(VALU_DEP_1)
	v_dual_cndmask_b32 v33, v35, v33, vcc_lo :: v_dual_ashrrev_i32 v35, 31, v32
	v_subrev_nc_u32_e32 v34, s19, v4
	v_dual_cndmask_b32 v4, v4, v34, vcc_lo :: v_dual_add_nc_u32 v34, 1, v33
	s_delay_alu instid0(VALU_DEP_1) | instskip(NEXT) | instid1(VALU_DEP_2)
	v_cmp_le_u32_e32 vcc_lo, s19, v4
	v_dual_cndmask_b32 v4, v33, v34, vcc_lo :: v_dual_bitop2_b32 v35, s1, v35 bitop3:0x14
	s_delay_alu instid0(VALU_DEP_1) | instskip(NEXT) | instid1(VALU_DEP_1)
	v_xor_b32_e32 v4, v4, v35
	v_dual_mov_b32 v4, v31 :: v_dual_sub_nc_u32 v33, v4, v35
	s_delay_alu instid0(VALU_DEP_1) | instskip(SKIP_3) | instid1(SALU_CYCLE_1)
	v_cmp_ne_u32_e64 s0, v33, v3
	v_cmp_eq_u32_e32 vcc_lo, v33, v3
	s_wait_xcnt 0x0
	s_and_saveexec_b32 s22, s0
	s_xor_b32 s0, exec_lo, s22
; %bb.14:                               ;   in Loop: Header=BB135_13 Depth=2
	v_min_i32_e32 v30, v33, v30
                                        ; implicit-def: $vgpr32
                                        ; implicit-def: $vgpr4
; %bb.15:                               ;   in Loop: Header=BB135_13 Depth=2
	s_or_saveexec_b32 s0, s0
	v_mov_b32_e32 v31, v16
	s_xor_b32 exec_lo, exec_lo, s0
	s_cbranch_execz .LBB135_12
; %bb.16:                               ;   in Loop: Header=BB135_13 Depth=2
	global_load_b64 v[34:35], v[14:15], off
	v_sub_nc_u32_e32 v31, v32, v17
	s_delay_alu instid0(VALU_DEP_1)
	v_lshl_add_u32 v32, v31, 3, v20
	v_mov_b32_e32 v31, v4
	ds_store_b8 v18, v29 offset:2048
	s_wait_loadcnt 0x0
	ds_store_b64 v32, v[34:35]
	s_branch .LBB135_12
.LBB135_17:                             ;   in Loop: Header=BB135_10 Depth=1
	s_or_b32 exec_lo, exec_lo, s21
.LBB135_18:                             ;   in Loop: Header=BB135_10 Depth=1
	s_delay_alu instid0(SALU_CYCLE_1)
	s_or_b32 exec_lo, exec_lo, s20
	ds_bpermute_b32 v4, v21, v31
	s_wait_dscnt 0x0
	ds_load_u8 v7, v18 offset:2048
	v_min_i32_e32 v4, v4, v31
	ds_bpermute_b32 v6, v22, v4
	s_wait_dscnt 0x0
	v_min_i32_e32 v4, v6, v4
	ds_bpermute_b32 v6, v23, v4
	s_wait_dscnt 0x0
	v_min_i32_e32 v4, v6, v4
	ds_bpermute_b32 v6, v24, v4
	v_and_b32_e32 v4, 1, v7
	s_delay_alu instid0(VALU_DEP_1)
	v_cmp_eq_u32_e32 vcc_lo, 1, v4
	v_mov_b32_e32 v4, 0
	s_and_saveexec_b32 s0, vcc_lo
	s_cbranch_execz .LBB135_9
; %bb.19:                               ;   in Loop: Header=BB135_10 Depth=1
	v_add_nc_u32_e32 v3, s17, v3
	global_store_b32 v2, v3, s[2:3] scale_offset
	s_wait_xcnt 0x0
	s_and_saveexec_b32 s20, s4
	s_cbranch_execz .LBB135_8
; %bb.20:                               ;   in Loop: Header=BB135_10 Depth=1
	v_ashrrev_i32_e32 v3, 31, v2
	ds_load_b64 v[16:17], v25
	s_and_b32 vcc_lo, exec_lo, s18
	v_mul_u64_e32 v[14:15], s[14:15], v[2:3]
	s_cbranch_vccz .LBB135_22
; %bb.21:                               ;   in Loop: Header=BB135_10 Depth=1
	s_delay_alu instid0(VALU_DEP_1)
	v_lshl_add_u64 v[32:33], v[14:15], 3, v[8:9]
	s_wait_dscnt 0x0
	global_store_b64 v[32:33], v[16:17], off
	s_cbranch_execnz .LBB135_8
	s_branch .LBB135_23
.LBB135_22:                             ;   in Loop: Header=BB135_10 Depth=1
.LBB135_23:                             ;   in Loop: Header=BB135_10 Depth=1
	s_delay_alu instid0(VALU_DEP_1)
	v_lshl_add_u64 v[14:15], v[14:15], 3, v[10:11]
	s_wait_dscnt 0x0
	global_store_b64 v[14:15], v[16:17], off
	s_branch .LBB135_8
.LBB135_24:
	s_endpgm
	.section	.rodata,"a",@progbits
	.p2align	6, 0x0
	.amdhsa_kernel _ZN9rocsparseL44csr2gebsr_wavefront_per_row_multipass_kernelILi256ELi4ELi8ELi32E21rocsparse_complex_numIfEEEv20rocsparse_direction_iiiiii21rocsparse_index_base_PKT3_PKiS9_S4_PS5_PiSB_
		.amdhsa_group_segment_fixed_size 2056
		.amdhsa_private_segment_fixed_size 0
		.amdhsa_kernarg_size 88
		.amdhsa_user_sgpr_count 2
		.amdhsa_user_sgpr_dispatch_ptr 0
		.amdhsa_user_sgpr_queue_ptr 0
		.amdhsa_user_sgpr_kernarg_segment_ptr 1
		.amdhsa_user_sgpr_dispatch_id 0
		.amdhsa_user_sgpr_kernarg_preload_length 0
		.amdhsa_user_sgpr_kernarg_preload_offset 0
		.amdhsa_user_sgpr_private_segment_size 0
		.amdhsa_wavefront_size32 1
		.amdhsa_uses_dynamic_stack 0
		.amdhsa_enable_private_segment 0
		.amdhsa_system_sgpr_workgroup_id_x 1
		.amdhsa_system_sgpr_workgroup_id_y 0
		.amdhsa_system_sgpr_workgroup_id_z 0
		.amdhsa_system_sgpr_workgroup_info 0
		.amdhsa_system_vgpr_workitem_id 0
		.amdhsa_next_free_vgpr 36
		.amdhsa_next_free_sgpr 23
		.amdhsa_named_barrier_count 0
		.amdhsa_reserve_vcc 1
		.amdhsa_float_round_mode_32 0
		.amdhsa_float_round_mode_16_64 0
		.amdhsa_float_denorm_mode_32 3
		.amdhsa_float_denorm_mode_16_64 3
		.amdhsa_fp16_overflow 0
		.amdhsa_memory_ordered 1
		.amdhsa_forward_progress 1
		.amdhsa_inst_pref_size 12
		.amdhsa_round_robin_scheduling 0
		.amdhsa_exception_fp_ieee_invalid_op 0
		.amdhsa_exception_fp_denorm_src 0
		.amdhsa_exception_fp_ieee_div_zero 0
		.amdhsa_exception_fp_ieee_overflow 0
		.amdhsa_exception_fp_ieee_underflow 0
		.amdhsa_exception_fp_ieee_inexact 0
		.amdhsa_exception_int_div_zero 0
	.end_amdhsa_kernel
	.section	.text._ZN9rocsparseL44csr2gebsr_wavefront_per_row_multipass_kernelILi256ELi4ELi8ELi32E21rocsparse_complex_numIfEEEv20rocsparse_direction_iiiiii21rocsparse_index_base_PKT3_PKiS9_S4_PS5_PiSB_,"axG",@progbits,_ZN9rocsparseL44csr2gebsr_wavefront_per_row_multipass_kernelILi256ELi4ELi8ELi32E21rocsparse_complex_numIfEEEv20rocsparse_direction_iiiiii21rocsparse_index_base_PKT3_PKiS9_S4_PS5_PiSB_,comdat
.Lfunc_end135:
	.size	_ZN9rocsparseL44csr2gebsr_wavefront_per_row_multipass_kernelILi256ELi4ELi8ELi32E21rocsparse_complex_numIfEEEv20rocsparse_direction_iiiiii21rocsparse_index_base_PKT3_PKiS9_S4_PS5_PiSB_, .Lfunc_end135-_ZN9rocsparseL44csr2gebsr_wavefront_per_row_multipass_kernelILi256ELi4ELi8ELi32E21rocsparse_complex_numIfEEEv20rocsparse_direction_iiiiii21rocsparse_index_base_PKT3_PKiS9_S4_PS5_PiSB_
                                        ; -- End function
	.set _ZN9rocsparseL44csr2gebsr_wavefront_per_row_multipass_kernelILi256ELi4ELi8ELi32E21rocsparse_complex_numIfEEEv20rocsparse_direction_iiiiii21rocsparse_index_base_PKT3_PKiS9_S4_PS5_PiSB_.num_vgpr, 36
	.set _ZN9rocsparseL44csr2gebsr_wavefront_per_row_multipass_kernelILi256ELi4ELi8ELi32E21rocsparse_complex_numIfEEEv20rocsparse_direction_iiiiii21rocsparse_index_base_PKT3_PKiS9_S4_PS5_PiSB_.num_agpr, 0
	.set _ZN9rocsparseL44csr2gebsr_wavefront_per_row_multipass_kernelILi256ELi4ELi8ELi32E21rocsparse_complex_numIfEEEv20rocsparse_direction_iiiiii21rocsparse_index_base_PKT3_PKiS9_S4_PS5_PiSB_.numbered_sgpr, 23
	.set _ZN9rocsparseL44csr2gebsr_wavefront_per_row_multipass_kernelILi256ELi4ELi8ELi32E21rocsparse_complex_numIfEEEv20rocsparse_direction_iiiiii21rocsparse_index_base_PKT3_PKiS9_S4_PS5_PiSB_.num_named_barrier, 0
	.set _ZN9rocsparseL44csr2gebsr_wavefront_per_row_multipass_kernelILi256ELi4ELi8ELi32E21rocsparse_complex_numIfEEEv20rocsparse_direction_iiiiii21rocsparse_index_base_PKT3_PKiS9_S4_PS5_PiSB_.private_seg_size, 0
	.set _ZN9rocsparseL44csr2gebsr_wavefront_per_row_multipass_kernelILi256ELi4ELi8ELi32E21rocsparse_complex_numIfEEEv20rocsparse_direction_iiiiii21rocsparse_index_base_PKT3_PKiS9_S4_PS5_PiSB_.uses_vcc, 1
	.set _ZN9rocsparseL44csr2gebsr_wavefront_per_row_multipass_kernelILi256ELi4ELi8ELi32E21rocsparse_complex_numIfEEEv20rocsparse_direction_iiiiii21rocsparse_index_base_PKT3_PKiS9_S4_PS5_PiSB_.uses_flat_scratch, 0
	.set _ZN9rocsparseL44csr2gebsr_wavefront_per_row_multipass_kernelILi256ELi4ELi8ELi32E21rocsparse_complex_numIfEEEv20rocsparse_direction_iiiiii21rocsparse_index_base_PKT3_PKiS9_S4_PS5_PiSB_.has_dyn_sized_stack, 0
	.set _ZN9rocsparseL44csr2gebsr_wavefront_per_row_multipass_kernelILi256ELi4ELi8ELi32E21rocsparse_complex_numIfEEEv20rocsparse_direction_iiiiii21rocsparse_index_base_PKT3_PKiS9_S4_PS5_PiSB_.has_recursion, 0
	.set _ZN9rocsparseL44csr2gebsr_wavefront_per_row_multipass_kernelILi256ELi4ELi8ELi32E21rocsparse_complex_numIfEEEv20rocsparse_direction_iiiiii21rocsparse_index_base_PKT3_PKiS9_S4_PS5_PiSB_.has_indirect_call, 0
	.section	.AMDGPU.csdata,"",@progbits
; Kernel info:
; codeLenInByte = 1444
; TotalNumSgprs: 25
; NumVgprs: 36
; ScratchSize: 0
; MemoryBound: 0
; FloatMode: 240
; IeeeMode: 1
; LDSByteSize: 2056 bytes/workgroup (compile time only)
; SGPRBlocks: 0
; VGPRBlocks: 2
; NumSGPRsForWavesPerEU: 25
; NumVGPRsForWavesPerEU: 36
; NamedBarCnt: 0
; Occupancy: 16
; WaveLimiterHint : 0
; COMPUTE_PGM_RSRC2:SCRATCH_EN: 0
; COMPUTE_PGM_RSRC2:USER_SGPR: 2
; COMPUTE_PGM_RSRC2:TRAP_HANDLER: 0
; COMPUTE_PGM_RSRC2:TGID_X_EN: 1
; COMPUTE_PGM_RSRC2:TGID_Y_EN: 0
; COMPUTE_PGM_RSRC2:TGID_Z_EN: 0
; COMPUTE_PGM_RSRC2:TIDIG_COMP_CNT: 0
	.section	.text._ZN9rocsparseL44csr2gebsr_wavefront_per_row_multipass_kernelILi256ELi4ELi16ELi64E21rocsparse_complex_numIfEEEv20rocsparse_direction_iiiiii21rocsparse_index_base_PKT3_PKiS9_S4_PS5_PiSB_,"axG",@progbits,_ZN9rocsparseL44csr2gebsr_wavefront_per_row_multipass_kernelILi256ELi4ELi16ELi64E21rocsparse_complex_numIfEEEv20rocsparse_direction_iiiiii21rocsparse_index_base_PKT3_PKiS9_S4_PS5_PiSB_,comdat
	.globl	_ZN9rocsparseL44csr2gebsr_wavefront_per_row_multipass_kernelILi256ELi4ELi16ELi64E21rocsparse_complex_numIfEEEv20rocsparse_direction_iiiiii21rocsparse_index_base_PKT3_PKiS9_S4_PS5_PiSB_ ; -- Begin function _ZN9rocsparseL44csr2gebsr_wavefront_per_row_multipass_kernelILi256ELi4ELi16ELi64E21rocsparse_complex_numIfEEEv20rocsparse_direction_iiiiii21rocsparse_index_base_PKT3_PKiS9_S4_PS5_PiSB_
	.p2align	8
	.type	_ZN9rocsparseL44csr2gebsr_wavefront_per_row_multipass_kernelILi256ELi4ELi16ELi64E21rocsparse_complex_numIfEEEv20rocsparse_direction_iiiiii21rocsparse_index_base_PKT3_PKiS9_S4_PS5_PiSB_,@function
_ZN9rocsparseL44csr2gebsr_wavefront_per_row_multipass_kernelILi256ELi4ELi16ELi64E21rocsparse_complex_numIfEEEv20rocsparse_direction_iiiiii21rocsparse_index_base_PKT3_PKiS9_S4_PS5_PiSB_: ; @_ZN9rocsparseL44csr2gebsr_wavefront_per_row_multipass_kernelILi256ELi4ELi16ELi64E21rocsparse_complex_numIfEEEv20rocsparse_direction_iiiiii21rocsparse_index_base_PKT3_PKiS9_S4_PS5_PiSB_
; %bb.0:
	s_clause 0x1
	s_load_b128 s[4:7], s[0:1], 0xc
	s_load_b64 s[12:13], s[0:1], 0x0
	s_bfe_u32 s2, ttmp6, 0x4000c
	s_and_b32 s3, ttmp6, 15
	s_add_co_i32 s2, s2, 1
	s_getreg_b32 s8, hwreg(HW_REG_IB_STS2, 6, 4)
	s_mul_i32 s2, ttmp9, s2
	v_dual_lshrrev_b32 v18, 6, v0 :: v_dual_mov_b32 v2, 0
	s_add_co_i32 s3, s3, s2
	s_cmp_eq_u32 s8, 0
	v_bfe_u32 v1, v0, 4, 2
	s_cselect_b32 s2, ttmp9, s3
	s_clause 0x1
	s_load_b32 s16, s[0:1], 0x1c
	s_load_b64 s[8:9], s[0:1], 0x28
	v_lshl_or_b32 v3, s2, 2, v18
	v_mov_b32_e32 v6, 0
	s_wait_kmcnt 0x0
	s_delay_alu instid0(VALU_DEP_2) | instskip(SKIP_1) | instid1(VALU_DEP_2)
	v_mad_u32 v4, v3, s6, v1
	v_cmp_gt_i32_e32 vcc_lo, s6, v1
	v_cmp_gt_i32_e64 s2, s13, v4
	s_and_b32 s2, vcc_lo, s2
	s_delay_alu instid0(SALU_CYCLE_1)
	s_and_saveexec_b32 s3, s2
	s_cbranch_execz .LBB136_2
; %bb.1:
	global_load_b32 v5, v4, s[8:9] scale_offset
	s_wait_loadcnt 0x0
	v_subrev_nc_u32_e32 v6, s16, v5
.LBB136_2:
	s_or_b32 exec_lo, exec_lo, s3
	v_mov_b32_e32 v19, 0
	s_and_saveexec_b32 s3, s2
	s_cbranch_execz .LBB136_4
; %bb.3:
	global_load_b32 v4, v4, s[8:9] offset:4 scale_offset
	s_wait_loadcnt 0x0
	v_subrev_nc_u32_e32 v19, s16, v4
.LBB136_4:
	s_or_b32 exec_lo, exec_lo, s3
	s_load_b32 s17, s[0:1], 0x38
	s_mov_b32 s3, exec_lo
	v_cmpx_gt_i32_e64 s4, v3
	s_cbranch_execz .LBB136_6
; %bb.5:
	s_load_b64 s[8:9], s[0:1], 0x48
	s_wait_kmcnt 0x0
	global_load_b32 v2, v3, s[8:9] scale_offset
	s_wait_loadcnt 0x0
	v_subrev_nc_u32_e32 v2, s17, v2
.LBB136_6:
	s_or_b32 exec_lo, exec_lo, s3
	s_cmp_lt_i32 s5, 1
	s_cbranch_scc1 .LBB136_24
; %bb.7:
	v_and_b32_e32 v3, 0xc0, v0
	v_dual_lshlrev_b32 v4, 7, v1 :: v_dual_bitop2_b32 v0, 15, v0 bitop3:0x40
	v_mbcnt_lo_u32_b32 v7, -1, 0
	s_clause 0x3
	s_load_b64 s[2:3], s[0:1], 0x50
	s_load_b64 s[14:15], s[0:1], 0x40
	;; [unrolled: 1-line block ×4, first 2 shown]
	v_mul_lo_u32 v12, s7, v1
	v_lshl_or_b32 v20, v3, 3, v4
	v_dual_lshlrev_b32 v10, 3, v0 :: v_dual_bitop2_b32 v8, 1, v7 bitop3:0x14
	v_xor_b32_e32 v4, 2, v7
	v_xor_b32_e32 v5, 8, v7
	v_lshl_or_b32 v25, v7, 2, 60
	v_bfrev_b32_e32 v29, 0.5
	s_mov_b32 s13, 0
	v_mov_b32_e32 v30, 1
	s_wait_xcnt 0x0
	v_cmp_gt_i32_e64 s0, 32, v5
	s_delay_alu instid0(VALU_DEP_1) | instskip(NEXT) | instid1(VALU_DEP_1)
	v_dual_cndmask_b32 v5, v7, v5, s0 :: v_dual_bitop2_b32 v3, 4, v7 bitop3:0x14
	v_cmp_gt_i32_e64 s0, 32, v3
	s_delay_alu instid0(VALU_DEP_1) | instskip(SKIP_3) | instid1(VALU_DEP_3)
	v_dual_lshlrev_b32 v21, 2, v5 :: v_dual_cndmask_b32 v3, v7, v3, s0
	v_cmp_gt_i32_e64 s0, 32, v4
	v_dual_mov_b32 v5, 0 :: v_dual_bitop2_b32 v26, v20, v10 bitop3:0x54
	v_ashrrev_i32_e32 v13, 31, v12
	v_cndmask_b32_e64 v4, v7, v4, s0
	v_cmp_gt_i32_e64 s0, 32, v8
	s_delay_alu instid0(VALU_DEP_2) | instskip(NEXT) | instid1(VALU_DEP_2)
	v_dual_mov_b32 v11, v5 :: v_dual_lshlrev_b32 v23, 2, v4
	v_cndmask_b32_e64 v8, v7, v8, s0
	v_cmp_gt_u32_e64 s0, s7, v0
	v_mul_lo_u32 v4, s6, v0
	s_delay_alu instid0(VALU_DEP_3)
	v_dual_lshlrev_b32 v22, 2, v3 :: v_dual_lshlrev_b32 v24, 2, v8
	s_and_b32 s4, vcc_lo, s0
	s_cmp_lg_u32 s12, 0
	s_mov_b32 s12, s6
	s_cselect_b32 s18, -1, 0
	s_abs_i32 s19, s7
	s_ashr_i32 s1, s7, 31
	s_cvt_f32_u32 s0, s19
	s_wait_kmcnt 0x0
	s_delay_alu instid0(VALU_DEP_2) | instskip(SKIP_4) | instid1(VALU_DEP_2)
	v_lshl_add_u64 v[8:9], v[4:5], 3, s[14:15]
	v_dual_mov_b32 v1, v5 :: v_dual_lshlrev_b32 v4, 3, v1
	v_rcp_iflag_f32_e32 v3, s0
	v_lshl_add_u64 v[12:13], v[12:13], 3, s[14:15]
	s_sub_co_i32 s14, 0, s19
	v_add_nc_u64_e32 v[8:9], v[8:9], v[4:5]
	v_or_b32_e32 v4, 32, v7
	s_mov_b32 s0, s7
	v_add_nc_u64_e32 v[10:11], v[12:13], v[10:11]
	v_readfirstlane_b32 s6, v3
	v_mov_b64_e32 v[12:13], 0
	v_cmp_gt_i32_e32 vcc_lo, 32, v4
	v_xor_b32_e32 v3, 16, v7
	s_mul_f32 s6, s6, 0x4f7ffffe
	v_cndmask_b32_e32 v4, v7, v4, vcc_lo
	s_delay_alu instid0(VALU_DEP_2) | instskip(NEXT) | instid1(SALU_CYCLE_1)
	v_cmp_gt_i32_e32 vcc_lo, 32, v3
	s_cvt_u32_f32 s6, s6
	s_delay_alu instid0(VALU_DEP_2) | instskip(NEXT) | instid1(SALU_CYCLE_2)
	v_dual_lshlrev_b32 v27, 2, v4 :: v_dual_cndmask_b32 v3, v7, v3, vcc_lo
	s_mul_i32 s14, s14, s6
	s_delay_alu instid0(SALU_CYCLE_1) | instskip(SKIP_1) | instid1(VALU_DEP_1)
	s_mul_hi_u32 s20, s6, s14
	s_mul_u64 s[14:15], s[0:1], s[12:13]
	v_dual_mov_b32 v3, 0 :: v_dual_lshlrev_b32 v28, 2, v3
	s_add_co_i32 s12, s6, s20
	s_mov_b32 s6, s13
	s_branch .LBB136_10
.LBB136_8:                              ;   in Loop: Header=BB136_10 Depth=1
	s_wait_xcnt 0x0
	s_or_b32 exec_lo, exec_lo, s20
	v_mov_b32_e32 v4, 1
.LBB136_9:                              ;   in Loop: Header=BB136_10 Depth=1
	s_or_b32 exec_lo, exec_lo, s0
	ds_bpermute_b32 v3, v27, v31
	s_wait_storecnt_dscnt 0x0
	v_dual_add_nc_u32 v2, v4, v2 :: v_dual_min_i32 v3, v3, v31
	ds_bpermute_b32 v7, v28, v3
	s_wait_dscnt 0x0
	v_min_i32_e32 v3, v7, v3
	ds_bpermute_b32 v7, v21, v3
	s_wait_dscnt 0x0
	v_min_i32_e32 v3, v7, v3
	;; [unrolled: 3-line block ×5, first 2 shown]
	ds_bpermute_b32 v3, v29, v3
	s_wait_dscnt 0x0
	v_cmp_le_i32_e32 vcc_lo, s5, v3
	s_or_b32 s6, vcc_lo, s6
	s_delay_alu instid0(SALU_CYCLE_1)
	s_and_not1_b32 exec_lo, exec_lo, s6
	s_cbranch_execz .LBB136_24
.LBB136_10:                             ; =>This Loop Header: Depth=1
                                        ;     Child Loop BB136_13 Depth 2
	v_dual_mov_b32 v31, s5 :: v_dual_add_nc_u32 v16, v6, v0
	v_mov_b32_e32 v32, v19
	s_mov_b32 s20, exec_lo
	ds_store_b8 v18, v5 offset:2048
	ds_store_b64 v26, v[12:13]
	s_wait_dscnt 0x0
	v_cmpx_lt_i32_e64 v16, v19
	s_cbranch_execz .LBB136_18
; %bb.11:                               ;   in Loop: Header=BB136_10 Depth=1
	v_dual_ashrrev_i32 v7, 31, v6 :: v_dual_mov_b32 v31, s5
	v_mul_lo_u32 v17, v3, s7
	v_mov_b32_e32 v32, v19
	s_mov_b32 s21, 0
	s_delay_alu instid0(VALU_DEP_3) | instskip(NEXT) | instid1(VALU_DEP_1)
	v_add_nc_u64_e32 v[14:15], v[0:1], v[6:7]
	v_lshl_add_u64 v[6:7], v[14:15], 2, s[10:11]
	v_lshl_add_u64 v[14:15], v[14:15], 3, s[8:9]
	s_branch .LBB136_13
.LBB136_12:                             ;   in Loop: Header=BB136_13 Depth=2
	s_wait_xcnt 0x0
	s_or_b32 exec_lo, exec_lo, s0
	v_add_nc_u32_e32 v16, 16, v16
	s_xor_b32 s22, vcc_lo, -1
	v_add_nc_u64_e32 v[6:7], 64, v[6:7]
	v_add_nc_u64_e32 v[14:15], 0x80, v[14:15]
	s_delay_alu instid0(VALU_DEP_3) | instskip(SKIP_1) | instid1(SALU_CYCLE_1)
	v_cmp_ge_i32_e64 s0, v16, v19
	s_or_b32 s0, s22, s0
	s_and_b32 s0, exec_lo, s0
	s_delay_alu instid0(SALU_CYCLE_1) | instskip(NEXT) | instid1(SALU_CYCLE_1)
	s_or_b32 s21, s0, s21
	s_and_not1_b32 exec_lo, exec_lo, s21
	s_cbranch_execz .LBB136_17
.LBB136_13:                             ;   Parent Loop BB136_10 Depth=1
                                        ; =>  This Inner Loop Header: Depth=2
	global_load_b32 v4, v[6:7], off
	s_wait_loadcnt 0x0
	v_subrev_nc_u32_e32 v33, s16, v4
	s_delay_alu instid0(VALU_DEP_1) | instskip(NEXT) | instid1(VALU_DEP_1)
	v_sub_nc_u32_e32 v4, 0, v33
	v_max_i32_e32 v4, v33, v4
	s_delay_alu instid0(VALU_DEP_1) | instskip(NEXT) | instid1(VALU_DEP_1)
	v_mul_u64_e32 v[34:35], s[12:13], v[4:5]
	v_mul_lo_u32 v34, v35, s19
	s_delay_alu instid0(VALU_DEP_1) | instskip(NEXT) | instid1(VALU_DEP_1)
	v_dual_sub_nc_u32 v4, v4, v34 :: v_dual_add_nc_u32 v34, 1, v35
	v_cmp_le_u32_e32 vcc_lo, s19, v4
	s_delay_alu instid0(VALU_DEP_2) | instskip(SKIP_1) | instid1(VALU_DEP_1)
	v_dual_cndmask_b32 v34, v35, v34 :: v_dual_ashrrev_i32 v35, 31, v33
	v_subrev_nc_u32_e32 v36, s19, v4
	v_dual_cndmask_b32 v4, v4, v36, vcc_lo :: v_dual_add_nc_u32 v36, 1, v34
	s_delay_alu instid0(VALU_DEP_1) | instskip(NEXT) | instid1(VALU_DEP_2)
	v_cmp_le_u32_e32 vcc_lo, s19, v4
	v_dual_cndmask_b32 v4, v34, v36, vcc_lo :: v_dual_bitop2_b32 v35, s1, v35 bitop3:0x14
	s_delay_alu instid0(VALU_DEP_1) | instskip(NEXT) | instid1(VALU_DEP_1)
	v_xor_b32_e32 v4, v4, v35
	v_sub_nc_u32_e32 v34, v4, v35
	v_mov_b32_e32 v4, v32
	s_delay_alu instid0(VALU_DEP_2) | instskip(SKIP_3) | instid1(SALU_CYCLE_1)
	v_cmp_ne_u32_e64 s0, v34, v3
	v_cmp_eq_u32_e32 vcc_lo, v34, v3
	s_wait_xcnt 0x0
	s_and_saveexec_b32 s22, s0
	s_xor_b32 s0, exec_lo, s22
; %bb.14:                               ;   in Loop: Header=BB136_13 Depth=2
	v_min_i32_e32 v31, v34, v31
                                        ; implicit-def: $vgpr33
                                        ; implicit-def: $vgpr4
; %bb.15:                               ;   in Loop: Header=BB136_13 Depth=2
	s_or_saveexec_b32 s0, s0
	v_mov_b32_e32 v32, v16
	s_xor_b32 exec_lo, exec_lo, s0
	s_cbranch_execz .LBB136_12
; %bb.16:                               ;   in Loop: Header=BB136_13 Depth=2
	global_load_b64 v[34:35], v[14:15], off
	v_sub_nc_u32_e32 v32, v33, v17
	s_delay_alu instid0(VALU_DEP_1)
	v_lshl_add_u32 v33, v32, 3, v20
	v_mov_b32_e32 v32, v4
	ds_store_b8 v18, v30 offset:2048
	s_wait_loadcnt 0x0
	ds_store_b64 v33, v[34:35]
	s_branch .LBB136_12
.LBB136_17:                             ;   in Loop: Header=BB136_10 Depth=1
	s_or_b32 exec_lo, exec_lo, s21
.LBB136_18:                             ;   in Loop: Header=BB136_10 Depth=1
	s_delay_alu instid0(SALU_CYCLE_1)
	s_or_b32 exec_lo, exec_lo, s20
	ds_bpermute_b32 v4, v21, v32
	s_wait_dscnt 0x0
	ds_load_u8 v7, v18 offset:2048
	v_min_i32_e32 v4, v4, v32
	ds_bpermute_b32 v6, v22, v4
	s_wait_dscnt 0x0
	v_min_i32_e32 v4, v6, v4
	ds_bpermute_b32 v6, v23, v4
	s_wait_dscnt 0x0
	;; [unrolled: 3-line block ×3, first 2 shown]
	v_min_i32_e32 v4, v6, v4
	ds_bpermute_b32 v6, v25, v4
	v_and_b32_e32 v4, 1, v7
	s_delay_alu instid0(VALU_DEP_1)
	v_cmp_eq_u32_e32 vcc_lo, 1, v4
	v_mov_b32_e32 v4, 0
	s_and_saveexec_b32 s0, vcc_lo
	s_cbranch_execz .LBB136_9
; %bb.19:                               ;   in Loop: Header=BB136_10 Depth=1
	v_add_nc_u32_e32 v3, s17, v3
	global_store_b32 v2, v3, s[2:3] scale_offset
	s_wait_xcnt 0x0
	s_and_saveexec_b32 s20, s4
	s_cbranch_execz .LBB136_8
; %bb.20:                               ;   in Loop: Header=BB136_10 Depth=1
	v_ashrrev_i32_e32 v3, 31, v2
	ds_load_b64 v[16:17], v26
	s_and_b32 vcc_lo, exec_lo, s18
	v_mul_u64_e32 v[14:15], s[14:15], v[2:3]
	s_cbranch_vccz .LBB136_22
; %bb.21:                               ;   in Loop: Header=BB136_10 Depth=1
	s_delay_alu instid0(VALU_DEP_1)
	v_lshl_add_u64 v[32:33], v[14:15], 3, v[8:9]
	s_wait_dscnt 0x0
	global_store_b64 v[32:33], v[16:17], off
	s_cbranch_execnz .LBB136_8
	s_branch .LBB136_23
.LBB136_22:                             ;   in Loop: Header=BB136_10 Depth=1
.LBB136_23:                             ;   in Loop: Header=BB136_10 Depth=1
	s_delay_alu instid0(VALU_DEP_1)
	v_lshl_add_u64 v[14:15], v[14:15], 3, v[10:11]
	s_wait_dscnt 0x0
	global_store_b64 v[14:15], v[16:17], off
	s_branch .LBB136_8
.LBB136_24:
	s_endpgm
	.section	.rodata,"a",@progbits
	.p2align	6, 0x0
	.amdhsa_kernel _ZN9rocsparseL44csr2gebsr_wavefront_per_row_multipass_kernelILi256ELi4ELi16ELi64E21rocsparse_complex_numIfEEEv20rocsparse_direction_iiiiii21rocsparse_index_base_PKT3_PKiS9_S4_PS5_PiSB_
		.amdhsa_group_segment_fixed_size 2052
		.amdhsa_private_segment_fixed_size 0
		.amdhsa_kernarg_size 88
		.amdhsa_user_sgpr_count 2
		.amdhsa_user_sgpr_dispatch_ptr 0
		.amdhsa_user_sgpr_queue_ptr 0
		.amdhsa_user_sgpr_kernarg_segment_ptr 1
		.amdhsa_user_sgpr_dispatch_id 0
		.amdhsa_user_sgpr_kernarg_preload_length 0
		.amdhsa_user_sgpr_kernarg_preload_offset 0
		.amdhsa_user_sgpr_private_segment_size 0
		.amdhsa_wavefront_size32 1
		.amdhsa_uses_dynamic_stack 0
		.amdhsa_enable_private_segment 0
		.amdhsa_system_sgpr_workgroup_id_x 1
		.amdhsa_system_sgpr_workgroup_id_y 0
		.amdhsa_system_sgpr_workgroup_id_z 0
		.amdhsa_system_sgpr_workgroup_info 0
		.amdhsa_system_vgpr_workitem_id 0
		.amdhsa_next_free_vgpr 37
		.amdhsa_next_free_sgpr 23
		.amdhsa_named_barrier_count 0
		.amdhsa_reserve_vcc 1
		.amdhsa_float_round_mode_32 0
		.amdhsa_float_round_mode_16_64 0
		.amdhsa_float_denorm_mode_32 3
		.amdhsa_float_denorm_mode_16_64 3
		.amdhsa_fp16_overflow 0
		.amdhsa_memory_ordered 1
		.amdhsa_forward_progress 1
		.amdhsa_inst_pref_size 12
		.amdhsa_round_robin_scheduling 0
		.amdhsa_exception_fp_ieee_invalid_op 0
		.amdhsa_exception_fp_denorm_src 0
		.amdhsa_exception_fp_ieee_div_zero 0
		.amdhsa_exception_fp_ieee_overflow 0
		.amdhsa_exception_fp_ieee_underflow 0
		.amdhsa_exception_fp_ieee_inexact 0
		.amdhsa_exception_int_div_zero 0
	.end_amdhsa_kernel
	.section	.text._ZN9rocsparseL44csr2gebsr_wavefront_per_row_multipass_kernelILi256ELi4ELi16ELi64E21rocsparse_complex_numIfEEEv20rocsparse_direction_iiiiii21rocsparse_index_base_PKT3_PKiS9_S4_PS5_PiSB_,"axG",@progbits,_ZN9rocsparseL44csr2gebsr_wavefront_per_row_multipass_kernelILi256ELi4ELi16ELi64E21rocsparse_complex_numIfEEEv20rocsparse_direction_iiiiii21rocsparse_index_base_PKT3_PKiS9_S4_PS5_PiSB_,comdat
.Lfunc_end136:
	.size	_ZN9rocsparseL44csr2gebsr_wavefront_per_row_multipass_kernelILi256ELi4ELi16ELi64E21rocsparse_complex_numIfEEEv20rocsparse_direction_iiiiii21rocsparse_index_base_PKT3_PKiS9_S4_PS5_PiSB_, .Lfunc_end136-_ZN9rocsparseL44csr2gebsr_wavefront_per_row_multipass_kernelILi256ELi4ELi16ELi64E21rocsparse_complex_numIfEEEv20rocsparse_direction_iiiiii21rocsparse_index_base_PKT3_PKiS9_S4_PS5_PiSB_
                                        ; -- End function
	.set _ZN9rocsparseL44csr2gebsr_wavefront_per_row_multipass_kernelILi256ELi4ELi16ELi64E21rocsparse_complex_numIfEEEv20rocsparse_direction_iiiiii21rocsparse_index_base_PKT3_PKiS9_S4_PS5_PiSB_.num_vgpr, 37
	.set _ZN9rocsparseL44csr2gebsr_wavefront_per_row_multipass_kernelILi256ELi4ELi16ELi64E21rocsparse_complex_numIfEEEv20rocsparse_direction_iiiiii21rocsparse_index_base_PKT3_PKiS9_S4_PS5_PiSB_.num_agpr, 0
	.set _ZN9rocsparseL44csr2gebsr_wavefront_per_row_multipass_kernelILi256ELi4ELi16ELi64E21rocsparse_complex_numIfEEEv20rocsparse_direction_iiiiii21rocsparse_index_base_PKT3_PKiS9_S4_PS5_PiSB_.numbered_sgpr, 23
	.set _ZN9rocsparseL44csr2gebsr_wavefront_per_row_multipass_kernelILi256ELi4ELi16ELi64E21rocsparse_complex_numIfEEEv20rocsparse_direction_iiiiii21rocsparse_index_base_PKT3_PKiS9_S4_PS5_PiSB_.num_named_barrier, 0
	.set _ZN9rocsparseL44csr2gebsr_wavefront_per_row_multipass_kernelILi256ELi4ELi16ELi64E21rocsparse_complex_numIfEEEv20rocsparse_direction_iiiiii21rocsparse_index_base_PKT3_PKiS9_S4_PS5_PiSB_.private_seg_size, 0
	.set _ZN9rocsparseL44csr2gebsr_wavefront_per_row_multipass_kernelILi256ELi4ELi16ELi64E21rocsparse_complex_numIfEEEv20rocsparse_direction_iiiiii21rocsparse_index_base_PKT3_PKiS9_S4_PS5_PiSB_.uses_vcc, 1
	.set _ZN9rocsparseL44csr2gebsr_wavefront_per_row_multipass_kernelILi256ELi4ELi16ELi64E21rocsparse_complex_numIfEEEv20rocsparse_direction_iiiiii21rocsparse_index_base_PKT3_PKiS9_S4_PS5_PiSB_.uses_flat_scratch, 0
	.set _ZN9rocsparseL44csr2gebsr_wavefront_per_row_multipass_kernelILi256ELi4ELi16ELi64E21rocsparse_complex_numIfEEEv20rocsparse_direction_iiiiii21rocsparse_index_base_PKT3_PKiS9_S4_PS5_PiSB_.has_dyn_sized_stack, 0
	.set _ZN9rocsparseL44csr2gebsr_wavefront_per_row_multipass_kernelILi256ELi4ELi16ELi64E21rocsparse_complex_numIfEEEv20rocsparse_direction_iiiiii21rocsparse_index_base_PKT3_PKiS9_S4_PS5_PiSB_.has_recursion, 0
	.set _ZN9rocsparseL44csr2gebsr_wavefront_per_row_multipass_kernelILi256ELi4ELi16ELi64E21rocsparse_complex_numIfEEEv20rocsparse_direction_iiiiii21rocsparse_index_base_PKT3_PKiS9_S4_PS5_PiSB_.has_indirect_call, 0
	.section	.AMDGPU.csdata,"",@progbits
; Kernel info:
; codeLenInByte = 1520
; TotalNumSgprs: 25
; NumVgprs: 37
; ScratchSize: 0
; MemoryBound: 0
; FloatMode: 240
; IeeeMode: 1
; LDSByteSize: 2052 bytes/workgroup (compile time only)
; SGPRBlocks: 0
; VGPRBlocks: 2
; NumSGPRsForWavesPerEU: 25
; NumVGPRsForWavesPerEU: 37
; NamedBarCnt: 0
; Occupancy: 16
; WaveLimiterHint : 0
; COMPUTE_PGM_RSRC2:SCRATCH_EN: 0
; COMPUTE_PGM_RSRC2:USER_SGPR: 2
; COMPUTE_PGM_RSRC2:TRAP_HANDLER: 0
; COMPUTE_PGM_RSRC2:TGID_X_EN: 1
; COMPUTE_PGM_RSRC2:TGID_Y_EN: 0
; COMPUTE_PGM_RSRC2:TGID_Z_EN: 0
; COMPUTE_PGM_RSRC2:TIDIG_COMP_CNT: 0
	.section	.text._ZN9rocsparseL44csr2gebsr_wavefront_per_row_multipass_kernelILi256ELi4ELi16ELi32E21rocsparse_complex_numIfEEEv20rocsparse_direction_iiiiii21rocsparse_index_base_PKT3_PKiS9_S4_PS5_PiSB_,"axG",@progbits,_ZN9rocsparseL44csr2gebsr_wavefront_per_row_multipass_kernelILi256ELi4ELi16ELi32E21rocsparse_complex_numIfEEEv20rocsparse_direction_iiiiii21rocsparse_index_base_PKT3_PKiS9_S4_PS5_PiSB_,comdat
	.globl	_ZN9rocsparseL44csr2gebsr_wavefront_per_row_multipass_kernelILi256ELi4ELi16ELi32E21rocsparse_complex_numIfEEEv20rocsparse_direction_iiiiii21rocsparse_index_base_PKT3_PKiS9_S4_PS5_PiSB_ ; -- Begin function _ZN9rocsparseL44csr2gebsr_wavefront_per_row_multipass_kernelILi256ELi4ELi16ELi32E21rocsparse_complex_numIfEEEv20rocsparse_direction_iiiiii21rocsparse_index_base_PKT3_PKiS9_S4_PS5_PiSB_
	.p2align	8
	.type	_ZN9rocsparseL44csr2gebsr_wavefront_per_row_multipass_kernelILi256ELi4ELi16ELi32E21rocsparse_complex_numIfEEEv20rocsparse_direction_iiiiii21rocsparse_index_base_PKT3_PKiS9_S4_PS5_PiSB_,@function
_ZN9rocsparseL44csr2gebsr_wavefront_per_row_multipass_kernelILi256ELi4ELi16ELi32E21rocsparse_complex_numIfEEEv20rocsparse_direction_iiiiii21rocsparse_index_base_PKT3_PKiS9_S4_PS5_PiSB_: ; @_ZN9rocsparseL44csr2gebsr_wavefront_per_row_multipass_kernelILi256ELi4ELi16ELi32E21rocsparse_complex_numIfEEEv20rocsparse_direction_iiiiii21rocsparse_index_base_PKT3_PKiS9_S4_PS5_PiSB_
; %bb.0:
	s_clause 0x1
	s_load_b128 s[4:7], s[0:1], 0xc
	s_load_b64 s[12:13], s[0:1], 0x0
	s_bfe_u32 s2, ttmp6, 0x4000c
	s_and_b32 s3, ttmp6, 15
	s_add_co_i32 s2, s2, 1
	s_getreg_b32 s8, hwreg(HW_REG_IB_STS2, 6, 4)
	s_mul_i32 s2, ttmp9, s2
	v_dual_lshrrev_b32 v20, 5, v0 :: v_dual_mov_b32 v2, 0
	s_add_co_i32 s3, s3, s2
	s_cmp_eq_u32 s8, 0
	v_bfe_u32 v1, v0, 3, 2
	s_cselect_b32 s2, ttmp9, s3
	s_clause 0x1
	s_load_b32 s18, s[0:1], 0x1c
	s_load_b64 s[8:9], s[0:1], 0x28
	v_lshl_or_b32 v3, s2, 3, v20
	v_mov_b32_e32 v18, 0
	s_wait_kmcnt 0x0
	s_delay_alu instid0(VALU_DEP_2) | instskip(SKIP_1) | instid1(VALU_DEP_2)
	v_mad_u32 v4, v3, s6, v1
	v_cmp_gt_i32_e32 vcc_lo, s6, v1
	v_cmp_gt_i32_e64 s2, s13, v4
	s_and_b32 s2, vcc_lo, s2
	s_delay_alu instid0(SALU_CYCLE_1)
	s_and_saveexec_b32 s3, s2
	s_cbranch_execz .LBB137_2
; %bb.1:
	global_load_b32 v5, v4, s[8:9] scale_offset
	s_wait_loadcnt 0x0
	v_subrev_nc_u32_e32 v18, s18, v5
.LBB137_2:
	s_or_b32 exec_lo, exec_lo, s3
	v_mov_b32_e32 v21, 0
	s_and_saveexec_b32 s3, s2
	s_cbranch_execz .LBB137_4
; %bb.3:
	global_load_b32 v4, v4, s[8:9] offset:4 scale_offset
	s_wait_loadcnt 0x0
	v_subrev_nc_u32_e32 v21, s18, v4
.LBB137_4:
	s_or_b32 exec_lo, exec_lo, s3
	s_load_b32 s19, s[0:1], 0x38
	s_mov_b32 s3, exec_lo
	v_cmpx_gt_i32_e64 s4, v3
	s_cbranch_execz .LBB137_6
; %bb.5:
	s_load_b64 s[8:9], s[0:1], 0x48
	s_wait_kmcnt 0x0
	global_load_b32 v2, v3, s[8:9] scale_offset
	s_wait_loadcnt 0x0
	v_subrev_nc_u32_e32 v2, s19, v2
.LBB137_6:
	s_or_b32 exec_lo, exec_lo, s3
	s_cmp_lt_i32 s5, 1
	s_cbranch_scc1 .LBB137_31
; %bb.7:
	v_mbcnt_lo_u32_b32 v3, -1, 0
	s_clause 0x3
	s_load_b64 s[2:3], s[0:1], 0x50
	s_load_b64 s[20:21], s[0:1], 0x40
	;; [unrolled: 1-line block ×4, first 2 shown]
	v_and_b32_e32 v22, 7, v0
	s_cmp_lg_u32 s12, 0
	s_mov_b32 s13, 0
	v_dual_lshlrev_b32 v5, 7, v1 :: v_dual_bitop2_b32 v4, 4, v3 bitop3:0x14
	s_cselect_b32 s4, -1, 0
	s_mov_b32 s12, s6
	s_ashr_i32 s15, s7, 31
	s_wait_xcnt 0x0
	v_cmp_gt_i32_e64 s0, 32, v4
	v_xor_b32_e32 v0, 2, v3
	s_mov_b32 s14, s7
	v_lshl_or_b32 v23, v20, 9, v5
	s_mul_u64 s[16:17], s[14:15], s[12:13]
	v_dual_cndmask_b32 v4, v3, v4, s0 :: v_dual_bitop2_b32 v6, 1, v3 bitop3:0x14
	v_cmp_gt_i32_e64 s0, 32, v0
	s_abs_i32 s14, s7
	v_lshl_or_b32 v27, v3, 2, 28
	v_lshlrev_b32_e32 v24, 2, v4
	v_mov_b64_e32 v[12:13], 0
	v_cndmask_b32_e64 v0, v3, v0, s0
	v_cmp_gt_i32_e64 s0, 32, v6
	v_dual_mov_b32 v31, 0x7c :: v_dual_lshlrev_b32 v8, 3, v22
	v_dual_mov_b32 v33, 1 :: v_dual_mov_b32 v35, 0
	s_delay_alu instid0(VALU_DEP_3) | instskip(SKIP_3) | instid1(VALU_DEP_3)
	v_dual_cndmask_b32 v6, v3, v6, s0 :: v_dual_lshlrev_b32 v25, 2, v0
	v_lshlrev_b32_e32 v0, 3, v1
	s_cvt_f32_u32 s0, s14
	v_or_b32_e32 v32, -8, v22
	v_lshlrev_b32_e32 v26, 2, v6
	v_mul_lo_u32 v6, s7, v1
	v_dual_mov_b32 v1, 0 :: v_dual_bitop2_b32 v28, v23, v8 bitop3:0x54
	v_rcp_iflag_f32_e32 v11, s0
	s_wait_kmcnt 0x0
	s_delay_alu instid0(VALU_DEP_1) | instskip(SKIP_1) | instid1(VALU_DEP_4)
	v_add_nc_u64_e32 v[4:5], s[20:21], v[0:1]
	v_dual_mov_b32 v9, v1 :: v_dual_bitop2_b32 v0, 16, v3 bitop3:0x14
	v_ashrrev_i32_e32 v7, 31, v6
	s_delay_alu instid0(VALU_DEP_2) | instskip(SKIP_1) | instid1(VALU_DEP_3)
	v_cmp_gt_i32_e64 s0, 32, v0
	v_xor_b32_e32 v10, 8, v3
	v_lshl_add_u64 v[6:7], v[6:7], 3, s[20:21]
	s_delay_alu instid0(VALU_DEP_3) | instskip(NEXT) | instid1(VALU_DEP_3)
	v_cndmask_b32_e64 v0, v3, v0, s0
	v_cmp_gt_i32_e64 s0, 32, v10
	s_delay_alu instid0(VALU_DEP_3) | instskip(SKIP_1) | instid1(VALU_DEP_3)
	v_add_nc_u64_e32 v[6:7], v[6:7], v[8:9]
	v_mul_lo_u32 v8, v22, s6
	v_dual_cndmask_b32 v3, v3, v10, s0 :: v_dual_lshlrev_b32 v29, 2, v0
	v_readfirstlane_b32 s0, v11
	v_dual_mov_b32 v11, v1 :: v_dual_bitop2_b32 v0, 8, v22 bitop3:0x54
	s_delay_alu instid0(VALU_DEP_3) | instskip(SKIP_2) | instid1(VALU_DEP_3)
	v_lshlrev_b32_e32 v30, 2, v3
	s_mul_f32 s12, s0, 0x4f7ffffe
	v_cmp_gt_u32_e64 s0, s7, v22
	v_cmp_gt_u32_e64 s1, s7, v0
	v_lshl_add_u32 v10, s6, 3, v8
	s_cvt_u32_f32 s12, s12
	s_sub_co_i32 s6, 0, s14
	s_and_b32 s1, vcc_lo, s1
	s_delay_alu instid0(SALU_CYCLE_1)
	s_mul_i32 s20, s6, s12
	s_and_b32 s6, s0, vcc_lo
	s_mul_hi_u32 s0, s12, s20
	s_mov_b32 s20, s13
	s_add_co_i32 s12, s12, s0
	s_branch .LBB137_10
.LBB137_8:                              ;   in Loop: Header=BB137_10 Depth=1
	s_wait_xcnt 0x0
	s_or_b32 exec_lo, exec_lo, s21
	v_mov_b32_e32 v0, 1
.LBB137_9:                              ;   in Loop: Header=BB137_10 Depth=1
	s_or_b32 exec_lo, exec_lo, s0
	ds_bpermute_b32 v3, v29, v34
	s_wait_storecnt_dscnt 0x0
	v_add_nc_u32_e32 v2, v0, v2
	v_min_i32_e32 v3, v3, v34
	ds_bpermute_b32 v14, v30, v3
	s_wait_dscnt 0x0
	v_min_i32_e32 v3, v14, v3
	ds_bpermute_b32 v14, v24, v3
	s_wait_dscnt 0x0
	;; [unrolled: 3-line block ×5, first 2 shown]
	v_cmp_le_i32_e32 vcc_lo, s5, v35
	s_or_b32 s20, vcc_lo, s20
	s_delay_alu instid0(SALU_CYCLE_1)
	s_and_not1_b32 exec_lo, exec_lo, s20
	s_cbranch_execz .LBB137_31
.LBB137_10:                             ; =>This Loop Header: Depth=1
                                        ;     Child Loop BB137_11 Depth 2
                                        ;     Child Loop BB137_15 Depth 2
	v_dual_mov_b32 v0, v28 :: v_dual_mov_b32 v3, v32
	s_mov_b32 s0, 0
	ds_store_b8 v20, v1 offset:4096
.LBB137_11:                             ;   Parent Loop BB137_10 Depth=1
                                        ; =>  This Inner Loop Header: Depth=2
	v_add_co_u32 v3, s21, v3, 8
	s_xor_b32 s21, s21, -1
	ds_store_b64 v0, v[12:13]
	v_add_nc_u32_e32 v0, 64, v0
	s_and_b32 s21, exec_lo, s21
	s_delay_alu instid0(SALU_CYCLE_1) | instskip(NEXT) | instid1(SALU_CYCLE_1)
	s_or_b32 s0, s21, s0
	s_and_not1_b32 exec_lo, exec_lo, s0
	s_cbranch_execnz .LBB137_11
; %bb.12:                               ;   in Loop: Header=BB137_10 Depth=1
	s_or_b32 exec_lo, exec_lo, s0
	v_dual_add_nc_u32 v14, v18, v22 :: v_dual_mov_b32 v34, s5
	v_mov_b32_e32 v15, v21
	s_mov_b32 s21, exec_lo
	s_wait_dscnt 0x0
	s_delay_alu instid0(VALU_DEP_2)
	v_cmpx_lt_i32_e64 v14, v21
	s_cbranch_execz .LBB137_20
; %bb.13:                               ;   in Loop: Header=BB137_10 Depth=1
	v_mul_lo_u32 v3, v35, s7
	v_dual_mov_b32 v34, s5 :: v_dual_ashrrev_i32 v15, 31, v14
	s_mov_b32 s22, 0
	s_delay_alu instid0(VALU_DEP_1)
	v_lshl_add_u64 v[16:17], v[14:15], 2, s[10:11]
	v_lshl_add_u64 v[18:19], v[14:15], 3, s[8:9]
	v_mov_b32_e32 v15, v21
	s_branch .LBB137_15
.LBB137_14:                             ;   in Loop: Header=BB137_15 Depth=2
	s_wait_xcnt 0x0
	s_or_b32 exec_lo, exec_lo, s0
	v_add_nc_u32_e32 v14, 8, v14
	s_xor_b32 s23, vcc_lo, -1
	v_add_nc_u64_e32 v[16:17], 32, v[16:17]
	v_add_nc_u64_e32 v[18:19], 64, v[18:19]
	s_delay_alu instid0(VALU_DEP_3) | instskip(SKIP_1) | instid1(SALU_CYCLE_1)
	v_cmp_ge_i32_e64 s0, v14, v21
	s_or_b32 s0, s23, s0
	s_and_b32 s0, exec_lo, s0
	s_delay_alu instid0(SALU_CYCLE_1) | instskip(NEXT) | instid1(SALU_CYCLE_1)
	s_or_b32 s22, s0, s22
	s_and_not1_b32 exec_lo, exec_lo, s22
	s_cbranch_execz .LBB137_19
.LBB137_15:                             ;   Parent Loop BB137_10 Depth=1
                                        ; =>  This Inner Loop Header: Depth=2
	global_load_b32 v0, v[16:17], off
	s_wait_loadcnt 0x0
	v_subrev_nc_u32_e32 v36, s18, v0
	s_delay_alu instid0(VALU_DEP_1) | instskip(NEXT) | instid1(VALU_DEP_1)
	v_sub_nc_u32_e32 v0, 0, v36
	v_max_i32_e32 v0, v36, v0
	s_delay_alu instid0(VALU_DEP_1) | instskip(NEXT) | instid1(VALU_DEP_1)
	v_mul_u64_e32 v[38:39], s[12:13], v[0:1]
	v_mul_lo_u32 v37, v39, s14
	s_delay_alu instid0(VALU_DEP_1) | instskip(NEXT) | instid1(VALU_DEP_1)
	v_dual_sub_nc_u32 v0, v0, v37 :: v_dual_add_nc_u32 v37, 1, v39
	v_cmp_le_u32_e32 vcc_lo, s14, v0
	s_delay_alu instid0(VALU_DEP_2) | instskip(SKIP_1) | instid1(VALU_DEP_1)
	v_dual_cndmask_b32 v37, v39, v37, vcc_lo :: v_dual_ashrrev_i32 v39, 31, v36
	v_subrev_nc_u32_e32 v38, s14, v0
	v_dual_cndmask_b32 v0, v0, v38, vcc_lo :: v_dual_add_nc_u32 v38, 1, v37
	s_delay_alu instid0(VALU_DEP_1) | instskip(NEXT) | instid1(VALU_DEP_2)
	v_cmp_le_u32_e32 vcc_lo, s14, v0
	v_dual_cndmask_b32 v0, v37, v38, vcc_lo :: v_dual_bitop2_b32 v39, s15, v39 bitop3:0x14
	s_delay_alu instid0(VALU_DEP_1) | instskip(NEXT) | instid1(VALU_DEP_1)
	v_xor_b32_e32 v0, v0, v39
	v_dual_mov_b32 v0, v15 :: v_dual_sub_nc_u32 v37, v0, v39
	s_delay_alu instid0(VALU_DEP_1) | instskip(SKIP_3) | instid1(SALU_CYCLE_1)
	v_cmp_ne_u32_e64 s0, v37, v35
	v_cmp_eq_u32_e32 vcc_lo, v37, v35
	s_wait_xcnt 0x0
	s_and_saveexec_b32 s23, s0
	s_xor_b32 s0, exec_lo, s23
; %bb.16:                               ;   in Loop: Header=BB137_15 Depth=2
	v_min_i32_e32 v34, v37, v34
                                        ; implicit-def: $vgpr36
                                        ; implicit-def: $vgpr0
; %bb.17:                               ;   in Loop: Header=BB137_15 Depth=2
	s_or_saveexec_b32 s0, s0
	v_mov_b32_e32 v15, v14
	s_xor_b32 exec_lo, exec_lo, s0
	s_cbranch_execz .LBB137_14
; %bb.18:                               ;   in Loop: Header=BB137_15 Depth=2
	global_load_b64 v[38:39], v[18:19], off
	v_sub_nc_u32_e32 v15, v36, v3
	s_delay_alu instid0(VALU_DEP_1)
	v_lshl_add_u32 v36, v15, 3, v23
	v_mov_b32_e32 v15, v0
	ds_store_b8 v20, v33 offset:4096
	s_wait_loadcnt 0x0
	ds_store_b64 v36, v[38:39]
	s_branch .LBB137_14
.LBB137_19:                             ;   in Loop: Header=BB137_10 Depth=1
	s_or_b32 exec_lo, exec_lo, s22
.LBB137_20:                             ;   in Loop: Header=BB137_10 Depth=1
	s_delay_alu instid0(SALU_CYCLE_1)
	s_or_b32 exec_lo, exec_lo, s21
	ds_bpermute_b32 v0, v24, v15
	s_wait_dscnt 0x0
	ds_load_u8 v14, v20 offset:4096
	v_min_i32_e32 v0, v0, v15
	ds_bpermute_b32 v3, v25, v0
	s_wait_dscnt 0x0
	v_min_i32_e32 v0, v3, v0
	ds_bpermute_b32 v3, v26, v0
	s_wait_dscnt 0x0
	v_min_i32_e32 v0, v3, v0
	ds_bpermute_b32 v18, v27, v0
	v_and_b32_e32 v0, 1, v14
	s_delay_alu instid0(VALU_DEP_1)
	v_cmp_eq_u32_e32 vcc_lo, 1, v0
	v_mov_b32_e32 v0, 0
	s_and_saveexec_b32 s0, vcc_lo
	s_cbranch_execz .LBB137_9
; %bb.21:                               ;   in Loop: Header=BB137_10 Depth=1
	v_dual_ashrrev_i32 v3, 31, v2 :: v_dual_add_nc_u32 v0, s19, v35
	s_delay_alu instid0(VALU_DEP_1) | instskip(SKIP_2) | instid1(VALU_DEP_1)
	v_mul_u64_e32 v[14:15], s[16:17], v[2:3]
	global_store_b32 v2, v0, s[2:3] scale_offset
	v_lshlrev_b64_e32 v[14:15], 3, v[14:15]
	v_add_nc_u64_e32 v[16:17], v[4:5], v[14:15]
	v_add_nc_u64_e32 v[14:15], v[6:7], v[14:15]
	s_wait_xcnt 0x0
	s_and_saveexec_b32 s21, s6
	s_cbranch_execz .LBB137_25
; %bb.22:                               ;   in Loop: Header=BB137_10 Depth=1
	s_and_b32 vcc_lo, exec_lo, s4
	s_cbranch_vccz .LBB137_28
; %bb.23:                               ;   in Loop: Header=BB137_10 Depth=1
	ds_load_b64 v[36:37], v28
	v_lshl_add_u64 v[38:39], v[8:9], 3, v[16:17]
	s_wait_dscnt 0x0
	global_store_b64 v[38:39], v[36:37], off
	s_cbranch_execnz .LBB137_25
.LBB137_24:                             ;   in Loop: Header=BB137_10 Depth=1
	s_wait_xcnt 0x0
	ds_load_b64 v[36:37], v28
	s_wait_dscnt 0x0
	global_store_b64 v[14:15], v[36:37], off
.LBB137_25:                             ;   in Loop: Header=BB137_10 Depth=1
	s_wait_xcnt 0x0
	s_or_b32 exec_lo, exec_lo, s21
	s_and_saveexec_b32 s21, s1
	s_cbranch_execz .LBB137_8
; %bb.26:                               ;   in Loop: Header=BB137_10 Depth=1
	s_and_not1_b32 vcc_lo, exec_lo, s4
	s_cbranch_vccnz .LBB137_29
; %bb.27:                               ;   in Loop: Header=BB137_10 Depth=1
	ds_load_b64 v[36:37], v28 offset:64
	v_lshl_add_u64 v[16:17], v[10:11], 3, v[16:17]
	s_wait_dscnt 0x0
	global_store_b64 v[16:17], v[36:37], off
	s_cbranch_execnz .LBB137_8
	s_branch .LBB137_30
.LBB137_28:                             ;   in Loop: Header=BB137_10 Depth=1
	s_branch .LBB137_24
.LBB137_29:                             ;   in Loop: Header=BB137_10 Depth=1
.LBB137_30:                             ;   in Loop: Header=BB137_10 Depth=1
	s_wait_xcnt 0x0
	ds_load_b64 v[16:17], v28 offset:64
	s_wait_dscnt 0x0
	global_store_b64 v[14:15], v[16:17], off offset:64
	s_branch .LBB137_8
.LBB137_31:
	s_endpgm
	.section	.rodata,"a",@progbits
	.p2align	6, 0x0
	.amdhsa_kernel _ZN9rocsparseL44csr2gebsr_wavefront_per_row_multipass_kernelILi256ELi4ELi16ELi32E21rocsparse_complex_numIfEEEv20rocsparse_direction_iiiiii21rocsparse_index_base_PKT3_PKiS9_S4_PS5_PiSB_
		.amdhsa_group_segment_fixed_size 4104
		.amdhsa_private_segment_fixed_size 0
		.amdhsa_kernarg_size 88
		.amdhsa_user_sgpr_count 2
		.amdhsa_user_sgpr_dispatch_ptr 0
		.amdhsa_user_sgpr_queue_ptr 0
		.amdhsa_user_sgpr_kernarg_segment_ptr 1
		.amdhsa_user_sgpr_dispatch_id 0
		.amdhsa_user_sgpr_kernarg_preload_length 0
		.amdhsa_user_sgpr_kernarg_preload_offset 0
		.amdhsa_user_sgpr_private_segment_size 0
		.amdhsa_wavefront_size32 1
		.amdhsa_uses_dynamic_stack 0
		.amdhsa_enable_private_segment 0
		.amdhsa_system_sgpr_workgroup_id_x 1
		.amdhsa_system_sgpr_workgroup_id_y 0
		.amdhsa_system_sgpr_workgroup_id_z 0
		.amdhsa_system_sgpr_workgroup_info 0
		.amdhsa_system_vgpr_workitem_id 0
		.amdhsa_next_free_vgpr 40
		.amdhsa_next_free_sgpr 24
		.amdhsa_named_barrier_count 0
		.amdhsa_reserve_vcc 1
		.amdhsa_float_round_mode_32 0
		.amdhsa_float_round_mode_16_64 0
		.amdhsa_float_denorm_mode_32 3
		.amdhsa_float_denorm_mode_16_64 3
		.amdhsa_fp16_overflow 0
		.amdhsa_memory_ordered 1
		.amdhsa_forward_progress 1
		.amdhsa_inst_pref_size 13
		.amdhsa_round_robin_scheduling 0
		.amdhsa_exception_fp_ieee_invalid_op 0
		.amdhsa_exception_fp_denorm_src 0
		.amdhsa_exception_fp_ieee_div_zero 0
		.amdhsa_exception_fp_ieee_overflow 0
		.amdhsa_exception_fp_ieee_underflow 0
		.amdhsa_exception_fp_ieee_inexact 0
		.amdhsa_exception_int_div_zero 0
	.end_amdhsa_kernel
	.section	.text._ZN9rocsparseL44csr2gebsr_wavefront_per_row_multipass_kernelILi256ELi4ELi16ELi32E21rocsparse_complex_numIfEEEv20rocsparse_direction_iiiiii21rocsparse_index_base_PKT3_PKiS9_S4_PS5_PiSB_,"axG",@progbits,_ZN9rocsparseL44csr2gebsr_wavefront_per_row_multipass_kernelILi256ELi4ELi16ELi32E21rocsparse_complex_numIfEEEv20rocsparse_direction_iiiiii21rocsparse_index_base_PKT3_PKiS9_S4_PS5_PiSB_,comdat
.Lfunc_end137:
	.size	_ZN9rocsparseL44csr2gebsr_wavefront_per_row_multipass_kernelILi256ELi4ELi16ELi32E21rocsparse_complex_numIfEEEv20rocsparse_direction_iiiiii21rocsparse_index_base_PKT3_PKiS9_S4_PS5_PiSB_, .Lfunc_end137-_ZN9rocsparseL44csr2gebsr_wavefront_per_row_multipass_kernelILi256ELi4ELi16ELi32E21rocsparse_complex_numIfEEEv20rocsparse_direction_iiiiii21rocsparse_index_base_PKT3_PKiS9_S4_PS5_PiSB_
                                        ; -- End function
	.set _ZN9rocsparseL44csr2gebsr_wavefront_per_row_multipass_kernelILi256ELi4ELi16ELi32E21rocsparse_complex_numIfEEEv20rocsparse_direction_iiiiii21rocsparse_index_base_PKT3_PKiS9_S4_PS5_PiSB_.num_vgpr, 40
	.set _ZN9rocsparseL44csr2gebsr_wavefront_per_row_multipass_kernelILi256ELi4ELi16ELi32E21rocsparse_complex_numIfEEEv20rocsparse_direction_iiiiii21rocsparse_index_base_PKT3_PKiS9_S4_PS5_PiSB_.num_agpr, 0
	.set _ZN9rocsparseL44csr2gebsr_wavefront_per_row_multipass_kernelILi256ELi4ELi16ELi32E21rocsparse_complex_numIfEEEv20rocsparse_direction_iiiiii21rocsparse_index_base_PKT3_PKiS9_S4_PS5_PiSB_.numbered_sgpr, 24
	.set _ZN9rocsparseL44csr2gebsr_wavefront_per_row_multipass_kernelILi256ELi4ELi16ELi32E21rocsparse_complex_numIfEEEv20rocsparse_direction_iiiiii21rocsparse_index_base_PKT3_PKiS9_S4_PS5_PiSB_.num_named_barrier, 0
	.set _ZN9rocsparseL44csr2gebsr_wavefront_per_row_multipass_kernelILi256ELi4ELi16ELi32E21rocsparse_complex_numIfEEEv20rocsparse_direction_iiiiii21rocsparse_index_base_PKT3_PKiS9_S4_PS5_PiSB_.private_seg_size, 0
	.set _ZN9rocsparseL44csr2gebsr_wavefront_per_row_multipass_kernelILi256ELi4ELi16ELi32E21rocsparse_complex_numIfEEEv20rocsparse_direction_iiiiii21rocsparse_index_base_PKT3_PKiS9_S4_PS5_PiSB_.uses_vcc, 1
	.set _ZN9rocsparseL44csr2gebsr_wavefront_per_row_multipass_kernelILi256ELi4ELi16ELi32E21rocsparse_complex_numIfEEEv20rocsparse_direction_iiiiii21rocsparse_index_base_PKT3_PKiS9_S4_PS5_PiSB_.uses_flat_scratch, 0
	.set _ZN9rocsparseL44csr2gebsr_wavefront_per_row_multipass_kernelILi256ELi4ELi16ELi32E21rocsparse_complex_numIfEEEv20rocsparse_direction_iiiiii21rocsparse_index_base_PKT3_PKiS9_S4_PS5_PiSB_.has_dyn_sized_stack, 0
	.set _ZN9rocsparseL44csr2gebsr_wavefront_per_row_multipass_kernelILi256ELi4ELi16ELi32E21rocsparse_complex_numIfEEEv20rocsparse_direction_iiiiii21rocsparse_index_base_PKT3_PKiS9_S4_PS5_PiSB_.has_recursion, 0
	.set _ZN9rocsparseL44csr2gebsr_wavefront_per_row_multipass_kernelILi256ELi4ELi16ELi32E21rocsparse_complex_numIfEEEv20rocsparse_direction_iiiiii21rocsparse_index_base_PKT3_PKiS9_S4_PS5_PiSB_.has_indirect_call, 0
	.section	.AMDGPU.csdata,"",@progbits
; Kernel info:
; codeLenInByte = 1644
; TotalNumSgprs: 26
; NumVgprs: 40
; ScratchSize: 0
; MemoryBound: 0
; FloatMode: 240
; IeeeMode: 1
; LDSByteSize: 4104 bytes/workgroup (compile time only)
; SGPRBlocks: 0
; VGPRBlocks: 2
; NumSGPRsForWavesPerEU: 26
; NumVGPRsForWavesPerEU: 40
; NamedBarCnt: 0
; Occupancy: 16
; WaveLimiterHint : 0
; COMPUTE_PGM_RSRC2:SCRATCH_EN: 0
; COMPUTE_PGM_RSRC2:USER_SGPR: 2
; COMPUTE_PGM_RSRC2:TRAP_HANDLER: 0
; COMPUTE_PGM_RSRC2:TGID_X_EN: 1
; COMPUTE_PGM_RSRC2:TGID_Y_EN: 0
; COMPUTE_PGM_RSRC2:TGID_Z_EN: 0
; COMPUTE_PGM_RSRC2:TIDIG_COMP_CNT: 0
	.section	.text._ZN9rocsparseL44csr2gebsr_wavefront_per_row_multipass_kernelILi256ELi4ELi32ELi64E21rocsparse_complex_numIfEEEv20rocsparse_direction_iiiiii21rocsparse_index_base_PKT3_PKiS9_S4_PS5_PiSB_,"axG",@progbits,_ZN9rocsparseL44csr2gebsr_wavefront_per_row_multipass_kernelILi256ELi4ELi32ELi64E21rocsparse_complex_numIfEEEv20rocsparse_direction_iiiiii21rocsparse_index_base_PKT3_PKiS9_S4_PS5_PiSB_,comdat
	.globl	_ZN9rocsparseL44csr2gebsr_wavefront_per_row_multipass_kernelILi256ELi4ELi32ELi64E21rocsparse_complex_numIfEEEv20rocsparse_direction_iiiiii21rocsparse_index_base_PKT3_PKiS9_S4_PS5_PiSB_ ; -- Begin function _ZN9rocsparseL44csr2gebsr_wavefront_per_row_multipass_kernelILi256ELi4ELi32ELi64E21rocsparse_complex_numIfEEEv20rocsparse_direction_iiiiii21rocsparse_index_base_PKT3_PKiS9_S4_PS5_PiSB_
	.p2align	8
	.type	_ZN9rocsparseL44csr2gebsr_wavefront_per_row_multipass_kernelILi256ELi4ELi32ELi64E21rocsparse_complex_numIfEEEv20rocsparse_direction_iiiiii21rocsparse_index_base_PKT3_PKiS9_S4_PS5_PiSB_,@function
_ZN9rocsparseL44csr2gebsr_wavefront_per_row_multipass_kernelILi256ELi4ELi32ELi64E21rocsparse_complex_numIfEEEv20rocsparse_direction_iiiiii21rocsparse_index_base_PKT3_PKiS9_S4_PS5_PiSB_: ; @_ZN9rocsparseL44csr2gebsr_wavefront_per_row_multipass_kernelILi256ELi4ELi32ELi64E21rocsparse_complex_numIfEEEv20rocsparse_direction_iiiiii21rocsparse_index_base_PKT3_PKiS9_S4_PS5_PiSB_
; %bb.0:
	s_clause 0x1
	s_load_b128 s[4:7], s[0:1], 0xc
	s_load_b64 s[12:13], s[0:1], 0x0
	s_bfe_u32 s2, ttmp6, 0x4000c
	s_and_b32 s3, ttmp6, 15
	s_add_co_i32 s2, s2, 1
	s_getreg_b32 s8, hwreg(HW_REG_IB_STS2, 6, 4)
	s_mul_i32 s2, ttmp9, s2
	v_dual_lshrrev_b32 v20, 6, v0 :: v_dual_mov_b32 v2, 0
	s_add_co_i32 s3, s3, s2
	s_cmp_eq_u32 s8, 0
	v_bfe_u32 v1, v0, 4, 2
	s_cselect_b32 s2, ttmp9, s3
	s_clause 0x1
	s_load_b32 s18, s[0:1], 0x1c
	s_load_b64 s[8:9], s[0:1], 0x28
	v_lshl_or_b32 v3, s2, 2, v20
	v_mov_b32_e32 v18, 0
	s_wait_kmcnt 0x0
	s_delay_alu instid0(VALU_DEP_2) | instskip(SKIP_1) | instid1(VALU_DEP_2)
	v_mad_u32 v4, v3, s6, v1
	v_cmp_gt_i32_e32 vcc_lo, s6, v1
	v_cmp_gt_i32_e64 s2, s13, v4
	s_and_b32 s2, vcc_lo, s2
	s_delay_alu instid0(SALU_CYCLE_1)
	s_and_saveexec_b32 s3, s2
	s_cbranch_execz .LBB138_2
; %bb.1:
	global_load_b32 v5, v4, s[8:9] scale_offset
	s_wait_loadcnt 0x0
	v_subrev_nc_u32_e32 v18, s18, v5
.LBB138_2:
	s_or_b32 exec_lo, exec_lo, s3
	v_mov_b32_e32 v21, 0
	s_and_saveexec_b32 s3, s2
	s_cbranch_execz .LBB138_4
; %bb.3:
	global_load_b32 v4, v4, s[8:9] offset:4 scale_offset
	s_wait_loadcnt 0x0
	v_subrev_nc_u32_e32 v21, s18, v4
.LBB138_4:
	s_or_b32 exec_lo, exec_lo, s3
	s_load_b32 s19, s[0:1], 0x38
	s_mov_b32 s3, exec_lo
	v_cmpx_gt_i32_e64 s4, v3
	s_cbranch_execz .LBB138_6
; %bb.5:
	s_load_b64 s[8:9], s[0:1], 0x48
	s_wait_kmcnt 0x0
	global_load_b32 v2, v3, s[8:9] scale_offset
	s_wait_loadcnt 0x0
	v_subrev_nc_u32_e32 v2, s19, v2
.LBB138_6:
	s_or_b32 exec_lo, exec_lo, s3
	s_cmp_lt_i32 s5, 1
	s_cbranch_scc1 .LBB138_31
; %bb.7:
	v_mbcnt_lo_u32_b32 v10, -1, 0
	v_lshlrev_b32_e32 v3, 8, v1
	s_clause 0x3
	s_load_b64 s[2:3], s[0:1], 0x50
	s_load_b64 s[20:21], s[0:1], 0x40
	;; [unrolled: 1-line block ×4, first 2 shown]
	v_and_b32_e32 v22, 15, v0
	v_mul_lo_u32 v6, s7, v1
	v_xor_b32_e32 v4, 8, v10
	v_lshl_or_b32 v23, v20, 10, v3
	v_xor_b32_e32 v5, 1, v10
	v_xor_b32_e32 v3, 2, v10
	s_cmp_lg_u32 s12, 0
	s_wait_xcnt 0x0
	v_cmp_gt_i32_e64 s0, 32, v4
	v_xor_b32_e32 v0, 4, v10
	s_mov_b32 s13, 0
	s_cselect_b32 s4, -1, 0
	s_mov_b32 s12, s6
	v_cndmask_b32_e64 v4, v10, v4, s0
	v_cmp_gt_i32_e64 s0, 32, v0
	s_ashr_i32 s15, s7, 31
	s_mov_b32 s14, s7
	v_lshl_or_b32 v28, v10, 2, 60
	s_mul_u64 s[16:17], s[14:15], s[12:13]
	v_cndmask_b32_e64 v0, v10, v0, s0
	v_cmp_gt_i32_e64 s0, 32, v3
	v_lshlrev_b32_e32 v8, 3, v22
	s_abs_i32 s14, s7
	v_mov_b64_e32 v[12:13], 0
	v_bfrev_b32_e32 v32, 0.5
	v_cndmask_b32_e64 v3, v10, v3, s0
	v_cmp_gt_i32_e64 s0, 32, v5
	v_dual_lshlrev_b32 v24, 2, v4 :: v_dual_bitop2_b32 v33, -16, v22 bitop3:0x54
	s_delay_alu instid0(VALU_DEP_3) | instskip(NEXT) | instid1(VALU_DEP_3)
	v_dual_mov_b32 v34, 1 :: v_dual_lshlrev_b32 v26, 2, v3
	v_dual_cndmask_b32 v5, v10, v5, s0 :: v_dual_lshlrev_b32 v25, 2, v0
	v_dual_mov_b32 v1, 0 :: v_dual_lshlrev_b32 v0, 3, v1
	s_delay_alu instid0(VALU_DEP_2)
	v_dual_lshlrev_b32 v27, 2, v5 :: v_dual_bitop2_b32 v29, v23, v8 bitop3:0x54
	v_xor_b32_e32 v3, 16, v10
	s_cvt_f32_u32 s0, s14
	s_wait_kmcnt 0x0
	v_add_nc_u64_e32 v[4:5], s[20:21], v[0:1]
	v_or_b32_e32 v0, 32, v10
	v_dual_ashrrev_i32 v7, 31, v6 :: v_dual_mov_b32 v9, v1
	v_rcp_iflag_f32_e32 v11, s0
	v_mov_b32_e32 v36, 0
	s_delay_alu instid0(VALU_DEP_3) | instskip(NEXT) | instid1(VALU_DEP_3)
	v_cmp_gt_i32_e64 s0, 32, v0
	v_lshl_add_u64 v[6:7], v[6:7], 3, s[20:21]
	s_delay_alu instid0(VALU_DEP_2) | instskip(SKIP_1) | instid1(VALU_DEP_3)
	v_cndmask_b32_e64 v0, v10, v0, s0
	v_cmp_gt_i32_e64 s0, 32, v3
	v_add_nc_u64_e32 v[6:7], v[6:7], v[8:9]
	v_mul_lo_u32 v8, v22, s6
	s_delay_alu instid0(VALU_DEP_3) | instskip(SKIP_2) | instid1(VALU_DEP_3)
	v_cndmask_b32_e64 v3, v10, v3, s0
	v_readfirstlane_b32 s0, v11
	v_dual_lshlrev_b32 v30, 2, v0 :: v_dual_bitop2_b32 v0, 16, v22 bitop3:0x54
	v_dual_mov_b32 v11, v1 :: v_dual_lshlrev_b32 v31, 2, v3
	s_mul_f32 s12, s0, 0x4f7ffffe
	v_cmp_gt_u32_e64 s0, s7, v22
	v_lshl_add_u32 v10, s6, 4, v8
	s_sub_co_i32 s6, 0, s14
	s_cvt_u32_f32 s12, s12
	v_cmp_gt_u32_e64 s1, s7, v0
	s_delay_alu instid0(SALU_CYCLE_2)
	s_mul_i32 s20, s6, s12
	s_and_b32 s6, s0, vcc_lo
	s_mul_hi_u32 s0, s12, s20
	s_and_b32 s1, vcc_lo, s1
	s_add_co_i32 s12, s12, s0
	s_mov_b32 s20, s13
	s_branch .LBB138_10
.LBB138_8:                              ;   in Loop: Header=BB138_10 Depth=1
	s_wait_xcnt 0x0
	s_or_b32 exec_lo, exec_lo, s21
	v_mov_b32_e32 v0, 1
.LBB138_9:                              ;   in Loop: Header=BB138_10 Depth=1
	s_or_b32 exec_lo, exec_lo, s0
	ds_bpermute_b32 v3, v30, v35
	s_wait_storecnt_dscnt 0x0
	v_dual_add_nc_u32 v2, v0, v2 :: v_dual_min_i32 v3, v3, v35
	ds_bpermute_b32 v14, v31, v3
	s_wait_dscnt 0x0
	v_min_i32_e32 v3, v14, v3
	ds_bpermute_b32 v14, v24, v3
	s_wait_dscnt 0x0
	v_min_i32_e32 v3, v14, v3
	;; [unrolled: 3-line block ×5, first 2 shown]
	ds_bpermute_b32 v36, v32, v3
	s_wait_dscnt 0x0
	v_cmp_le_i32_e32 vcc_lo, s5, v36
	s_or_b32 s20, vcc_lo, s20
	s_delay_alu instid0(SALU_CYCLE_1)
	s_and_not1_b32 exec_lo, exec_lo, s20
	s_cbranch_execz .LBB138_31
.LBB138_10:                             ; =>This Loop Header: Depth=1
                                        ;     Child Loop BB138_11 Depth 2
                                        ;     Child Loop BB138_15 Depth 2
	v_dual_mov_b32 v0, v29 :: v_dual_mov_b32 v3, v33
	s_mov_b32 s0, 0
	ds_store_b8 v20, v1 offset:4096
.LBB138_11:                             ;   Parent Loop BB138_10 Depth=1
                                        ; =>  This Inner Loop Header: Depth=2
	v_add_co_u32 v3, s21, v3, 16
	s_xor_b32 s21, s21, -1
	ds_store_b64 v0, v[12:13]
	v_add_nc_u32_e32 v0, 0x80, v0
	s_and_b32 s21, exec_lo, s21
	s_delay_alu instid0(SALU_CYCLE_1) | instskip(NEXT) | instid1(SALU_CYCLE_1)
	s_or_b32 s0, s21, s0
	s_and_not1_b32 exec_lo, exec_lo, s0
	s_cbranch_execnz .LBB138_11
; %bb.12:                               ;   in Loop: Header=BB138_10 Depth=1
	s_or_b32 exec_lo, exec_lo, s0
	v_dual_mov_b32 v35, s5 :: v_dual_add_nc_u32 v14, v18, v22
	v_mov_b32_e32 v15, v21
	s_mov_b32 s21, exec_lo
	s_wait_dscnt 0x0
	s_delay_alu instid0(VALU_DEP_2)
	v_cmpx_lt_i32_e64 v14, v21
	s_cbranch_execz .LBB138_20
; %bb.13:                               ;   in Loop: Header=BB138_10 Depth=1
	v_mul_lo_u32 v3, v36, s7
	v_dual_ashrrev_i32 v15, 31, v14 :: v_dual_mov_b32 v35, s5
	s_mov_b32 s22, 0
	s_delay_alu instid0(VALU_DEP_1)
	v_lshl_add_u64 v[16:17], v[14:15], 2, s[10:11]
	v_lshl_add_u64 v[18:19], v[14:15], 3, s[8:9]
	v_mov_b32_e32 v15, v21
	s_branch .LBB138_15
.LBB138_14:                             ;   in Loop: Header=BB138_15 Depth=2
	s_wait_xcnt 0x0
	s_or_b32 exec_lo, exec_lo, s0
	v_add_nc_u32_e32 v14, 16, v14
	s_xor_b32 s23, vcc_lo, -1
	v_add_nc_u64_e32 v[16:17], 64, v[16:17]
	v_add_nc_u64_e32 v[18:19], 0x80, v[18:19]
	s_delay_alu instid0(VALU_DEP_3) | instskip(SKIP_1) | instid1(SALU_CYCLE_1)
	v_cmp_ge_i32_e64 s0, v14, v21
	s_or_b32 s0, s23, s0
	s_and_b32 s0, exec_lo, s0
	s_delay_alu instid0(SALU_CYCLE_1) | instskip(NEXT) | instid1(SALU_CYCLE_1)
	s_or_b32 s22, s0, s22
	s_and_not1_b32 exec_lo, exec_lo, s22
	s_cbranch_execz .LBB138_19
.LBB138_15:                             ;   Parent Loop BB138_10 Depth=1
                                        ; =>  This Inner Loop Header: Depth=2
	global_load_b32 v0, v[16:17], off
	s_wait_loadcnt 0x0
	v_subrev_nc_u32_e32 v37, s18, v0
	s_delay_alu instid0(VALU_DEP_1) | instskip(NEXT) | instid1(VALU_DEP_1)
	v_sub_nc_u32_e32 v0, 0, v37
	v_max_i32_e32 v0, v37, v0
	s_delay_alu instid0(VALU_DEP_1) | instskip(NEXT) | instid1(VALU_DEP_1)
	v_mul_u64_e32 v[38:39], s[12:13], v[0:1]
	v_mul_lo_u32 v38, v39, s14
	s_delay_alu instid0(VALU_DEP_1) | instskip(NEXT) | instid1(VALU_DEP_1)
	v_dual_sub_nc_u32 v0, v0, v38 :: v_dual_add_nc_u32 v38, 1, v39
	v_cmp_le_u32_e32 vcc_lo, s14, v0
	s_delay_alu instid0(VALU_DEP_2) | instskip(SKIP_1) | instid1(VALU_DEP_1)
	v_dual_cndmask_b32 v38, v39, v38 :: v_dual_ashrrev_i32 v39, 31, v37
	v_subrev_nc_u32_e32 v40, s14, v0
	v_dual_cndmask_b32 v0, v0, v40, vcc_lo :: v_dual_add_nc_u32 v40, 1, v38
	s_delay_alu instid0(VALU_DEP_1) | instskip(NEXT) | instid1(VALU_DEP_2)
	v_cmp_le_u32_e32 vcc_lo, s14, v0
	v_dual_cndmask_b32 v0, v38, v40, vcc_lo :: v_dual_bitop2_b32 v39, s15, v39 bitop3:0x14
	s_delay_alu instid0(VALU_DEP_1) | instskip(NEXT) | instid1(VALU_DEP_1)
	v_xor_b32_e32 v0, v0, v39
	v_dual_sub_nc_u32 v38, v0, v39 :: v_dual_mov_b32 v0, v15
	s_delay_alu instid0(VALU_DEP_1) | instskip(SKIP_3) | instid1(SALU_CYCLE_1)
	v_cmp_ne_u32_e64 s0, v38, v36
	v_cmp_eq_u32_e32 vcc_lo, v38, v36
	s_wait_xcnt 0x0
	s_and_saveexec_b32 s23, s0
	s_xor_b32 s0, exec_lo, s23
; %bb.16:                               ;   in Loop: Header=BB138_15 Depth=2
	v_min_i32_e32 v35, v38, v35
                                        ; implicit-def: $vgpr37
                                        ; implicit-def: $vgpr0
; %bb.17:                               ;   in Loop: Header=BB138_15 Depth=2
	s_or_saveexec_b32 s0, s0
	v_mov_b32_e32 v15, v14
	s_xor_b32 exec_lo, exec_lo, s0
	s_cbranch_execz .LBB138_14
; %bb.18:                               ;   in Loop: Header=BB138_15 Depth=2
	global_load_b64 v[38:39], v[18:19], off
	v_sub_nc_u32_e32 v15, v37, v3
	s_delay_alu instid0(VALU_DEP_1)
	v_lshl_add_u32 v37, v15, 3, v23
	v_mov_b32_e32 v15, v0
	ds_store_b8 v20, v34 offset:4096
	s_wait_loadcnt 0x0
	ds_store_b64 v37, v[38:39]
	s_branch .LBB138_14
.LBB138_19:                             ;   in Loop: Header=BB138_10 Depth=1
	s_or_b32 exec_lo, exec_lo, s22
.LBB138_20:                             ;   in Loop: Header=BB138_10 Depth=1
	s_delay_alu instid0(SALU_CYCLE_1)
	s_or_b32 exec_lo, exec_lo, s21
	ds_bpermute_b32 v0, v24, v15
	s_wait_dscnt 0x0
	ds_load_u8 v14, v20 offset:4096
	v_min_i32_e32 v0, v0, v15
	ds_bpermute_b32 v3, v25, v0
	s_wait_dscnt 0x0
	v_min_i32_e32 v0, v3, v0
	ds_bpermute_b32 v3, v26, v0
	s_wait_dscnt 0x0
	;; [unrolled: 3-line block ×3, first 2 shown]
	v_min_i32_e32 v0, v3, v0
	ds_bpermute_b32 v18, v28, v0
	v_and_b32_e32 v0, 1, v14
	s_delay_alu instid0(VALU_DEP_1)
	v_cmp_eq_u32_e32 vcc_lo, 1, v0
	v_mov_b32_e32 v0, 0
	s_and_saveexec_b32 s0, vcc_lo
	s_cbranch_execz .LBB138_9
; %bb.21:                               ;   in Loop: Header=BB138_10 Depth=1
	v_dual_ashrrev_i32 v3, 31, v2 :: v_dual_add_nc_u32 v0, s19, v36
	s_delay_alu instid0(VALU_DEP_1) | instskip(SKIP_2) | instid1(VALU_DEP_1)
	v_mul_u64_e32 v[14:15], s[16:17], v[2:3]
	global_store_b32 v2, v0, s[2:3] scale_offset
	v_lshlrev_b64_e32 v[14:15], 3, v[14:15]
	v_add_nc_u64_e32 v[16:17], v[4:5], v[14:15]
	v_add_nc_u64_e32 v[14:15], v[6:7], v[14:15]
	s_wait_xcnt 0x0
	s_and_saveexec_b32 s21, s6
	s_cbranch_execz .LBB138_25
; %bb.22:                               ;   in Loop: Header=BB138_10 Depth=1
	s_and_b32 vcc_lo, exec_lo, s4
	s_cbranch_vccz .LBB138_28
; %bb.23:                               ;   in Loop: Header=BB138_10 Depth=1
	ds_load_b64 v[36:37], v29
	v_lshl_add_u64 v[38:39], v[8:9], 3, v[16:17]
	s_wait_dscnt 0x0
	global_store_b64 v[38:39], v[36:37], off
	s_cbranch_execnz .LBB138_25
.LBB138_24:                             ;   in Loop: Header=BB138_10 Depth=1
	s_wait_xcnt 0x0
	ds_load_b64 v[36:37], v29
	s_wait_dscnt 0x0
	global_store_b64 v[14:15], v[36:37], off
.LBB138_25:                             ;   in Loop: Header=BB138_10 Depth=1
	s_wait_xcnt 0x0
	s_or_b32 exec_lo, exec_lo, s21
	s_and_saveexec_b32 s21, s1
	s_cbranch_execz .LBB138_8
; %bb.26:                               ;   in Loop: Header=BB138_10 Depth=1
	s_and_not1_b32 vcc_lo, exec_lo, s4
	s_cbranch_vccnz .LBB138_29
; %bb.27:                               ;   in Loop: Header=BB138_10 Depth=1
	ds_load_b64 v[36:37], v29 offset:128
	v_lshl_add_u64 v[16:17], v[10:11], 3, v[16:17]
	s_wait_dscnt 0x0
	global_store_b64 v[16:17], v[36:37], off
	s_cbranch_execnz .LBB138_8
	s_branch .LBB138_30
.LBB138_28:                             ;   in Loop: Header=BB138_10 Depth=1
	s_branch .LBB138_24
.LBB138_29:                             ;   in Loop: Header=BB138_10 Depth=1
.LBB138_30:                             ;   in Loop: Header=BB138_10 Depth=1
	s_wait_xcnt 0x0
	ds_load_b64 v[16:17], v29 offset:128
	s_wait_dscnt 0x0
	global_store_b64 v[14:15], v[16:17], off offset:128
	s_branch .LBB138_8
.LBB138_31:
	s_endpgm
	.section	.rodata,"a",@progbits
	.p2align	6, 0x0
	.amdhsa_kernel _ZN9rocsparseL44csr2gebsr_wavefront_per_row_multipass_kernelILi256ELi4ELi32ELi64E21rocsparse_complex_numIfEEEv20rocsparse_direction_iiiiii21rocsparse_index_base_PKT3_PKiS9_S4_PS5_PiSB_
		.amdhsa_group_segment_fixed_size 4100
		.amdhsa_private_segment_fixed_size 0
		.amdhsa_kernarg_size 88
		.amdhsa_user_sgpr_count 2
		.amdhsa_user_sgpr_dispatch_ptr 0
		.amdhsa_user_sgpr_queue_ptr 0
		.amdhsa_user_sgpr_kernarg_segment_ptr 1
		.amdhsa_user_sgpr_dispatch_id 0
		.amdhsa_user_sgpr_kernarg_preload_length 0
		.amdhsa_user_sgpr_kernarg_preload_offset 0
		.amdhsa_user_sgpr_private_segment_size 0
		.amdhsa_wavefront_size32 1
		.amdhsa_uses_dynamic_stack 0
		.amdhsa_enable_private_segment 0
		.amdhsa_system_sgpr_workgroup_id_x 1
		.amdhsa_system_sgpr_workgroup_id_y 0
		.amdhsa_system_sgpr_workgroup_id_z 0
		.amdhsa_system_sgpr_workgroup_info 0
		.amdhsa_system_vgpr_workitem_id 0
		.amdhsa_next_free_vgpr 41
		.amdhsa_next_free_sgpr 24
		.amdhsa_named_barrier_count 0
		.amdhsa_reserve_vcc 1
		.amdhsa_float_round_mode_32 0
		.amdhsa_float_round_mode_16_64 0
		.amdhsa_float_denorm_mode_32 3
		.amdhsa_float_denorm_mode_16_64 3
		.amdhsa_fp16_overflow 0
		.amdhsa_memory_ordered 1
		.amdhsa_forward_progress 1
		.amdhsa_inst_pref_size 14
		.amdhsa_round_robin_scheduling 0
		.amdhsa_exception_fp_ieee_invalid_op 0
		.amdhsa_exception_fp_denorm_src 0
		.amdhsa_exception_fp_ieee_div_zero 0
		.amdhsa_exception_fp_ieee_overflow 0
		.amdhsa_exception_fp_ieee_underflow 0
		.amdhsa_exception_fp_ieee_inexact 0
		.amdhsa_exception_int_div_zero 0
	.end_amdhsa_kernel
	.section	.text._ZN9rocsparseL44csr2gebsr_wavefront_per_row_multipass_kernelILi256ELi4ELi32ELi64E21rocsparse_complex_numIfEEEv20rocsparse_direction_iiiiii21rocsparse_index_base_PKT3_PKiS9_S4_PS5_PiSB_,"axG",@progbits,_ZN9rocsparseL44csr2gebsr_wavefront_per_row_multipass_kernelILi256ELi4ELi32ELi64E21rocsparse_complex_numIfEEEv20rocsparse_direction_iiiiii21rocsparse_index_base_PKT3_PKiS9_S4_PS5_PiSB_,comdat
.Lfunc_end138:
	.size	_ZN9rocsparseL44csr2gebsr_wavefront_per_row_multipass_kernelILi256ELi4ELi32ELi64E21rocsparse_complex_numIfEEEv20rocsparse_direction_iiiiii21rocsparse_index_base_PKT3_PKiS9_S4_PS5_PiSB_, .Lfunc_end138-_ZN9rocsparseL44csr2gebsr_wavefront_per_row_multipass_kernelILi256ELi4ELi32ELi64E21rocsparse_complex_numIfEEEv20rocsparse_direction_iiiiii21rocsparse_index_base_PKT3_PKiS9_S4_PS5_PiSB_
                                        ; -- End function
	.set _ZN9rocsparseL44csr2gebsr_wavefront_per_row_multipass_kernelILi256ELi4ELi32ELi64E21rocsparse_complex_numIfEEEv20rocsparse_direction_iiiiii21rocsparse_index_base_PKT3_PKiS9_S4_PS5_PiSB_.num_vgpr, 41
	.set _ZN9rocsparseL44csr2gebsr_wavefront_per_row_multipass_kernelILi256ELi4ELi32ELi64E21rocsparse_complex_numIfEEEv20rocsparse_direction_iiiiii21rocsparse_index_base_PKT3_PKiS9_S4_PS5_PiSB_.num_agpr, 0
	.set _ZN9rocsparseL44csr2gebsr_wavefront_per_row_multipass_kernelILi256ELi4ELi32ELi64E21rocsparse_complex_numIfEEEv20rocsparse_direction_iiiiii21rocsparse_index_base_PKT3_PKiS9_S4_PS5_PiSB_.numbered_sgpr, 24
	.set _ZN9rocsparseL44csr2gebsr_wavefront_per_row_multipass_kernelILi256ELi4ELi32ELi64E21rocsparse_complex_numIfEEEv20rocsparse_direction_iiiiii21rocsparse_index_base_PKT3_PKiS9_S4_PS5_PiSB_.num_named_barrier, 0
	.set _ZN9rocsparseL44csr2gebsr_wavefront_per_row_multipass_kernelILi256ELi4ELi32ELi64E21rocsparse_complex_numIfEEEv20rocsparse_direction_iiiiii21rocsparse_index_base_PKT3_PKiS9_S4_PS5_PiSB_.private_seg_size, 0
	.set _ZN9rocsparseL44csr2gebsr_wavefront_per_row_multipass_kernelILi256ELi4ELi32ELi64E21rocsparse_complex_numIfEEEv20rocsparse_direction_iiiiii21rocsparse_index_base_PKT3_PKiS9_S4_PS5_PiSB_.uses_vcc, 1
	.set _ZN9rocsparseL44csr2gebsr_wavefront_per_row_multipass_kernelILi256ELi4ELi32ELi64E21rocsparse_complex_numIfEEEv20rocsparse_direction_iiiiii21rocsparse_index_base_PKT3_PKiS9_S4_PS5_PiSB_.uses_flat_scratch, 0
	.set _ZN9rocsparseL44csr2gebsr_wavefront_per_row_multipass_kernelILi256ELi4ELi32ELi64E21rocsparse_complex_numIfEEEv20rocsparse_direction_iiiiii21rocsparse_index_base_PKT3_PKiS9_S4_PS5_PiSB_.has_dyn_sized_stack, 0
	.set _ZN9rocsparseL44csr2gebsr_wavefront_per_row_multipass_kernelILi256ELi4ELi32ELi64E21rocsparse_complex_numIfEEEv20rocsparse_direction_iiiiii21rocsparse_index_base_PKT3_PKiS9_S4_PS5_PiSB_.has_recursion, 0
	.set _ZN9rocsparseL44csr2gebsr_wavefront_per_row_multipass_kernelILi256ELi4ELi32ELi64E21rocsparse_complex_numIfEEEv20rocsparse_direction_iiiiii21rocsparse_index_base_PKT3_PKiS9_S4_PS5_PiSB_.has_indirect_call, 0
	.section	.AMDGPU.csdata,"",@progbits
; Kernel info:
; codeLenInByte = 1708
; TotalNumSgprs: 26
; NumVgprs: 41
; ScratchSize: 0
; MemoryBound: 0
; FloatMode: 240
; IeeeMode: 1
; LDSByteSize: 4100 bytes/workgroup (compile time only)
; SGPRBlocks: 0
; VGPRBlocks: 2
; NumSGPRsForWavesPerEU: 26
; NumVGPRsForWavesPerEU: 41
; NamedBarCnt: 0
; Occupancy: 16
; WaveLimiterHint : 0
; COMPUTE_PGM_RSRC2:SCRATCH_EN: 0
; COMPUTE_PGM_RSRC2:USER_SGPR: 2
; COMPUTE_PGM_RSRC2:TRAP_HANDLER: 0
; COMPUTE_PGM_RSRC2:TGID_X_EN: 1
; COMPUTE_PGM_RSRC2:TGID_Y_EN: 0
; COMPUTE_PGM_RSRC2:TGID_Z_EN: 0
; COMPUTE_PGM_RSRC2:TIDIG_COMP_CNT: 0
	.section	.text._ZN9rocsparseL44csr2gebsr_wavefront_per_row_multipass_kernelILi256ELi4ELi32ELi32E21rocsparse_complex_numIfEEEv20rocsparse_direction_iiiiii21rocsparse_index_base_PKT3_PKiS9_S4_PS5_PiSB_,"axG",@progbits,_ZN9rocsparseL44csr2gebsr_wavefront_per_row_multipass_kernelILi256ELi4ELi32ELi32E21rocsparse_complex_numIfEEEv20rocsparse_direction_iiiiii21rocsparse_index_base_PKT3_PKiS9_S4_PS5_PiSB_,comdat
	.globl	_ZN9rocsparseL44csr2gebsr_wavefront_per_row_multipass_kernelILi256ELi4ELi32ELi32E21rocsparse_complex_numIfEEEv20rocsparse_direction_iiiiii21rocsparse_index_base_PKT3_PKiS9_S4_PS5_PiSB_ ; -- Begin function _ZN9rocsparseL44csr2gebsr_wavefront_per_row_multipass_kernelILi256ELi4ELi32ELi32E21rocsparse_complex_numIfEEEv20rocsparse_direction_iiiiii21rocsparse_index_base_PKT3_PKiS9_S4_PS5_PiSB_
	.p2align	8
	.type	_ZN9rocsparseL44csr2gebsr_wavefront_per_row_multipass_kernelILi256ELi4ELi32ELi32E21rocsparse_complex_numIfEEEv20rocsparse_direction_iiiiii21rocsparse_index_base_PKT3_PKiS9_S4_PS5_PiSB_,@function
_ZN9rocsparseL44csr2gebsr_wavefront_per_row_multipass_kernelILi256ELi4ELi32ELi32E21rocsparse_complex_numIfEEEv20rocsparse_direction_iiiiii21rocsparse_index_base_PKT3_PKiS9_S4_PS5_PiSB_: ; @_ZN9rocsparseL44csr2gebsr_wavefront_per_row_multipass_kernelILi256ELi4ELi32ELi32E21rocsparse_complex_numIfEEEv20rocsparse_direction_iiiiii21rocsparse_index_base_PKT3_PKiS9_S4_PS5_PiSB_
; %bb.0:
	s_clause 0x1
	s_load_b128 s[4:7], s[0:1], 0xc
	s_load_b64 s[14:15], s[0:1], 0x0
	s_bfe_u32 s2, ttmp6, 0x4000c
	s_and_b32 s3, ttmp6, 15
	s_add_co_i32 s2, s2, 1
	s_getreg_b32 s8, hwreg(HW_REG_IB_STS2, 6, 4)
	s_mul_i32 s2, ttmp9, s2
	v_dual_lshrrev_b32 v24, 5, v0 :: v_dual_mov_b32 v2, 0
	s_add_co_i32 s3, s3, s2
	s_cmp_eq_u32 s8, 0
	v_bfe_u32 v3, v0, 3, 2
	s_cselect_b32 s2, ttmp9, s3
	s_clause 0x1
	s_load_b32 s20, s[0:1], 0x1c
	s_load_b64 s[8:9], s[0:1], 0x28
	v_lshl_or_b32 v1, s2, 3, v24
	v_mov_b32_e32 v22, 0
	s_wait_kmcnt 0x0
	s_delay_alu instid0(VALU_DEP_2) | instskip(SKIP_1) | instid1(VALU_DEP_2)
	v_mad_u32 v4, v1, s6, v3
	v_cmp_gt_i32_e32 vcc_lo, s6, v3
	v_cmp_gt_i32_e64 s2, s15, v4
	s_and_b32 s2, vcc_lo, s2
	s_delay_alu instid0(SALU_CYCLE_1)
	s_and_saveexec_b32 s3, s2
	s_cbranch_execz .LBB139_2
; %bb.1:
	global_load_b32 v5, v4, s[8:9] scale_offset
	s_wait_loadcnt 0x0
	v_subrev_nc_u32_e32 v22, s20, v5
.LBB139_2:
	s_or_b32 exec_lo, exec_lo, s3
	v_mov_b32_e32 v25, 0
	s_and_saveexec_b32 s3, s2
	s_cbranch_execz .LBB139_4
; %bb.3:
	global_load_b32 v4, v4, s[8:9] offset:4 scale_offset
	s_wait_loadcnt 0x0
	v_subrev_nc_u32_e32 v25, s20, v4
.LBB139_4:
	s_or_b32 exec_lo, exec_lo, s3
	s_load_b32 s21, s[0:1], 0x38
	s_mov_b32 s3, exec_lo
	v_cmpx_gt_i32_e64 s4, v1
	s_cbranch_execz .LBB139_6
; %bb.5:
	s_load_b64 s[8:9], s[0:1], 0x48
	s_wait_kmcnt 0x0
	global_load_b32 v1, v1, s[8:9] scale_offset
	s_wait_loadcnt 0x0
	v_subrev_nc_u32_e32 v2, s21, v1
.LBB139_6:
	s_or_b32 exec_lo, exec_lo, s3
	s_cmp_lt_i32 s5, 1
	s_cbranch_scc1 .LBB139_41
; %bb.7:
	v_dual_lshlrev_b32 v1, 8, v3 :: v_dual_bitop2_b32 v26, 7, v0 bitop3:0x40
	v_mbcnt_lo_u32_b32 v10, -1, 0
	s_clause 0x3
	s_load_b64 s[8:9], s[0:1], 0x50
	s_load_b64 s[2:3], s[0:1], 0x40
	;; [unrolled: 1-line block ×4, first 2 shown]
	s_cmp_lg_u32 s14, 0
	v_lshl_or_b32 v27, v24, 10, v1
	s_mov_b32 s15, 0
	v_xor_b32_e32 v1, 2, v10
	v_xor_b32_e32 v0, 4, v10
	s_cselect_b32 s4, -1, 0
	s_mov_b32 s14, s6
	s_ashr_i32 s17, s7, 31
	s_mov_b32 s16, s7
	s_wait_xcnt 0x0
	v_cmp_gt_i32_e64 s0, 32, v0
	s_mul_u64 s[18:19], s[16:17], s[14:15]
	s_abs_i32 s16, s7
	v_lshl_or_b32 v31, v10, 2, 28
	s_cvt_f32_u32 s1, s16
	v_dual_cndmask_b32 v0, v10, v0, s0 :: v_dual_bitop2_b32 v4, 1, v10 bitop3:0x14
	v_cmp_gt_i32_e64 s0, 32, v1
	v_mov_b64_e32 v[16:17], 0
	v_dual_mov_b32 v37, 1 :: v_dual_bitop2_b32 v36, -8, v26 bitop3:0x54
	s_delay_alu instid0(VALU_DEP_3) | instskip(SKIP_2) | instid1(VALU_DEP_3)
	v_dual_lshlrev_b32 v28, 2, v0 :: v_dual_cndmask_b32 v1, v10, v1, s0
	v_cmp_gt_i32_e64 s0, 32, v4
	v_dual_lshlrev_b32 v0, 3, v3 :: v_dual_bitop2_b32 v11, 16, v10 bitop3:0x14
	v_dual_mov_b32 v39, 0 :: v_dual_lshlrev_b32 v29, 2, v1
	s_delay_alu instid0(VALU_DEP_3) | instskip(SKIP_2) | instid1(VALU_DEP_3)
	v_cndmask_b32_e64 v5, v10, v4, s0
	v_mul_lo_u32 v4, s7, v3
	v_dual_mov_b32 v1, 0 :: v_dual_lshlrev_b32 v6, 3, v26
	v_dual_lshlrev_b32 v30, 2, v5 :: v_dual_bitop2_b32 v3, 8, v10 bitop3:0x14
	v_cmp_gt_i32_e64 s0, 32, v11
	s_delay_alu instid0(VALU_DEP_3)
	v_dual_mov_b32 v7, v1 :: v_dual_bitop2_b32 v32, v27, v6 bitop3:0x54
	s_mov_b32 s22, s15
	v_dual_mov_b32 v13, v1 :: v_dual_cndmask_b32 v11, v10, v11, s0
	v_ashrrev_i32_e32 v5, 31, v4
	v_cmp_gt_i32_e64 s0, 32, v3
	v_mov_b32_e32 v15, v1
	s_wait_kmcnt 0x0
	s_delay_alu instid0(VALU_DEP_3)
	v_lshl_add_u64 v[8:9], v[4:5], 3, s[2:3]
	v_add_nc_u64_e32 v[4:5], s[2:3], v[0:1]
	v_cndmask_b32_e64 v0, v10, v3, s0
	v_rcp_iflag_f32_e32 v3, s1
	v_cmp_gt_u32_e64 s0, s7, v26
	v_add_nc_u64_e32 v[6:7], v[8:9], v[6:7]
	v_mul_lo_u32 v8, v26, s6
	s_lshl_b32 s6, s6, 3
	v_mov_b32_e32 v35, 0x7c
	v_mov_b32_e32 v9, v1
	v_readfirstlane_b32 s3, v3
	v_dual_lshlrev_b32 v33, 2, v11 :: v_dual_lshlrev_b32 v34, 2, v0
	v_dual_mov_b32 v11, v1 :: v_dual_bitop2_b32 v0, 8, v26 bitop3:0x54
	s_mul_f32 s14, s3, 0x4f7ffffe
	v_add_nc_u32_e32 v10, s6, v8
	s_delay_alu instid0(VALU_DEP_2) | instskip(SKIP_4) | instid1(VALU_DEP_3)
	v_cmp_gt_u32_e64 s1, s7, v0
	v_or_b32_e32 v0, 16, v26
	s_cvt_u32_f32 s14, s14
	v_add_nc_u32_e32 v12, s6, v10
	v_or_b32_e32 v3, 24, v26
	v_cmp_gt_u32_e64 s2, s7, v0
	s_and_b32 s1, vcc_lo, s1
	v_add_nc_u32_e32 v14, s6, v12
	s_and_b32 s6, s0, vcc_lo
	s_sub_co_i32 s0, 0, s16
	v_cmp_gt_u32_e64 s3, s7, v3
	s_mul_i32 s0, s0, s14
	s_and_b32 s2, vcc_lo, s2
	s_mul_hi_u32 s0, s14, s0
	s_and_b32 s3, vcc_lo, s3
	s_add_co_i32 s14, s14, s0
	s_branch .LBB139_10
.LBB139_8:                              ;   in Loop: Header=BB139_10 Depth=1
	s_wait_xcnt 0x0
	s_or_b32 exec_lo, exec_lo, s23
	v_mov_b32_e32 v0, 1
.LBB139_9:                              ;   in Loop: Header=BB139_10 Depth=1
	s_or_b32 exec_lo, exec_lo, s0
	ds_bpermute_b32 v3, v33, v38
	s_wait_storecnt_dscnt 0x0
	v_add_nc_u32_e32 v2, v0, v2
	v_min_i32_e32 v3, v3, v38
	ds_bpermute_b32 v18, v34, v3
	s_wait_dscnt 0x0
	v_min_i32_e32 v3, v18, v3
	ds_bpermute_b32 v18, v28, v3
	s_wait_dscnt 0x0
	;; [unrolled: 3-line block ×5, first 2 shown]
	v_cmp_le_i32_e32 vcc_lo, s5, v39
	s_or_b32 s22, vcc_lo, s22
	s_delay_alu instid0(SALU_CYCLE_1)
	s_and_not1_b32 exec_lo, exec_lo, s22
	s_cbranch_execz .LBB139_41
.LBB139_10:                             ; =>This Loop Header: Depth=1
                                        ;     Child Loop BB139_11 Depth 2
                                        ;     Child Loop BB139_15 Depth 2
	v_dual_mov_b32 v0, v32 :: v_dual_mov_b32 v3, v36
	s_mov_b32 s0, 0
	ds_store_b8 v24, v1 offset:8192
.LBB139_11:                             ;   Parent Loop BB139_10 Depth=1
                                        ; =>  This Inner Loop Header: Depth=2
	v_add_nc_u32_e32 v3, 8, v3
	ds_store_b64 v0, v[16:17]
	v_add_nc_u32_e32 v0, 64, v0
	v_cmp_lt_u32_e32 vcc_lo, 23, v3
	s_or_b32 s0, vcc_lo, s0
	s_delay_alu instid0(SALU_CYCLE_1)
	s_and_not1_b32 exec_lo, exec_lo, s0
	s_cbranch_execnz .LBB139_11
; %bb.12:                               ;   in Loop: Header=BB139_10 Depth=1
	s_or_b32 exec_lo, exec_lo, s0
	v_dual_add_nc_u32 v18, v22, v26 :: v_dual_mov_b32 v38, s5
	v_mov_b32_e32 v19, v25
	s_mov_b32 s23, exec_lo
	s_wait_dscnt 0x0
	s_delay_alu instid0(VALU_DEP_2)
	v_cmpx_lt_i32_e64 v18, v25
	s_cbranch_execz .LBB139_20
; %bb.13:                               ;   in Loop: Header=BB139_10 Depth=1
	v_mul_lo_u32 v3, v39, s7
	v_dual_mov_b32 v38, s5 :: v_dual_ashrrev_i32 v19, 31, v18
	s_mov_b32 s24, 0
	s_delay_alu instid0(VALU_DEP_1)
	v_lshl_add_u64 v[20:21], v[18:19], 2, s[12:13]
	v_lshl_add_u64 v[22:23], v[18:19], 3, s[10:11]
	v_mov_b32_e32 v19, v25
	s_branch .LBB139_15
.LBB139_14:                             ;   in Loop: Header=BB139_15 Depth=2
	s_wait_xcnt 0x0
	s_or_b32 exec_lo, exec_lo, s0
	v_add_nc_u32_e32 v18, 8, v18
	s_xor_b32 s25, vcc_lo, -1
	v_add_nc_u64_e32 v[20:21], 32, v[20:21]
	v_add_nc_u64_e32 v[22:23], 64, v[22:23]
	s_delay_alu instid0(VALU_DEP_3) | instskip(SKIP_1) | instid1(SALU_CYCLE_1)
	v_cmp_ge_i32_e64 s0, v18, v25
	s_or_b32 s0, s25, s0
	s_and_b32 s0, exec_lo, s0
	s_delay_alu instid0(SALU_CYCLE_1) | instskip(NEXT) | instid1(SALU_CYCLE_1)
	s_or_b32 s24, s0, s24
	s_and_not1_b32 exec_lo, exec_lo, s24
	s_cbranch_execz .LBB139_19
.LBB139_15:                             ;   Parent Loop BB139_10 Depth=1
                                        ; =>  This Inner Loop Header: Depth=2
	global_load_b32 v0, v[20:21], off
	s_wait_loadcnt 0x0
	v_subrev_nc_u32_e32 v40, s20, v0
	s_delay_alu instid0(VALU_DEP_1) | instskip(NEXT) | instid1(VALU_DEP_1)
	v_sub_nc_u32_e32 v0, 0, v40
	v_max_i32_e32 v0, v40, v0
	s_delay_alu instid0(VALU_DEP_1) | instskip(NEXT) | instid1(VALU_DEP_1)
	v_mul_u64_e32 v[42:43], s[14:15], v[0:1]
	v_mul_lo_u32 v41, v43, s16
	s_delay_alu instid0(VALU_DEP_1) | instskip(NEXT) | instid1(VALU_DEP_1)
	v_dual_sub_nc_u32 v0, v0, v41 :: v_dual_add_nc_u32 v41, 1, v43
	v_cmp_le_u32_e32 vcc_lo, s16, v0
	s_delay_alu instid0(VALU_DEP_2) | instskip(SKIP_1) | instid1(VALU_DEP_1)
	v_dual_cndmask_b32 v41, v43, v41, vcc_lo :: v_dual_ashrrev_i32 v43, 31, v40
	v_subrev_nc_u32_e32 v42, s16, v0
	v_dual_cndmask_b32 v0, v0, v42, vcc_lo :: v_dual_add_nc_u32 v42, 1, v41
	s_delay_alu instid0(VALU_DEP_1) | instskip(NEXT) | instid1(VALU_DEP_2)
	v_cmp_le_u32_e32 vcc_lo, s16, v0
	v_dual_cndmask_b32 v0, v41, v42, vcc_lo :: v_dual_bitop2_b32 v43, s17, v43 bitop3:0x14
	s_delay_alu instid0(VALU_DEP_1) | instskip(NEXT) | instid1(VALU_DEP_1)
	v_xor_b32_e32 v0, v0, v43
	v_dual_mov_b32 v0, v19 :: v_dual_sub_nc_u32 v41, v0, v43
	s_delay_alu instid0(VALU_DEP_1) | instskip(SKIP_3) | instid1(SALU_CYCLE_1)
	v_cmp_ne_u32_e64 s0, v41, v39
	v_cmp_eq_u32_e32 vcc_lo, v41, v39
	s_wait_xcnt 0x0
	s_and_saveexec_b32 s25, s0
	s_xor_b32 s0, exec_lo, s25
; %bb.16:                               ;   in Loop: Header=BB139_15 Depth=2
	v_min_i32_e32 v38, v41, v38
                                        ; implicit-def: $vgpr40
                                        ; implicit-def: $vgpr0
; %bb.17:                               ;   in Loop: Header=BB139_15 Depth=2
	s_or_saveexec_b32 s0, s0
	v_mov_b32_e32 v19, v18
	s_xor_b32 exec_lo, exec_lo, s0
	s_cbranch_execz .LBB139_14
; %bb.18:                               ;   in Loop: Header=BB139_15 Depth=2
	global_load_b64 v[42:43], v[22:23], off
	v_sub_nc_u32_e32 v19, v40, v3
	s_delay_alu instid0(VALU_DEP_1)
	v_lshl_add_u32 v40, v19, 3, v27
	v_mov_b32_e32 v19, v0
	ds_store_b8 v24, v37 offset:8192
	s_wait_loadcnt 0x0
	ds_store_b64 v40, v[42:43]
	s_branch .LBB139_14
.LBB139_19:                             ;   in Loop: Header=BB139_10 Depth=1
	s_or_b32 exec_lo, exec_lo, s24
.LBB139_20:                             ;   in Loop: Header=BB139_10 Depth=1
	s_delay_alu instid0(SALU_CYCLE_1)
	s_or_b32 exec_lo, exec_lo, s23
	ds_bpermute_b32 v0, v28, v19
	s_wait_dscnt 0x0
	ds_load_u8 v18, v24 offset:8192
	v_min_i32_e32 v0, v0, v19
	ds_bpermute_b32 v3, v29, v0
	s_wait_dscnt 0x0
	v_min_i32_e32 v0, v3, v0
	ds_bpermute_b32 v3, v30, v0
	s_wait_dscnt 0x0
	v_min_i32_e32 v0, v3, v0
	ds_bpermute_b32 v22, v31, v0
	v_and_b32_e32 v0, 1, v18
	s_delay_alu instid0(VALU_DEP_1)
	v_cmp_eq_u32_e32 vcc_lo, 1, v0
	v_mov_b32_e32 v0, 0
	s_and_saveexec_b32 s0, vcc_lo
	s_cbranch_execz .LBB139_9
; %bb.21:                               ;   in Loop: Header=BB139_10 Depth=1
	v_dual_ashrrev_i32 v3, 31, v2 :: v_dual_add_nc_u32 v0, s21, v39
	s_delay_alu instid0(VALU_DEP_1) | instskip(SKIP_2) | instid1(VALU_DEP_1)
	v_mul_u64_e32 v[18:19], s[18:19], v[2:3]
	global_store_b32 v2, v0, s[8:9] scale_offset
	v_lshlrev_b64_e32 v[18:19], 3, v[18:19]
	v_add_nc_u64_e32 v[20:21], v[4:5], v[18:19]
	v_add_nc_u64_e32 v[18:19], v[6:7], v[18:19]
	s_wait_xcnt 0x0
	s_and_saveexec_b32 s23, s6
	s_cbranch_execz .LBB139_25
; %bb.22:                               ;   in Loop: Header=BB139_10 Depth=1
	s_and_b32 vcc_lo, exec_lo, s4
	s_cbranch_vccz .LBB139_36
; %bb.23:                               ;   in Loop: Header=BB139_10 Depth=1
	ds_load_b64 v[40:41], v32
	v_lshl_add_u64 v[42:43], v[8:9], 3, v[20:21]
	s_wait_dscnt 0x0
	global_store_b64 v[42:43], v[40:41], off
	s_cbranch_execnz .LBB139_25
.LBB139_24:                             ;   in Loop: Header=BB139_10 Depth=1
	s_wait_xcnt 0x0
	ds_load_b64 v[40:41], v32
	s_wait_dscnt 0x0
	global_store_b64 v[18:19], v[40:41], off
.LBB139_25:                             ;   in Loop: Header=BB139_10 Depth=1
	s_wait_xcnt 0x0
	s_or_b32 exec_lo, exec_lo, s23
	s_and_saveexec_b32 s23, s1
	s_cbranch_execz .LBB139_29
; %bb.26:                               ;   in Loop: Header=BB139_10 Depth=1
	s_and_not1_b32 vcc_lo, exec_lo, s4
	s_cbranch_vccnz .LBB139_37
; %bb.27:                               ;   in Loop: Header=BB139_10 Depth=1
	ds_load_b64 v[40:41], v32 offset:64
	v_lshl_add_u64 v[42:43], v[10:11], 3, v[20:21]
	s_wait_dscnt 0x0
	global_store_b64 v[42:43], v[40:41], off
	s_cbranch_execnz .LBB139_29
.LBB139_28:                             ;   in Loop: Header=BB139_10 Depth=1
	s_wait_xcnt 0x0
	ds_load_b64 v[40:41], v32 offset:64
	s_wait_dscnt 0x0
	global_store_b64 v[18:19], v[40:41], off offset:64
.LBB139_29:                             ;   in Loop: Header=BB139_10 Depth=1
	s_wait_xcnt 0x0
	s_or_b32 exec_lo, exec_lo, s23
	s_and_saveexec_b32 s23, s2
	s_cbranch_execz .LBB139_33
; %bb.30:                               ;   in Loop: Header=BB139_10 Depth=1
	s_and_not1_b32 vcc_lo, exec_lo, s4
	s_cbranch_vccnz .LBB139_38
; %bb.31:                               ;   in Loop: Header=BB139_10 Depth=1
	ds_load_b64 v[40:41], v32 offset:128
	v_lshl_add_u64 v[42:43], v[12:13], 3, v[20:21]
	s_wait_dscnt 0x0
	global_store_b64 v[42:43], v[40:41], off
	s_cbranch_execnz .LBB139_33
.LBB139_32:                             ;   in Loop: Header=BB139_10 Depth=1
	s_wait_xcnt 0x0
	ds_load_b64 v[40:41], v32 offset:128
	s_wait_dscnt 0x0
	global_store_b64 v[18:19], v[40:41], off offset:128
.LBB139_33:                             ;   in Loop: Header=BB139_10 Depth=1
	s_wait_xcnt 0x0
	s_or_b32 exec_lo, exec_lo, s23
	s_and_saveexec_b32 s23, s3
	s_cbranch_execz .LBB139_8
; %bb.34:                               ;   in Loop: Header=BB139_10 Depth=1
	s_and_not1_b32 vcc_lo, exec_lo, s4
	s_cbranch_vccnz .LBB139_39
; %bb.35:                               ;   in Loop: Header=BB139_10 Depth=1
	ds_load_b64 v[40:41], v32 offset:192
	v_lshl_add_u64 v[20:21], v[14:15], 3, v[20:21]
	s_wait_dscnt 0x0
	global_store_b64 v[20:21], v[40:41], off
	s_cbranch_execnz .LBB139_8
	s_branch .LBB139_40
.LBB139_36:                             ;   in Loop: Header=BB139_10 Depth=1
	s_branch .LBB139_24
.LBB139_37:                             ;   in Loop: Header=BB139_10 Depth=1
	s_branch .LBB139_28
.LBB139_38:                             ;   in Loop: Header=BB139_10 Depth=1
	s_branch .LBB139_32
.LBB139_39:                             ;   in Loop: Header=BB139_10 Depth=1
.LBB139_40:                             ;   in Loop: Header=BB139_10 Depth=1
	s_wait_xcnt 0x0
	ds_load_b64 v[20:21], v32 offset:192
	s_wait_dscnt 0x0
	global_store_b64 v[18:19], v[20:21], off offset:192
	s_branch .LBB139_8
.LBB139_41:
	s_endpgm
	.section	.rodata,"a",@progbits
	.p2align	6, 0x0
	.amdhsa_kernel _ZN9rocsparseL44csr2gebsr_wavefront_per_row_multipass_kernelILi256ELi4ELi32ELi32E21rocsparse_complex_numIfEEEv20rocsparse_direction_iiiiii21rocsparse_index_base_PKT3_PKiS9_S4_PS5_PiSB_
		.amdhsa_group_segment_fixed_size 8200
		.amdhsa_private_segment_fixed_size 0
		.amdhsa_kernarg_size 88
		.amdhsa_user_sgpr_count 2
		.amdhsa_user_sgpr_dispatch_ptr 0
		.amdhsa_user_sgpr_queue_ptr 0
		.amdhsa_user_sgpr_kernarg_segment_ptr 1
		.amdhsa_user_sgpr_dispatch_id 0
		.amdhsa_user_sgpr_kernarg_preload_length 0
		.amdhsa_user_sgpr_kernarg_preload_offset 0
		.amdhsa_user_sgpr_private_segment_size 0
		.amdhsa_wavefront_size32 1
		.amdhsa_uses_dynamic_stack 0
		.amdhsa_enable_private_segment 0
		.amdhsa_system_sgpr_workgroup_id_x 1
		.amdhsa_system_sgpr_workgroup_id_y 0
		.amdhsa_system_sgpr_workgroup_id_z 0
		.amdhsa_system_sgpr_workgroup_info 0
		.amdhsa_system_vgpr_workitem_id 0
		.amdhsa_next_free_vgpr 44
		.amdhsa_next_free_sgpr 26
		.amdhsa_named_barrier_count 0
		.amdhsa_reserve_vcc 1
		.amdhsa_float_round_mode_32 0
		.amdhsa_float_round_mode_16_64 0
		.amdhsa_float_denorm_mode_32 3
		.amdhsa_float_denorm_mode_16_64 3
		.amdhsa_fp16_overflow 0
		.amdhsa_memory_ordered 1
		.amdhsa_forward_progress 1
		.amdhsa_inst_pref_size 15
		.amdhsa_round_robin_scheduling 0
		.amdhsa_exception_fp_ieee_invalid_op 0
		.amdhsa_exception_fp_denorm_src 0
		.amdhsa_exception_fp_ieee_div_zero 0
		.amdhsa_exception_fp_ieee_overflow 0
		.amdhsa_exception_fp_ieee_underflow 0
		.amdhsa_exception_fp_ieee_inexact 0
		.amdhsa_exception_int_div_zero 0
	.end_amdhsa_kernel
	.section	.text._ZN9rocsparseL44csr2gebsr_wavefront_per_row_multipass_kernelILi256ELi4ELi32ELi32E21rocsparse_complex_numIfEEEv20rocsparse_direction_iiiiii21rocsparse_index_base_PKT3_PKiS9_S4_PS5_PiSB_,"axG",@progbits,_ZN9rocsparseL44csr2gebsr_wavefront_per_row_multipass_kernelILi256ELi4ELi32ELi32E21rocsparse_complex_numIfEEEv20rocsparse_direction_iiiiii21rocsparse_index_base_PKT3_PKiS9_S4_PS5_PiSB_,comdat
.Lfunc_end139:
	.size	_ZN9rocsparseL44csr2gebsr_wavefront_per_row_multipass_kernelILi256ELi4ELi32ELi32E21rocsparse_complex_numIfEEEv20rocsparse_direction_iiiiii21rocsparse_index_base_PKT3_PKiS9_S4_PS5_PiSB_, .Lfunc_end139-_ZN9rocsparseL44csr2gebsr_wavefront_per_row_multipass_kernelILi256ELi4ELi32ELi32E21rocsparse_complex_numIfEEEv20rocsparse_direction_iiiiii21rocsparse_index_base_PKT3_PKiS9_S4_PS5_PiSB_
                                        ; -- End function
	.set _ZN9rocsparseL44csr2gebsr_wavefront_per_row_multipass_kernelILi256ELi4ELi32ELi32E21rocsparse_complex_numIfEEEv20rocsparse_direction_iiiiii21rocsparse_index_base_PKT3_PKiS9_S4_PS5_PiSB_.num_vgpr, 44
	.set _ZN9rocsparseL44csr2gebsr_wavefront_per_row_multipass_kernelILi256ELi4ELi32ELi32E21rocsparse_complex_numIfEEEv20rocsparse_direction_iiiiii21rocsparse_index_base_PKT3_PKiS9_S4_PS5_PiSB_.num_agpr, 0
	.set _ZN9rocsparseL44csr2gebsr_wavefront_per_row_multipass_kernelILi256ELi4ELi32ELi32E21rocsparse_complex_numIfEEEv20rocsparse_direction_iiiiii21rocsparse_index_base_PKT3_PKiS9_S4_PS5_PiSB_.numbered_sgpr, 26
	.set _ZN9rocsparseL44csr2gebsr_wavefront_per_row_multipass_kernelILi256ELi4ELi32ELi32E21rocsparse_complex_numIfEEEv20rocsparse_direction_iiiiii21rocsparse_index_base_PKT3_PKiS9_S4_PS5_PiSB_.num_named_barrier, 0
	.set _ZN9rocsparseL44csr2gebsr_wavefront_per_row_multipass_kernelILi256ELi4ELi32ELi32E21rocsparse_complex_numIfEEEv20rocsparse_direction_iiiiii21rocsparse_index_base_PKT3_PKiS9_S4_PS5_PiSB_.private_seg_size, 0
	.set _ZN9rocsparseL44csr2gebsr_wavefront_per_row_multipass_kernelILi256ELi4ELi32ELi32E21rocsparse_complex_numIfEEEv20rocsparse_direction_iiiiii21rocsparse_index_base_PKT3_PKiS9_S4_PS5_PiSB_.uses_vcc, 1
	.set _ZN9rocsparseL44csr2gebsr_wavefront_per_row_multipass_kernelILi256ELi4ELi32ELi32E21rocsparse_complex_numIfEEEv20rocsparse_direction_iiiiii21rocsparse_index_base_PKT3_PKiS9_S4_PS5_PiSB_.uses_flat_scratch, 0
	.set _ZN9rocsparseL44csr2gebsr_wavefront_per_row_multipass_kernelILi256ELi4ELi32ELi32E21rocsparse_complex_numIfEEEv20rocsparse_direction_iiiiii21rocsparse_index_base_PKT3_PKiS9_S4_PS5_PiSB_.has_dyn_sized_stack, 0
	.set _ZN9rocsparseL44csr2gebsr_wavefront_per_row_multipass_kernelILi256ELi4ELi32ELi32E21rocsparse_complex_numIfEEEv20rocsparse_direction_iiiiii21rocsparse_index_base_PKT3_PKiS9_S4_PS5_PiSB_.has_recursion, 0
	.set _ZN9rocsparseL44csr2gebsr_wavefront_per_row_multipass_kernelILi256ELi4ELi32ELi32E21rocsparse_complex_numIfEEEv20rocsparse_direction_iiiiii21rocsparse_index_base_PKT3_PKiS9_S4_PS5_PiSB_.has_indirect_call, 0
	.section	.AMDGPU.csdata,"",@progbits
; Kernel info:
; codeLenInByte = 1876
; TotalNumSgprs: 28
; NumVgprs: 44
; ScratchSize: 0
; MemoryBound: 0
; FloatMode: 240
; IeeeMode: 1
; LDSByteSize: 8200 bytes/workgroup (compile time only)
; SGPRBlocks: 0
; VGPRBlocks: 2
; NumSGPRsForWavesPerEU: 28
; NumVGPRsForWavesPerEU: 44
; NamedBarCnt: 0
; Occupancy: 16
; WaveLimiterHint : 0
; COMPUTE_PGM_RSRC2:SCRATCH_EN: 0
; COMPUTE_PGM_RSRC2:USER_SGPR: 2
; COMPUTE_PGM_RSRC2:TRAP_HANDLER: 0
; COMPUTE_PGM_RSRC2:TGID_X_EN: 1
; COMPUTE_PGM_RSRC2:TGID_Y_EN: 0
; COMPUTE_PGM_RSRC2:TGID_Z_EN: 0
; COMPUTE_PGM_RSRC2:TIDIG_COMP_CNT: 0
	.section	.text._ZN9rocsparseL44csr2gebsr_wavefront_per_row_multipass_kernelILi256ELi4ELi64ELi64E21rocsparse_complex_numIfEEEv20rocsparse_direction_iiiiii21rocsparse_index_base_PKT3_PKiS9_S4_PS5_PiSB_,"axG",@progbits,_ZN9rocsparseL44csr2gebsr_wavefront_per_row_multipass_kernelILi256ELi4ELi64ELi64E21rocsparse_complex_numIfEEEv20rocsparse_direction_iiiiii21rocsparse_index_base_PKT3_PKiS9_S4_PS5_PiSB_,comdat
	.globl	_ZN9rocsparseL44csr2gebsr_wavefront_per_row_multipass_kernelILi256ELi4ELi64ELi64E21rocsparse_complex_numIfEEEv20rocsparse_direction_iiiiii21rocsparse_index_base_PKT3_PKiS9_S4_PS5_PiSB_ ; -- Begin function _ZN9rocsparseL44csr2gebsr_wavefront_per_row_multipass_kernelILi256ELi4ELi64ELi64E21rocsparse_complex_numIfEEEv20rocsparse_direction_iiiiii21rocsparse_index_base_PKT3_PKiS9_S4_PS5_PiSB_
	.p2align	8
	.type	_ZN9rocsparseL44csr2gebsr_wavefront_per_row_multipass_kernelILi256ELi4ELi64ELi64E21rocsparse_complex_numIfEEEv20rocsparse_direction_iiiiii21rocsparse_index_base_PKT3_PKiS9_S4_PS5_PiSB_,@function
_ZN9rocsparseL44csr2gebsr_wavefront_per_row_multipass_kernelILi256ELi4ELi64ELi64E21rocsparse_complex_numIfEEEv20rocsparse_direction_iiiiii21rocsparse_index_base_PKT3_PKiS9_S4_PS5_PiSB_: ; @_ZN9rocsparseL44csr2gebsr_wavefront_per_row_multipass_kernelILi256ELi4ELi64ELi64E21rocsparse_complex_numIfEEEv20rocsparse_direction_iiiiii21rocsparse_index_base_PKT3_PKiS9_S4_PS5_PiSB_
; %bb.0:
	s_clause 0x1
	s_load_b128 s[4:7], s[0:1], 0xc
	s_load_b64 s[14:15], s[0:1], 0x0
	s_bfe_u32 s2, ttmp6, 0x4000c
	s_and_b32 s3, ttmp6, 15
	s_add_co_i32 s2, s2, 1
	s_getreg_b32 s8, hwreg(HW_REG_IB_STS2, 6, 4)
	s_mul_i32 s2, ttmp9, s2
	v_dual_lshrrev_b32 v24, 6, v0 :: v_dual_mov_b32 v2, 0
	s_add_co_i32 s3, s3, s2
	s_cmp_eq_u32 s8, 0
	v_bfe_u32 v3, v0, 4, 2
	s_cselect_b32 s2, ttmp9, s3
	s_clause 0x1
	s_load_b32 s20, s[0:1], 0x1c
	s_load_b64 s[8:9], s[0:1], 0x28
	v_lshl_or_b32 v1, s2, 2, v24
	v_mov_b32_e32 v22, 0
	s_wait_kmcnt 0x0
	s_delay_alu instid0(VALU_DEP_2) | instskip(SKIP_1) | instid1(VALU_DEP_2)
	v_mad_u32 v4, v1, s6, v3
	v_cmp_gt_i32_e32 vcc_lo, s6, v3
	v_cmp_gt_i32_e64 s2, s15, v4
	s_and_b32 s2, vcc_lo, s2
	s_delay_alu instid0(SALU_CYCLE_1)
	s_and_saveexec_b32 s3, s2
	s_cbranch_execz .LBB140_2
; %bb.1:
	global_load_b32 v5, v4, s[8:9] scale_offset
	s_wait_loadcnt 0x0
	v_subrev_nc_u32_e32 v22, s20, v5
.LBB140_2:
	s_or_b32 exec_lo, exec_lo, s3
	v_mov_b32_e32 v25, 0
	s_and_saveexec_b32 s3, s2
	s_cbranch_execz .LBB140_4
; %bb.3:
	global_load_b32 v4, v4, s[8:9] offset:4 scale_offset
	s_wait_loadcnt 0x0
	v_subrev_nc_u32_e32 v25, s20, v4
.LBB140_4:
	s_or_b32 exec_lo, exec_lo, s3
	s_load_b32 s21, s[0:1], 0x38
	s_mov_b32 s3, exec_lo
	v_cmpx_gt_i32_e64 s4, v1
	s_cbranch_execz .LBB140_6
; %bb.5:
	s_load_b64 s[8:9], s[0:1], 0x48
	s_wait_kmcnt 0x0
	global_load_b32 v1, v1, s[8:9] scale_offset
	s_wait_loadcnt 0x0
	v_subrev_nc_u32_e32 v2, s21, v1
.LBB140_6:
	s_or_b32 exec_lo, exec_lo, s3
	s_cmp_lt_i32 s5, 1
	s_cbranch_scc1 .LBB140_41
; %bb.7:
	v_mbcnt_lo_u32_b32 v10, -1, 0
	s_clause 0x3
	s_load_b64 s[8:9], s[0:1], 0x50
	s_load_b64 s[2:3], s[0:1], 0x40
	;; [unrolled: 1-line block ×4, first 2 shown]
	s_cmp_lg_u32 s14, 0
	s_mov_b32 s15, 0
	s_cselect_b32 s4, -1, 0
	v_xor_b32_e32 v1, 8, v10
	v_dual_lshlrev_b32 v0, 9, v3 :: v_dual_bitop2_b32 v26, 15, v0 bitop3:0x40
	v_or_b32_e32 v11, 32, v10
	s_mov_b32 s14, s6
	s_wait_xcnt 0x0
	v_cmp_gt_i32_e64 s0, 32, v1
	s_ashr_i32 s17, s7, 31
	v_lshl_or_b32 v27, v24, 11, v0
	s_mov_b32 s16, s7
	v_lshl_or_b32 v32, v10, 2, 60
	v_dual_cndmask_b32 v1, v10, v1, s0 :: v_dual_bitop2_b32 v4, 4, v10 bitop3:0x14
	s_mul_u64 s[18:19], s[16:17], s[14:15]
	s_abs_i32 s16, s7
	v_mov_b64_e32 v[16:17], 0
	s_delay_alu instid0(VALU_DEP_2)
	v_lshlrev_b32_e32 v28, 2, v1
	v_cmp_gt_i32_e64 s0, 32, v4
	v_xor_b32_e32 v0, 2, v10
	s_cvt_f32_u32 s1, s16
	v_bfrev_b32_e32 v36, 0.5
	v_dual_mov_b32 v38, 1 :: v_dual_bitop2_b32 v37, -16, v26 bitop3:0x54
	v_cndmask_b32_e64 v1, v10, v4, s0
	v_cmp_gt_i32_e64 s0, 32, v0
	v_xor_b32_e32 v5, 1, v10
	v_mul_lo_u32 v4, s7, v3
	s_delay_alu instid0(VALU_DEP_4) | instskip(NEXT) | instid1(VALU_DEP_4)
	v_dual_lshlrev_b32 v6, 3, v26 :: v_dual_lshlrev_b32 v29, 2, v1
	v_cndmask_b32_e64 v0, v10, v0, s0
	s_delay_alu instid0(VALU_DEP_4) | instskip(SKIP_4) | instid1(VALU_DEP_2)
	v_cmp_gt_i32_e64 s0, 32, v5
	v_mov_b32_e32 v40, 0
	s_mov_b32 s22, s15
	v_dual_mov_b32 v1, 0 :: v_dual_lshlrev_b32 v30, 2, v0
	v_dual_cndmask_b32 v5, v10, v5, s0 :: v_dual_lshlrev_b32 v0, 3, v3
	v_dual_mov_b32 v7, v1 :: v_dual_bitop2_b32 v3, 16, v10 bitop3:0x14
	v_cmp_gt_i32_e64 s0, 32, v11
	s_delay_alu instid0(VALU_DEP_3) | instskip(SKIP_1) | instid1(VALU_DEP_3)
	v_dual_lshlrev_b32 v31, 2, v5 :: v_dual_bitop2_b32 v33, v27, v6 bitop3:0x54
	v_dual_ashrrev_i32 v5, 31, v4 :: v_dual_mov_b32 v13, v1
	v_cndmask_b32_e64 v11, v10, v11, s0
	v_cmp_gt_i32_e64 s0, 32, v3
	v_mov_b32_e32 v15, v1
	s_wait_kmcnt 0x0
	v_lshl_add_u64 v[8:9], v[4:5], 3, s[2:3]
	v_add_nc_u64_e32 v[4:5], s[2:3], v[0:1]
	v_cndmask_b32_e64 v0, v10, v3, s0
	v_rcp_iflag_f32_e32 v3, s1
	s_delay_alu instid0(VALU_DEP_3) | instskip(SKIP_4) | instid1(TRANS32_DEP_1)
	v_add_nc_u64_e32 v[6:7], v[8:9], v[6:7]
	v_mul_lo_u32 v8, v26, s6
	s_lshl_b32 s6, s6, 4
	v_dual_mov_b32 v9, v1 :: v_dual_lshlrev_b32 v35, 2, v0
	v_dual_lshlrev_b32 v34, 2, v11 :: v_dual_bitop2_b32 v0, 16, v26 bitop3:0x54
	v_readfirstlane_b32 s3, v3
	v_cmp_gt_u32_e64 s0, s7, v26
	v_dual_mov_b32 v11, v1 :: v_dual_bitop2_b32 v3, 48, v26 bitop3:0x54
	s_delay_alu instid0(VALU_DEP_4)
	v_cmp_gt_u32_e64 s1, s7, v0
	v_dual_add_nc_u32 v10, s6, v8 :: v_dual_bitop2_b32 v0, 32, v26 bitop3:0x54
	s_mul_f32 s14, s3, 0x4f7ffffe
	v_cmp_gt_u32_e64 s3, s7, v3
	s_and_b32 s1, vcc_lo, s1
	v_add_nc_u32_e32 v12, s6, v10
	s_cvt_u32_f32 s14, s14
	v_cmp_gt_u32_e64 s2, s7, v0
	s_and_b32 s3, vcc_lo, s3
	v_add_nc_u32_e32 v14, s6, v12
	s_and_b32 s6, s0, vcc_lo
	s_sub_co_i32 s0, 0, s16
	s_and_b32 s2, vcc_lo, s2
	s_mul_i32 s0, s0, s14
	s_delay_alu instid0(SALU_CYCLE_1) | instskip(NEXT) | instid1(SALU_CYCLE_1)
	s_mul_hi_u32 s0, s14, s0
	s_add_co_i32 s14, s14, s0
	s_branch .LBB140_10
.LBB140_8:                              ;   in Loop: Header=BB140_10 Depth=1
	s_wait_xcnt 0x0
	s_or_b32 exec_lo, exec_lo, s23
	v_mov_b32_e32 v0, 1
.LBB140_9:                              ;   in Loop: Header=BB140_10 Depth=1
	s_or_b32 exec_lo, exec_lo, s0
	ds_bpermute_b32 v3, v34, v39
	s_wait_storecnt_dscnt 0x0
	v_dual_add_nc_u32 v2, v0, v2 :: v_dual_min_i32 v3, v3, v39
	ds_bpermute_b32 v18, v35, v3
	s_wait_dscnt 0x0
	v_min_i32_e32 v3, v18, v3
	ds_bpermute_b32 v18, v28, v3
	s_wait_dscnt 0x0
	v_min_i32_e32 v3, v18, v3
	;; [unrolled: 3-line block ×5, first 2 shown]
	ds_bpermute_b32 v40, v36, v3
	s_wait_dscnt 0x0
	v_cmp_le_i32_e32 vcc_lo, s5, v40
	s_or_b32 s22, vcc_lo, s22
	s_delay_alu instid0(SALU_CYCLE_1)
	s_and_not1_b32 exec_lo, exec_lo, s22
	s_cbranch_execz .LBB140_41
.LBB140_10:                             ; =>This Loop Header: Depth=1
                                        ;     Child Loop BB140_11 Depth 2
                                        ;     Child Loop BB140_15 Depth 2
	v_dual_mov_b32 v0, v33 :: v_dual_mov_b32 v3, v37
	s_mov_b32 s0, 0
	ds_store_b8 v24, v1 offset:8192
.LBB140_11:                             ;   Parent Loop BB140_10 Depth=1
                                        ; =>  This Inner Loop Header: Depth=2
	v_add_nc_u32_e32 v3, 16, v3
	ds_store_b64 v0, v[16:17]
	v_add_nc_u32_e32 v0, 0x80, v0
	v_cmp_lt_u32_e32 vcc_lo, 47, v3
	s_or_b32 s0, vcc_lo, s0
	s_delay_alu instid0(SALU_CYCLE_1)
	s_and_not1_b32 exec_lo, exec_lo, s0
	s_cbranch_execnz .LBB140_11
; %bb.12:                               ;   in Loop: Header=BB140_10 Depth=1
	s_or_b32 exec_lo, exec_lo, s0
	v_dual_mov_b32 v39, s5 :: v_dual_add_nc_u32 v18, v22, v26
	v_mov_b32_e32 v19, v25
	s_mov_b32 s23, exec_lo
	s_wait_dscnt 0x0
	s_delay_alu instid0(VALU_DEP_2)
	v_cmpx_lt_i32_e64 v18, v25
	s_cbranch_execz .LBB140_20
; %bb.13:                               ;   in Loop: Header=BB140_10 Depth=1
	v_mul_lo_u32 v3, v40, s7
	v_dual_ashrrev_i32 v19, 31, v18 :: v_dual_mov_b32 v39, s5
	s_mov_b32 s24, 0
	s_delay_alu instid0(VALU_DEP_1)
	v_lshl_add_u64 v[20:21], v[18:19], 2, s[12:13]
	v_lshl_add_u64 v[22:23], v[18:19], 3, s[10:11]
	v_mov_b32_e32 v19, v25
	s_branch .LBB140_15
.LBB140_14:                             ;   in Loop: Header=BB140_15 Depth=2
	s_wait_xcnt 0x0
	s_or_b32 exec_lo, exec_lo, s0
	v_add_nc_u32_e32 v18, 16, v18
	s_xor_b32 s25, vcc_lo, -1
	v_add_nc_u64_e32 v[20:21], 64, v[20:21]
	v_add_nc_u64_e32 v[22:23], 0x80, v[22:23]
	s_delay_alu instid0(VALU_DEP_3) | instskip(SKIP_1) | instid1(SALU_CYCLE_1)
	v_cmp_ge_i32_e64 s0, v18, v25
	s_or_b32 s0, s25, s0
	s_and_b32 s0, exec_lo, s0
	s_delay_alu instid0(SALU_CYCLE_1) | instskip(NEXT) | instid1(SALU_CYCLE_1)
	s_or_b32 s24, s0, s24
	s_and_not1_b32 exec_lo, exec_lo, s24
	s_cbranch_execz .LBB140_19
.LBB140_15:                             ;   Parent Loop BB140_10 Depth=1
                                        ; =>  This Inner Loop Header: Depth=2
	global_load_b32 v0, v[20:21], off
	s_wait_loadcnt 0x0
	v_subrev_nc_u32_e32 v41, s20, v0
	s_delay_alu instid0(VALU_DEP_1) | instskip(NEXT) | instid1(VALU_DEP_1)
	v_sub_nc_u32_e32 v0, 0, v41
	v_max_i32_e32 v0, v41, v0
	s_delay_alu instid0(VALU_DEP_1) | instskip(NEXT) | instid1(VALU_DEP_1)
	v_mul_u64_e32 v[42:43], s[14:15], v[0:1]
	v_mul_lo_u32 v42, v43, s16
	s_delay_alu instid0(VALU_DEP_1) | instskip(NEXT) | instid1(VALU_DEP_1)
	v_dual_sub_nc_u32 v0, v0, v42 :: v_dual_add_nc_u32 v42, 1, v43
	v_cmp_le_u32_e32 vcc_lo, s16, v0
	s_delay_alu instid0(VALU_DEP_2) | instskip(SKIP_1) | instid1(VALU_DEP_1)
	v_dual_cndmask_b32 v42, v43, v42 :: v_dual_ashrrev_i32 v43, 31, v41
	v_subrev_nc_u32_e32 v44, s16, v0
	v_dual_cndmask_b32 v0, v0, v44, vcc_lo :: v_dual_add_nc_u32 v44, 1, v42
	s_delay_alu instid0(VALU_DEP_1) | instskip(NEXT) | instid1(VALU_DEP_2)
	v_cmp_le_u32_e32 vcc_lo, s16, v0
	v_dual_cndmask_b32 v0, v42, v44, vcc_lo :: v_dual_bitop2_b32 v43, s17, v43 bitop3:0x14
	s_delay_alu instid0(VALU_DEP_1) | instskip(NEXT) | instid1(VALU_DEP_1)
	v_xor_b32_e32 v0, v0, v43
	v_dual_sub_nc_u32 v42, v0, v43 :: v_dual_mov_b32 v0, v19
	s_delay_alu instid0(VALU_DEP_1) | instskip(SKIP_3) | instid1(SALU_CYCLE_1)
	v_cmp_ne_u32_e64 s0, v42, v40
	v_cmp_eq_u32_e32 vcc_lo, v42, v40
	s_wait_xcnt 0x0
	s_and_saveexec_b32 s25, s0
	s_xor_b32 s0, exec_lo, s25
; %bb.16:                               ;   in Loop: Header=BB140_15 Depth=2
	v_min_i32_e32 v39, v42, v39
                                        ; implicit-def: $vgpr41
                                        ; implicit-def: $vgpr0
; %bb.17:                               ;   in Loop: Header=BB140_15 Depth=2
	s_or_saveexec_b32 s0, s0
	v_mov_b32_e32 v19, v18
	s_xor_b32 exec_lo, exec_lo, s0
	s_cbranch_execz .LBB140_14
; %bb.18:                               ;   in Loop: Header=BB140_15 Depth=2
	global_load_b64 v[42:43], v[22:23], off
	v_sub_nc_u32_e32 v19, v41, v3
	s_delay_alu instid0(VALU_DEP_1)
	v_lshl_add_u32 v41, v19, 3, v27
	v_mov_b32_e32 v19, v0
	ds_store_b8 v24, v38 offset:8192
	s_wait_loadcnt 0x0
	ds_store_b64 v41, v[42:43]
	s_branch .LBB140_14
.LBB140_19:                             ;   in Loop: Header=BB140_10 Depth=1
	s_or_b32 exec_lo, exec_lo, s24
.LBB140_20:                             ;   in Loop: Header=BB140_10 Depth=1
	s_delay_alu instid0(SALU_CYCLE_1)
	s_or_b32 exec_lo, exec_lo, s23
	ds_bpermute_b32 v0, v28, v19
	s_wait_dscnt 0x0
	ds_load_u8 v18, v24 offset:8192
	v_min_i32_e32 v0, v0, v19
	ds_bpermute_b32 v3, v29, v0
	s_wait_dscnt 0x0
	v_min_i32_e32 v0, v3, v0
	ds_bpermute_b32 v3, v30, v0
	s_wait_dscnt 0x0
	;; [unrolled: 3-line block ×3, first 2 shown]
	v_min_i32_e32 v0, v3, v0
	ds_bpermute_b32 v22, v32, v0
	v_and_b32_e32 v0, 1, v18
	s_delay_alu instid0(VALU_DEP_1)
	v_cmp_eq_u32_e32 vcc_lo, 1, v0
	v_mov_b32_e32 v0, 0
	s_and_saveexec_b32 s0, vcc_lo
	s_cbranch_execz .LBB140_9
; %bb.21:                               ;   in Loop: Header=BB140_10 Depth=1
	v_dual_ashrrev_i32 v3, 31, v2 :: v_dual_add_nc_u32 v0, s21, v40
	s_delay_alu instid0(VALU_DEP_1) | instskip(SKIP_2) | instid1(VALU_DEP_1)
	v_mul_u64_e32 v[18:19], s[18:19], v[2:3]
	global_store_b32 v2, v0, s[8:9] scale_offset
	v_lshlrev_b64_e32 v[18:19], 3, v[18:19]
	v_add_nc_u64_e32 v[20:21], v[4:5], v[18:19]
	v_add_nc_u64_e32 v[18:19], v[6:7], v[18:19]
	s_wait_xcnt 0x0
	s_and_saveexec_b32 s23, s6
	s_cbranch_execz .LBB140_25
; %bb.22:                               ;   in Loop: Header=BB140_10 Depth=1
	s_and_b32 vcc_lo, exec_lo, s4
	s_cbranch_vccz .LBB140_36
; %bb.23:                               ;   in Loop: Header=BB140_10 Depth=1
	ds_load_b64 v[40:41], v33
	v_lshl_add_u64 v[42:43], v[8:9], 3, v[20:21]
	s_wait_dscnt 0x0
	global_store_b64 v[42:43], v[40:41], off
	s_cbranch_execnz .LBB140_25
.LBB140_24:                             ;   in Loop: Header=BB140_10 Depth=1
	s_wait_xcnt 0x0
	ds_load_b64 v[40:41], v33
	s_wait_dscnt 0x0
	global_store_b64 v[18:19], v[40:41], off
.LBB140_25:                             ;   in Loop: Header=BB140_10 Depth=1
	s_wait_xcnt 0x0
	s_or_b32 exec_lo, exec_lo, s23
	s_and_saveexec_b32 s23, s1
	s_cbranch_execz .LBB140_29
; %bb.26:                               ;   in Loop: Header=BB140_10 Depth=1
	s_and_not1_b32 vcc_lo, exec_lo, s4
	s_cbranch_vccnz .LBB140_37
; %bb.27:                               ;   in Loop: Header=BB140_10 Depth=1
	ds_load_b64 v[40:41], v33 offset:128
	v_lshl_add_u64 v[42:43], v[10:11], 3, v[20:21]
	s_wait_dscnt 0x0
	global_store_b64 v[42:43], v[40:41], off
	s_cbranch_execnz .LBB140_29
.LBB140_28:                             ;   in Loop: Header=BB140_10 Depth=1
	s_wait_xcnt 0x0
	ds_load_b64 v[40:41], v33 offset:128
	s_wait_dscnt 0x0
	global_store_b64 v[18:19], v[40:41], off offset:128
.LBB140_29:                             ;   in Loop: Header=BB140_10 Depth=1
	s_wait_xcnt 0x0
	s_or_b32 exec_lo, exec_lo, s23
	s_and_saveexec_b32 s23, s2
	s_cbranch_execz .LBB140_33
; %bb.30:                               ;   in Loop: Header=BB140_10 Depth=1
	s_and_not1_b32 vcc_lo, exec_lo, s4
	s_cbranch_vccnz .LBB140_38
; %bb.31:                               ;   in Loop: Header=BB140_10 Depth=1
	ds_load_b64 v[40:41], v33 offset:256
	v_lshl_add_u64 v[42:43], v[12:13], 3, v[20:21]
	s_wait_dscnt 0x0
	global_store_b64 v[42:43], v[40:41], off
	s_cbranch_execnz .LBB140_33
.LBB140_32:                             ;   in Loop: Header=BB140_10 Depth=1
	s_wait_xcnt 0x0
	ds_load_b64 v[40:41], v33 offset:256
	s_wait_dscnt 0x0
	global_store_b64 v[18:19], v[40:41], off offset:256
.LBB140_33:                             ;   in Loop: Header=BB140_10 Depth=1
	s_wait_xcnt 0x0
	s_or_b32 exec_lo, exec_lo, s23
	s_and_saveexec_b32 s23, s3
	s_cbranch_execz .LBB140_8
; %bb.34:                               ;   in Loop: Header=BB140_10 Depth=1
	s_and_not1_b32 vcc_lo, exec_lo, s4
	s_cbranch_vccnz .LBB140_39
; %bb.35:                               ;   in Loop: Header=BB140_10 Depth=1
	ds_load_b64 v[40:41], v33 offset:384
	v_lshl_add_u64 v[20:21], v[14:15], 3, v[20:21]
	s_wait_dscnt 0x0
	global_store_b64 v[20:21], v[40:41], off
	s_cbranch_execnz .LBB140_8
	s_branch .LBB140_40
.LBB140_36:                             ;   in Loop: Header=BB140_10 Depth=1
	s_branch .LBB140_24
.LBB140_37:                             ;   in Loop: Header=BB140_10 Depth=1
	s_branch .LBB140_28
.LBB140_38:                             ;   in Loop: Header=BB140_10 Depth=1
	s_branch .LBB140_32
.LBB140_39:                             ;   in Loop: Header=BB140_10 Depth=1
.LBB140_40:                             ;   in Loop: Header=BB140_10 Depth=1
	s_wait_xcnt 0x0
	ds_load_b64 v[20:21], v33 offset:384
	s_wait_dscnt 0x0
	global_store_b64 v[18:19], v[20:21], off offset:384
	s_branch .LBB140_8
.LBB140_41:
	s_endpgm
	.section	.rodata,"a",@progbits
	.p2align	6, 0x0
	.amdhsa_kernel _ZN9rocsparseL44csr2gebsr_wavefront_per_row_multipass_kernelILi256ELi4ELi64ELi64E21rocsparse_complex_numIfEEEv20rocsparse_direction_iiiiii21rocsparse_index_base_PKT3_PKiS9_S4_PS5_PiSB_
		.amdhsa_group_segment_fixed_size 8196
		.amdhsa_private_segment_fixed_size 0
		.amdhsa_kernarg_size 88
		.amdhsa_user_sgpr_count 2
		.amdhsa_user_sgpr_dispatch_ptr 0
		.amdhsa_user_sgpr_queue_ptr 0
		.amdhsa_user_sgpr_kernarg_segment_ptr 1
		.amdhsa_user_sgpr_dispatch_id 0
		.amdhsa_user_sgpr_kernarg_preload_length 0
		.amdhsa_user_sgpr_kernarg_preload_offset 0
		.amdhsa_user_sgpr_private_segment_size 0
		.amdhsa_wavefront_size32 1
		.amdhsa_uses_dynamic_stack 0
		.amdhsa_enable_private_segment 0
		.amdhsa_system_sgpr_workgroup_id_x 1
		.amdhsa_system_sgpr_workgroup_id_y 0
		.amdhsa_system_sgpr_workgroup_id_z 0
		.amdhsa_system_sgpr_workgroup_info 0
		.amdhsa_system_vgpr_workitem_id 0
		.amdhsa_next_free_vgpr 45
		.amdhsa_next_free_sgpr 26
		.amdhsa_named_barrier_count 0
		.amdhsa_reserve_vcc 1
		.amdhsa_float_round_mode_32 0
		.amdhsa_float_round_mode_16_64 0
		.amdhsa_float_denorm_mode_32 3
		.amdhsa_float_denorm_mode_16_64 3
		.amdhsa_fp16_overflow 0
		.amdhsa_memory_ordered 1
		.amdhsa_forward_progress 1
		.amdhsa_inst_pref_size 16
		.amdhsa_round_robin_scheduling 0
		.amdhsa_exception_fp_ieee_invalid_op 0
		.amdhsa_exception_fp_denorm_src 0
		.amdhsa_exception_fp_ieee_div_zero 0
		.amdhsa_exception_fp_ieee_overflow 0
		.amdhsa_exception_fp_ieee_underflow 0
		.amdhsa_exception_fp_ieee_inexact 0
		.amdhsa_exception_int_div_zero 0
	.end_amdhsa_kernel
	.section	.text._ZN9rocsparseL44csr2gebsr_wavefront_per_row_multipass_kernelILi256ELi4ELi64ELi64E21rocsparse_complex_numIfEEEv20rocsparse_direction_iiiiii21rocsparse_index_base_PKT3_PKiS9_S4_PS5_PiSB_,"axG",@progbits,_ZN9rocsparseL44csr2gebsr_wavefront_per_row_multipass_kernelILi256ELi4ELi64ELi64E21rocsparse_complex_numIfEEEv20rocsparse_direction_iiiiii21rocsparse_index_base_PKT3_PKiS9_S4_PS5_PiSB_,comdat
.Lfunc_end140:
	.size	_ZN9rocsparseL44csr2gebsr_wavefront_per_row_multipass_kernelILi256ELi4ELi64ELi64E21rocsparse_complex_numIfEEEv20rocsparse_direction_iiiiii21rocsparse_index_base_PKT3_PKiS9_S4_PS5_PiSB_, .Lfunc_end140-_ZN9rocsparseL44csr2gebsr_wavefront_per_row_multipass_kernelILi256ELi4ELi64ELi64E21rocsparse_complex_numIfEEEv20rocsparse_direction_iiiiii21rocsparse_index_base_PKT3_PKiS9_S4_PS5_PiSB_
                                        ; -- End function
	.set _ZN9rocsparseL44csr2gebsr_wavefront_per_row_multipass_kernelILi256ELi4ELi64ELi64E21rocsparse_complex_numIfEEEv20rocsparse_direction_iiiiii21rocsparse_index_base_PKT3_PKiS9_S4_PS5_PiSB_.num_vgpr, 45
	.set _ZN9rocsparseL44csr2gebsr_wavefront_per_row_multipass_kernelILi256ELi4ELi64ELi64E21rocsparse_complex_numIfEEEv20rocsparse_direction_iiiiii21rocsparse_index_base_PKT3_PKiS9_S4_PS5_PiSB_.num_agpr, 0
	.set _ZN9rocsparseL44csr2gebsr_wavefront_per_row_multipass_kernelILi256ELi4ELi64ELi64E21rocsparse_complex_numIfEEEv20rocsparse_direction_iiiiii21rocsparse_index_base_PKT3_PKiS9_S4_PS5_PiSB_.numbered_sgpr, 26
	.set _ZN9rocsparseL44csr2gebsr_wavefront_per_row_multipass_kernelILi256ELi4ELi64ELi64E21rocsparse_complex_numIfEEEv20rocsparse_direction_iiiiii21rocsparse_index_base_PKT3_PKiS9_S4_PS5_PiSB_.num_named_barrier, 0
	.set _ZN9rocsparseL44csr2gebsr_wavefront_per_row_multipass_kernelILi256ELi4ELi64ELi64E21rocsparse_complex_numIfEEEv20rocsparse_direction_iiiiii21rocsparse_index_base_PKT3_PKiS9_S4_PS5_PiSB_.private_seg_size, 0
	.set _ZN9rocsparseL44csr2gebsr_wavefront_per_row_multipass_kernelILi256ELi4ELi64ELi64E21rocsparse_complex_numIfEEEv20rocsparse_direction_iiiiii21rocsparse_index_base_PKT3_PKiS9_S4_PS5_PiSB_.uses_vcc, 1
	.set _ZN9rocsparseL44csr2gebsr_wavefront_per_row_multipass_kernelILi256ELi4ELi64ELi64E21rocsparse_complex_numIfEEEv20rocsparse_direction_iiiiii21rocsparse_index_base_PKT3_PKiS9_S4_PS5_PiSB_.uses_flat_scratch, 0
	.set _ZN9rocsparseL44csr2gebsr_wavefront_per_row_multipass_kernelILi256ELi4ELi64ELi64E21rocsparse_complex_numIfEEEv20rocsparse_direction_iiiiii21rocsparse_index_base_PKT3_PKiS9_S4_PS5_PiSB_.has_dyn_sized_stack, 0
	.set _ZN9rocsparseL44csr2gebsr_wavefront_per_row_multipass_kernelILi256ELi4ELi64ELi64E21rocsparse_complex_numIfEEEv20rocsparse_direction_iiiiii21rocsparse_index_base_PKT3_PKiS9_S4_PS5_PiSB_.has_recursion, 0
	.set _ZN9rocsparseL44csr2gebsr_wavefront_per_row_multipass_kernelILi256ELi4ELi64ELi64E21rocsparse_complex_numIfEEEv20rocsparse_direction_iiiiii21rocsparse_index_base_PKT3_PKiS9_S4_PS5_PiSB_.has_indirect_call, 0
	.section	.AMDGPU.csdata,"",@progbits
; Kernel info:
; codeLenInByte = 1956
; TotalNumSgprs: 28
; NumVgprs: 45
; ScratchSize: 0
; MemoryBound: 0
; FloatMode: 240
; IeeeMode: 1
; LDSByteSize: 8196 bytes/workgroup (compile time only)
; SGPRBlocks: 0
; VGPRBlocks: 2
; NumSGPRsForWavesPerEU: 28
; NumVGPRsForWavesPerEU: 45
; NamedBarCnt: 0
; Occupancy: 16
; WaveLimiterHint : 0
; COMPUTE_PGM_RSRC2:SCRATCH_EN: 0
; COMPUTE_PGM_RSRC2:USER_SGPR: 2
; COMPUTE_PGM_RSRC2:TRAP_HANDLER: 0
; COMPUTE_PGM_RSRC2:TGID_X_EN: 1
; COMPUTE_PGM_RSRC2:TGID_Y_EN: 0
; COMPUTE_PGM_RSRC2:TGID_Z_EN: 0
; COMPUTE_PGM_RSRC2:TIDIG_COMP_CNT: 0
	.section	.text._ZN9rocsparseL44csr2gebsr_wavefront_per_row_multipass_kernelILi256ELi4ELi64ELi32E21rocsparse_complex_numIfEEEv20rocsparse_direction_iiiiii21rocsparse_index_base_PKT3_PKiS9_S4_PS5_PiSB_,"axG",@progbits,_ZN9rocsparseL44csr2gebsr_wavefront_per_row_multipass_kernelILi256ELi4ELi64ELi32E21rocsparse_complex_numIfEEEv20rocsparse_direction_iiiiii21rocsparse_index_base_PKT3_PKiS9_S4_PS5_PiSB_,comdat
	.globl	_ZN9rocsparseL44csr2gebsr_wavefront_per_row_multipass_kernelILi256ELi4ELi64ELi32E21rocsparse_complex_numIfEEEv20rocsparse_direction_iiiiii21rocsparse_index_base_PKT3_PKiS9_S4_PS5_PiSB_ ; -- Begin function _ZN9rocsparseL44csr2gebsr_wavefront_per_row_multipass_kernelILi256ELi4ELi64ELi32E21rocsparse_complex_numIfEEEv20rocsparse_direction_iiiiii21rocsparse_index_base_PKT3_PKiS9_S4_PS5_PiSB_
	.p2align	8
	.type	_ZN9rocsparseL44csr2gebsr_wavefront_per_row_multipass_kernelILi256ELi4ELi64ELi32E21rocsparse_complex_numIfEEEv20rocsparse_direction_iiiiii21rocsparse_index_base_PKT3_PKiS9_S4_PS5_PiSB_,@function
_ZN9rocsparseL44csr2gebsr_wavefront_per_row_multipass_kernelILi256ELi4ELi64ELi32E21rocsparse_complex_numIfEEEv20rocsparse_direction_iiiiii21rocsparse_index_base_PKT3_PKiS9_S4_PS5_PiSB_: ; @_ZN9rocsparseL44csr2gebsr_wavefront_per_row_multipass_kernelILi256ELi4ELi64ELi32E21rocsparse_complex_numIfEEEv20rocsparse_direction_iiiiii21rocsparse_index_base_PKT3_PKiS9_S4_PS5_PiSB_
; %bb.0:
	s_clause 0x1
	s_load_b128 s[8:11], s[0:1], 0xc
	s_load_b64 s[4:5], s[0:1], 0x0
	s_bfe_u32 s2, ttmp6, 0x4000c
	s_and_b32 s3, ttmp6, 15
	s_add_co_i32 s2, s2, 1
	s_getreg_b32 s6, hwreg(HW_REG_IB_STS2, 6, 4)
	s_mul_i32 s2, ttmp9, s2
	v_dual_lshrrev_b32 v32, 5, v0 :: v_dual_mov_b32 v2, 0
	s_add_co_i32 s3, s3, s2
	s_cmp_eq_u32 s6, 0
	v_bfe_u32 v3, v0, 3, 2
	s_cselect_b32 s2, ttmp9, s3
	s_clause 0x1
	s_load_b32 s24, s[0:1], 0x1c
	s_load_b64 s[6:7], s[0:1], 0x28
	v_lshl_or_b32 v1, s2, 3, v32
	v_mov_b32_e32 v30, 0
	s_wait_kmcnt 0x0
	s_delay_alu instid0(VALU_DEP_2) | instskip(SKIP_1) | instid1(VALU_DEP_2)
	v_mad_u32 v4, v1, s10, v3
	v_cmp_gt_i32_e32 vcc_lo, s10, v3
	v_cmp_gt_i32_e64 s2, s5, v4
	s_and_b32 s2, vcc_lo, s2
	s_delay_alu instid0(SALU_CYCLE_1)
	s_and_saveexec_b32 s3, s2
	s_cbranch_execz .LBB141_2
; %bb.1:
	global_load_b32 v5, v4, s[6:7] scale_offset
	s_wait_loadcnt 0x0
	v_subrev_nc_u32_e32 v30, s24, v5
.LBB141_2:
	s_or_b32 exec_lo, exec_lo, s3
	v_mov_b32_e32 v33, 0
	s_and_saveexec_b32 s3, s2
	s_cbranch_execz .LBB141_4
; %bb.3:
	global_load_b32 v4, v4, s[6:7] offset:4 scale_offset
	s_wait_loadcnt 0x0
	v_subrev_nc_u32_e32 v33, s24, v4
.LBB141_4:
	s_or_b32 exec_lo, exec_lo, s3
	s_load_b32 s25, s[0:1], 0x38
	s_mov_b32 s3, exec_lo
	v_cmpx_gt_i32_e64 s8, v1
	s_cbranch_execz .LBB141_6
; %bb.5:
	s_load_b64 s[6:7], s[0:1], 0x48
	s_wait_kmcnt 0x0
	global_load_b32 v1, v1, s[6:7] scale_offset
	s_wait_loadcnt 0x0
	v_subrev_nc_u32_e32 v2, s25, v1
.LBB141_6:
	s_or_b32 exec_lo, exec_lo, s3
	s_cmp_lt_i32 s9, 1
	s_cbranch_scc1 .LBB141_61
; %bb.7:
	v_dual_lshlrev_b32 v1, 9, v3 :: v_dual_bitop2_b32 v34, 7, v0 bitop3:0x40
	v_mbcnt_lo_u32_b32 v6, -1, 0
	s_clause 0x3
	s_load_b64 s[12:13], s[0:1], 0x50
	s_load_b64 s[2:3], s[0:1], 0x40
	s_load_b64 s[14:15], s[0:1], 0x20
	s_load_b64 s[16:17], s[0:1], 0x30
	s_cmp_lg_u32 s4, 0
	v_lshl_or_b32 v35, v32, 11, v1
	s_mov_b32 s19, 0
	v_xor_b32_e32 v1, 2, v6
	v_xor_b32_e32 v0, 4, v6
	s_cselect_b32 s8, -1, 0
	s_mov_b32 s18, s10
	s_ashr_i32 s21, s11, 31
	s_mov_b32 s20, s11
	s_wait_xcnt 0x0
	v_cmp_gt_i32_e64 s0, 32, v0
	s_mul_u64 s[22:23], s[20:21], s[18:19]
	s_lshl_b32 s18, s10, 3
	v_lshl_or_b32 v39, v6, 2, 28
	v_mov_b64_e32 v[24:25], 0
	v_dual_cndmask_b32 v0, v6, v0, s0 :: v_dual_bitop2_b32 v4, 1, v6 bitop3:0x14
	v_cmp_gt_i32_e64 s0, 32, v1
	v_dual_mov_b32 v45, 1 :: v_dual_bitop2_b32 v44, -8, v34 bitop3:0x54
	s_delay_alu instid0(VALU_DEP_3) | instskip(NEXT) | instid1(VALU_DEP_3)
	v_dual_lshlrev_b32 v36, 2, v0 :: v_dual_lshlrev_b32 v0, 3, v3
	v_cndmask_b32_e64 v1, v6, v1, s0
	v_cmp_gt_i32_e64 s0, 32, v4
	v_dual_mov_b32 v47, 0 :: v_dual_bitop2_b32 v7, 16, v6 bitop3:0x14
	v_mov_b32_e32 v43, 0x7c
	s_delay_alu instid0(VALU_DEP_3) | instskip(SKIP_2) | instid1(VALU_DEP_3)
	v_dual_lshlrev_b32 v37, 2, v1 :: v_dual_cndmask_b32 v5, v6, v4, s0
	v_mul_lo_u32 v4, s11, v3
	v_dual_mov_b32 v1, 0 :: v_dual_lshlrev_b32 v8, 3, v34
	v_dual_lshlrev_b32 v38, 2, v5 :: v_dual_bitop2_b32 v3, 8, v6 bitop3:0x14
	v_cmp_gt_i32_e64 s0, 32, v7
	s_delay_alu instid0(VALU_DEP_3) | instskip(SKIP_4) | instid1(VALU_DEP_2)
	v_dual_mov_b32 v9, v1 :: v_dual_bitop2_b32 v40, v35, v8 bitop3:0x54
	v_dual_mov_b32 v19, v1 :: v_dual_mov_b32 v13, v1
	v_dual_mov_b32 v17, v1 :: v_dual_ashrrev_i32 v5, 31, v4
	v_dual_mov_b32 v21, v1 :: v_dual_mov_b32 v23, v1
	s_wait_kmcnt 0x0
	v_lshl_add_u64 v[10:11], v[4:5], 3, s[2:3]
	v_mul_lo_u32 v4, v34, s10
	v_cndmask_b32_e64 v5, v6, v7, s0
	v_cmp_gt_i32_e64 s0, 32, v3
	s_abs_i32 s10, s11
	v_add_nc_u64_e32 v[8:9], v[10:11], v[8:9]
	s_cvt_f32_u32 s5, s10
	v_dual_mov_b32 v11, v1 :: v_dual_cndmask_b32 v3, v6, v3, s0
	v_lshlrev_b32_e32 v41, 2, v5
	v_add_nc_u64_e32 v[6:7], s[2:3], v[0:1]
	v_dual_add_nc_u32 v10, s18, v4 :: v_dual_bitop2_b32 v0, 8, v34 bitop3:0x54
	v_rcp_iflag_f32_e32 v22, s5
	v_dual_mov_b32 v5, v1 :: v_dual_lshlrev_b32 v42, 2, v3
	v_or_b32_e32 v3, 16, v34
	s_delay_alu instid0(VALU_DEP_3)
	v_add_nc_u32_e32 v12, s18, v10
	v_cmp_gt_u32_e64 s1, s11, v0
	v_or_b32_e32 v0, 24, v34
	v_cmp_gt_u32_e64 s0, s11, v34
	v_readfirstlane_b32 s26, v22
	v_dual_mov_b32 v15, v1 :: v_dual_add_nc_u32 v14, s18, v12
	v_cmp_gt_u32_e64 s2, s11, v3
	v_or_b32_e32 v3, 32, v34
	v_cmp_gt_u32_e64 s3, s11, v0
	s_delay_alu instid0(VALU_DEP_4)
	v_add_nc_u32_e32 v16, s18, v14
	v_or_b32_e32 v0, 40, v34
	s_and_b32 s20, s0, vcc_lo
	s_mul_f32 s0, s26, 0x4f7ffffe
	v_cmp_gt_u32_e64 s4, s11, v3
	v_dual_add_nc_u32 v18, s18, v16 :: v_dual_bitop2_b32 v3, 48, v34 bitop3:0x54
	v_cmp_gt_u32_e64 s5, s11, v0
	v_or_b32_e32 v0, 56, v34
	s_cvt_u32_f32 s0, s0
	v_add_nc_u32_e32 v20, s18, v18
	v_cmp_gt_u32_e64 s6, s11, v3
	s_and_b32 s1, vcc_lo, s1
	v_cmp_gt_u32_e64 s7, s11, v0
	s_and_b32 s2, vcc_lo, s2
	v_add_nc_u32_e32 v22, s18, v20
	s_sub_co_i32 s18, 0, s10
	s_and_b32 s3, vcc_lo, s3
	s_mul_i32 s18, s18, s0
	s_and_b32 s4, vcc_lo, s4
	s_mul_hi_u32 s18, s0, s18
	s_and_b32 s5, vcc_lo, s5
	s_and_b32 s6, vcc_lo, s6
	;; [unrolled: 1-line block ×3, first 2 shown]
	s_add_co_i32 s18, s0, s18
	s_mov_b32 s26, s19
	s_branch .LBB141_10
.LBB141_8:                              ;   in Loop: Header=BB141_10 Depth=1
	s_wait_xcnt 0x0
	s_or_b32 exec_lo, exec_lo, s27
	v_mov_b32_e32 v0, 1
.LBB141_9:                              ;   in Loop: Header=BB141_10 Depth=1
	s_or_b32 exec_lo, exec_lo, s0
	ds_bpermute_b32 v3, v41, v46
	s_wait_storecnt_dscnt 0x0
	v_add_nc_u32_e32 v2, v0, v2
	v_min_i32_e32 v3, v3, v46
	ds_bpermute_b32 v26, v42, v3
	s_wait_dscnt 0x0
	v_min_i32_e32 v3, v26, v3
	ds_bpermute_b32 v26, v36, v3
	s_wait_dscnt 0x0
	;; [unrolled: 3-line block ×5, first 2 shown]
	v_cmp_le_i32_e32 vcc_lo, s9, v47
	s_or_b32 s26, vcc_lo, s26
	s_delay_alu instid0(SALU_CYCLE_1)
	s_and_not1_b32 exec_lo, exec_lo, s26
	s_cbranch_execz .LBB141_61
.LBB141_10:                             ; =>This Loop Header: Depth=1
                                        ;     Child Loop BB141_11 Depth 2
                                        ;     Child Loop BB141_15 Depth 2
	v_dual_mov_b32 v0, v40 :: v_dual_mov_b32 v3, v44
	s_mov_b32 s0, 0
	ds_store_b8 v32, v1 offset:16384
.LBB141_11:                             ;   Parent Loop BB141_10 Depth=1
                                        ; =>  This Inner Loop Header: Depth=2
	v_add_nc_u32_e32 v3, 8, v3
	ds_store_b64 v0, v[24:25]
	v_add_nc_u32_e32 v0, 64, v0
	v_cmp_lt_u32_e32 vcc_lo, 55, v3
	s_or_b32 s0, vcc_lo, s0
	s_delay_alu instid0(SALU_CYCLE_1)
	s_and_not1_b32 exec_lo, exec_lo, s0
	s_cbranch_execnz .LBB141_11
; %bb.12:                               ;   in Loop: Header=BB141_10 Depth=1
	s_or_b32 exec_lo, exec_lo, s0
	v_dual_add_nc_u32 v26, v30, v34 :: v_dual_mov_b32 v46, s9
	v_mov_b32_e32 v27, v33
	s_mov_b32 s27, exec_lo
	s_wait_dscnt 0x0
	s_delay_alu instid0(VALU_DEP_2)
	v_cmpx_lt_i32_e64 v26, v33
	s_cbranch_execz .LBB141_20
; %bb.13:                               ;   in Loop: Header=BB141_10 Depth=1
	v_mul_lo_u32 v3, v47, s11
	v_dual_mov_b32 v46, s9 :: v_dual_ashrrev_i32 v27, 31, v26
	s_mov_b32 s28, 0
	s_delay_alu instid0(VALU_DEP_1)
	v_lshl_add_u64 v[28:29], v[26:27], 2, s[16:17]
	v_lshl_add_u64 v[30:31], v[26:27], 3, s[14:15]
	v_mov_b32_e32 v27, v33
	s_branch .LBB141_15
.LBB141_14:                             ;   in Loop: Header=BB141_15 Depth=2
	s_wait_xcnt 0x0
	s_or_b32 exec_lo, exec_lo, s0
	v_add_nc_u32_e32 v26, 8, v26
	s_xor_b32 s29, vcc_lo, -1
	v_add_nc_u64_e32 v[28:29], 32, v[28:29]
	v_add_nc_u64_e32 v[30:31], 64, v[30:31]
	s_delay_alu instid0(VALU_DEP_3) | instskip(SKIP_1) | instid1(SALU_CYCLE_1)
	v_cmp_ge_i32_e64 s0, v26, v33
	s_or_b32 s0, s29, s0
	s_and_b32 s0, exec_lo, s0
	s_delay_alu instid0(SALU_CYCLE_1) | instskip(NEXT) | instid1(SALU_CYCLE_1)
	s_or_b32 s28, s0, s28
	s_and_not1_b32 exec_lo, exec_lo, s28
	s_cbranch_execz .LBB141_19
.LBB141_15:                             ;   Parent Loop BB141_10 Depth=1
                                        ; =>  This Inner Loop Header: Depth=2
	global_load_b32 v0, v[28:29], off
	s_wait_loadcnt 0x0
	v_subrev_nc_u32_e32 v48, s24, v0
	s_delay_alu instid0(VALU_DEP_1) | instskip(NEXT) | instid1(VALU_DEP_1)
	v_sub_nc_u32_e32 v0, 0, v48
	v_max_i32_e32 v0, v48, v0
	s_delay_alu instid0(VALU_DEP_1) | instskip(NEXT) | instid1(VALU_DEP_1)
	v_mul_u64_e32 v[50:51], s[18:19], v[0:1]
	v_mul_lo_u32 v49, v51, s10
	s_delay_alu instid0(VALU_DEP_1) | instskip(NEXT) | instid1(VALU_DEP_1)
	v_dual_sub_nc_u32 v0, v0, v49 :: v_dual_add_nc_u32 v49, 1, v51
	v_cmp_le_u32_e32 vcc_lo, s10, v0
	s_delay_alu instid0(VALU_DEP_2) | instskip(SKIP_1) | instid1(VALU_DEP_1)
	v_dual_cndmask_b32 v49, v51, v49, vcc_lo :: v_dual_ashrrev_i32 v51, 31, v48
	v_subrev_nc_u32_e32 v50, s10, v0
	v_dual_cndmask_b32 v0, v0, v50, vcc_lo :: v_dual_add_nc_u32 v50, 1, v49
	s_delay_alu instid0(VALU_DEP_1) | instskip(NEXT) | instid1(VALU_DEP_2)
	v_cmp_le_u32_e32 vcc_lo, s10, v0
	v_dual_cndmask_b32 v0, v49, v50, vcc_lo :: v_dual_bitop2_b32 v51, s21, v51 bitop3:0x14
	s_delay_alu instid0(VALU_DEP_1) | instskip(NEXT) | instid1(VALU_DEP_1)
	v_xor_b32_e32 v0, v0, v51
	v_dual_mov_b32 v0, v27 :: v_dual_sub_nc_u32 v49, v0, v51
	s_delay_alu instid0(VALU_DEP_1) | instskip(SKIP_3) | instid1(SALU_CYCLE_1)
	v_cmp_ne_u32_e64 s0, v49, v47
	v_cmp_eq_u32_e32 vcc_lo, v49, v47
	s_wait_xcnt 0x0
	s_and_saveexec_b32 s29, s0
	s_xor_b32 s0, exec_lo, s29
; %bb.16:                               ;   in Loop: Header=BB141_15 Depth=2
	v_min_i32_e32 v46, v49, v46
                                        ; implicit-def: $vgpr48
                                        ; implicit-def: $vgpr0
; %bb.17:                               ;   in Loop: Header=BB141_15 Depth=2
	s_or_saveexec_b32 s0, s0
	v_mov_b32_e32 v27, v26
	s_xor_b32 exec_lo, exec_lo, s0
	s_cbranch_execz .LBB141_14
; %bb.18:                               ;   in Loop: Header=BB141_15 Depth=2
	global_load_b64 v[50:51], v[30:31], off
	v_sub_nc_u32_e32 v27, v48, v3
	s_delay_alu instid0(VALU_DEP_1)
	v_lshl_add_u32 v48, v27, 3, v35
	v_mov_b32_e32 v27, v0
	ds_store_b8 v32, v45 offset:16384
	s_wait_loadcnt 0x0
	ds_store_b64 v48, v[50:51]
	s_branch .LBB141_14
.LBB141_19:                             ;   in Loop: Header=BB141_10 Depth=1
	s_or_b32 exec_lo, exec_lo, s28
.LBB141_20:                             ;   in Loop: Header=BB141_10 Depth=1
	s_delay_alu instid0(SALU_CYCLE_1)
	s_or_b32 exec_lo, exec_lo, s27
	ds_bpermute_b32 v0, v36, v27
	s_wait_dscnt 0x0
	ds_load_u8 v26, v32 offset:16384
	v_min_i32_e32 v0, v0, v27
	ds_bpermute_b32 v3, v37, v0
	s_wait_dscnt 0x0
	v_min_i32_e32 v0, v3, v0
	ds_bpermute_b32 v3, v38, v0
	s_wait_dscnt 0x0
	v_min_i32_e32 v0, v3, v0
	ds_bpermute_b32 v30, v39, v0
	v_and_b32_e32 v0, 1, v26
	s_delay_alu instid0(VALU_DEP_1)
	v_cmp_eq_u32_e32 vcc_lo, 1, v0
	v_mov_b32_e32 v0, 0
	s_and_saveexec_b32 s0, vcc_lo
	s_cbranch_execz .LBB141_9
; %bb.21:                               ;   in Loop: Header=BB141_10 Depth=1
	v_dual_ashrrev_i32 v3, 31, v2 :: v_dual_add_nc_u32 v0, s25, v47
	s_delay_alu instid0(VALU_DEP_1) | instskip(SKIP_2) | instid1(VALU_DEP_1)
	v_mul_u64_e32 v[26:27], s[22:23], v[2:3]
	global_store_b32 v2, v0, s[12:13] scale_offset
	v_lshlrev_b64_e32 v[26:27], 3, v[26:27]
	v_add_nc_u64_e32 v[28:29], v[6:7], v[26:27]
	v_add_nc_u64_e32 v[26:27], v[8:9], v[26:27]
	s_wait_xcnt 0x0
	s_and_saveexec_b32 s27, s20
	s_cbranch_execz .LBB141_25
; %bb.22:                               ;   in Loop: Header=BB141_10 Depth=1
	s_and_b32 vcc_lo, exec_lo, s8
	s_cbranch_vccz .LBB141_52
; %bb.23:                               ;   in Loop: Header=BB141_10 Depth=1
	ds_load_b64 v[48:49], v40
	v_lshl_add_u64 v[50:51], v[4:5], 3, v[28:29]
	s_wait_dscnt 0x0
	global_store_b64 v[50:51], v[48:49], off
	s_cbranch_execnz .LBB141_25
.LBB141_24:                             ;   in Loop: Header=BB141_10 Depth=1
	s_wait_xcnt 0x0
	ds_load_b64 v[48:49], v40
	s_wait_dscnt 0x0
	global_store_b64 v[26:27], v[48:49], off
.LBB141_25:                             ;   in Loop: Header=BB141_10 Depth=1
	s_wait_xcnt 0x0
	s_or_b32 exec_lo, exec_lo, s27
	s_and_saveexec_b32 s27, s1
	s_cbranch_execz .LBB141_29
; %bb.26:                               ;   in Loop: Header=BB141_10 Depth=1
	s_and_not1_b32 vcc_lo, exec_lo, s8
	s_cbranch_vccnz .LBB141_53
; %bb.27:                               ;   in Loop: Header=BB141_10 Depth=1
	ds_load_b64 v[48:49], v40 offset:64
	v_lshl_add_u64 v[50:51], v[10:11], 3, v[28:29]
	s_wait_dscnt 0x0
	global_store_b64 v[50:51], v[48:49], off
	s_cbranch_execnz .LBB141_29
.LBB141_28:                             ;   in Loop: Header=BB141_10 Depth=1
	s_wait_xcnt 0x0
	ds_load_b64 v[48:49], v40 offset:64
	s_wait_dscnt 0x0
	global_store_b64 v[26:27], v[48:49], off offset:64
.LBB141_29:                             ;   in Loop: Header=BB141_10 Depth=1
	s_wait_xcnt 0x0
	s_or_b32 exec_lo, exec_lo, s27
	s_and_saveexec_b32 s27, s2
	s_cbranch_execz .LBB141_33
; %bb.30:                               ;   in Loop: Header=BB141_10 Depth=1
	s_and_not1_b32 vcc_lo, exec_lo, s8
	s_cbranch_vccnz .LBB141_54
; %bb.31:                               ;   in Loop: Header=BB141_10 Depth=1
	ds_load_b64 v[48:49], v40 offset:128
	v_lshl_add_u64 v[50:51], v[12:13], 3, v[28:29]
	s_wait_dscnt 0x0
	global_store_b64 v[50:51], v[48:49], off
	s_cbranch_execnz .LBB141_33
.LBB141_32:                             ;   in Loop: Header=BB141_10 Depth=1
	s_wait_xcnt 0x0
	ds_load_b64 v[48:49], v40 offset:128
	s_wait_dscnt 0x0
	global_store_b64 v[26:27], v[48:49], off offset:128
.LBB141_33:                             ;   in Loop: Header=BB141_10 Depth=1
	s_wait_xcnt 0x0
	s_or_b32 exec_lo, exec_lo, s27
	s_and_saveexec_b32 s27, s3
	s_cbranch_execz .LBB141_37
; %bb.34:                               ;   in Loop: Header=BB141_10 Depth=1
	s_and_not1_b32 vcc_lo, exec_lo, s8
	s_cbranch_vccnz .LBB141_55
; %bb.35:                               ;   in Loop: Header=BB141_10 Depth=1
	ds_load_b64 v[48:49], v40 offset:192
	v_lshl_add_u64 v[50:51], v[14:15], 3, v[28:29]
	s_wait_dscnt 0x0
	global_store_b64 v[50:51], v[48:49], off
	s_cbranch_execnz .LBB141_37
.LBB141_36:                             ;   in Loop: Header=BB141_10 Depth=1
	s_wait_xcnt 0x0
	ds_load_b64 v[48:49], v40 offset:192
	s_wait_dscnt 0x0
	global_store_b64 v[26:27], v[48:49], off offset:192
.LBB141_37:                             ;   in Loop: Header=BB141_10 Depth=1
	s_wait_xcnt 0x0
	s_or_b32 exec_lo, exec_lo, s27
	s_and_saveexec_b32 s27, s4
	s_cbranch_execz .LBB141_41
; %bb.38:                               ;   in Loop: Header=BB141_10 Depth=1
	s_and_not1_b32 vcc_lo, exec_lo, s8
	s_cbranch_vccnz .LBB141_56
; %bb.39:                               ;   in Loop: Header=BB141_10 Depth=1
	ds_load_b64 v[48:49], v40 offset:256
	v_lshl_add_u64 v[50:51], v[16:17], 3, v[28:29]
	s_wait_dscnt 0x0
	global_store_b64 v[50:51], v[48:49], off
	s_cbranch_execnz .LBB141_41
.LBB141_40:                             ;   in Loop: Header=BB141_10 Depth=1
	s_wait_xcnt 0x0
	ds_load_b64 v[48:49], v40 offset:256
	s_wait_dscnt 0x0
	global_store_b64 v[26:27], v[48:49], off offset:256
.LBB141_41:                             ;   in Loop: Header=BB141_10 Depth=1
	s_wait_xcnt 0x0
	s_or_b32 exec_lo, exec_lo, s27
	s_and_saveexec_b32 s27, s5
	s_cbranch_execz .LBB141_45
; %bb.42:                               ;   in Loop: Header=BB141_10 Depth=1
	s_and_not1_b32 vcc_lo, exec_lo, s8
	s_cbranch_vccnz .LBB141_57
; %bb.43:                               ;   in Loop: Header=BB141_10 Depth=1
	ds_load_b64 v[48:49], v40 offset:320
	v_lshl_add_u64 v[50:51], v[18:19], 3, v[28:29]
	s_wait_dscnt 0x0
	global_store_b64 v[50:51], v[48:49], off
	s_cbranch_execnz .LBB141_45
.LBB141_44:                             ;   in Loop: Header=BB141_10 Depth=1
	s_wait_xcnt 0x0
	ds_load_b64 v[48:49], v40 offset:320
	s_wait_dscnt 0x0
	global_store_b64 v[26:27], v[48:49], off offset:320
.LBB141_45:                             ;   in Loop: Header=BB141_10 Depth=1
	s_wait_xcnt 0x0
	s_or_b32 exec_lo, exec_lo, s27
	s_and_saveexec_b32 s27, s6
	s_cbranch_execz .LBB141_49
; %bb.46:                               ;   in Loop: Header=BB141_10 Depth=1
	s_and_not1_b32 vcc_lo, exec_lo, s8
	s_cbranch_vccnz .LBB141_58
; %bb.47:                               ;   in Loop: Header=BB141_10 Depth=1
	ds_load_b64 v[48:49], v40 offset:384
	v_lshl_add_u64 v[50:51], v[20:21], 3, v[28:29]
	s_wait_dscnt 0x0
	global_store_b64 v[50:51], v[48:49], off
	s_cbranch_execnz .LBB141_49
.LBB141_48:                             ;   in Loop: Header=BB141_10 Depth=1
	s_wait_xcnt 0x0
	ds_load_b64 v[48:49], v40 offset:384
	s_wait_dscnt 0x0
	global_store_b64 v[26:27], v[48:49], off offset:384
.LBB141_49:                             ;   in Loop: Header=BB141_10 Depth=1
	s_wait_xcnt 0x0
	s_or_b32 exec_lo, exec_lo, s27
	s_and_saveexec_b32 s27, s7
	s_cbranch_execz .LBB141_8
; %bb.50:                               ;   in Loop: Header=BB141_10 Depth=1
	s_and_not1_b32 vcc_lo, exec_lo, s8
	s_cbranch_vccnz .LBB141_59
; %bb.51:                               ;   in Loop: Header=BB141_10 Depth=1
	ds_load_b64 v[48:49], v40 offset:448
	v_lshl_add_u64 v[28:29], v[22:23], 3, v[28:29]
	s_wait_dscnt 0x0
	global_store_b64 v[28:29], v[48:49], off
	s_cbranch_execnz .LBB141_8
	s_branch .LBB141_60
.LBB141_52:                             ;   in Loop: Header=BB141_10 Depth=1
	s_branch .LBB141_24
.LBB141_53:                             ;   in Loop: Header=BB141_10 Depth=1
	s_branch .LBB141_28
.LBB141_54:                             ;   in Loop: Header=BB141_10 Depth=1
	s_branch .LBB141_32
.LBB141_55:                             ;   in Loop: Header=BB141_10 Depth=1
	s_branch .LBB141_36
.LBB141_56:                             ;   in Loop: Header=BB141_10 Depth=1
	s_branch .LBB141_40
.LBB141_57:                             ;   in Loop: Header=BB141_10 Depth=1
	s_branch .LBB141_44
.LBB141_58:                             ;   in Loop: Header=BB141_10 Depth=1
	s_branch .LBB141_48
.LBB141_59:                             ;   in Loop: Header=BB141_10 Depth=1
.LBB141_60:                             ;   in Loop: Header=BB141_10 Depth=1
	s_wait_xcnt 0x0
	ds_load_b64 v[28:29], v40 offset:448
	s_wait_dscnt 0x0
	global_store_b64 v[26:27], v[28:29], off offset:448
	s_branch .LBB141_8
.LBB141_61:
	s_endpgm
	.section	.rodata,"a",@progbits
	.p2align	6, 0x0
	.amdhsa_kernel _ZN9rocsparseL44csr2gebsr_wavefront_per_row_multipass_kernelILi256ELi4ELi64ELi32E21rocsparse_complex_numIfEEEv20rocsparse_direction_iiiiii21rocsparse_index_base_PKT3_PKiS9_S4_PS5_PiSB_
		.amdhsa_group_segment_fixed_size 16392
		.amdhsa_private_segment_fixed_size 0
		.amdhsa_kernarg_size 88
		.amdhsa_user_sgpr_count 2
		.amdhsa_user_sgpr_dispatch_ptr 0
		.amdhsa_user_sgpr_queue_ptr 0
		.amdhsa_user_sgpr_kernarg_segment_ptr 1
		.amdhsa_user_sgpr_dispatch_id 0
		.amdhsa_user_sgpr_kernarg_preload_length 0
		.amdhsa_user_sgpr_kernarg_preload_offset 0
		.amdhsa_user_sgpr_private_segment_size 0
		.amdhsa_wavefront_size32 1
		.amdhsa_uses_dynamic_stack 0
		.amdhsa_enable_private_segment 0
		.amdhsa_system_sgpr_workgroup_id_x 1
		.amdhsa_system_sgpr_workgroup_id_y 0
		.amdhsa_system_sgpr_workgroup_id_z 0
		.amdhsa_system_sgpr_workgroup_info 0
		.amdhsa_system_vgpr_workitem_id 0
		.amdhsa_next_free_vgpr 52
		.amdhsa_next_free_sgpr 30
		.amdhsa_named_barrier_count 0
		.amdhsa_reserve_vcc 1
		.amdhsa_float_round_mode_32 0
		.amdhsa_float_round_mode_16_64 0
		.amdhsa_float_denorm_mode_32 3
		.amdhsa_float_denorm_mode_16_64 3
		.amdhsa_fp16_overflow 0
		.amdhsa_memory_ordered 1
		.amdhsa_forward_progress 1
		.amdhsa_inst_pref_size 19
		.amdhsa_round_robin_scheduling 0
		.amdhsa_exception_fp_ieee_invalid_op 0
		.amdhsa_exception_fp_denorm_src 0
		.amdhsa_exception_fp_ieee_div_zero 0
		.amdhsa_exception_fp_ieee_overflow 0
		.amdhsa_exception_fp_ieee_underflow 0
		.amdhsa_exception_fp_ieee_inexact 0
		.amdhsa_exception_int_div_zero 0
	.end_amdhsa_kernel
	.section	.text._ZN9rocsparseL44csr2gebsr_wavefront_per_row_multipass_kernelILi256ELi4ELi64ELi32E21rocsparse_complex_numIfEEEv20rocsparse_direction_iiiiii21rocsparse_index_base_PKT3_PKiS9_S4_PS5_PiSB_,"axG",@progbits,_ZN9rocsparseL44csr2gebsr_wavefront_per_row_multipass_kernelILi256ELi4ELi64ELi32E21rocsparse_complex_numIfEEEv20rocsparse_direction_iiiiii21rocsparse_index_base_PKT3_PKiS9_S4_PS5_PiSB_,comdat
.Lfunc_end141:
	.size	_ZN9rocsparseL44csr2gebsr_wavefront_per_row_multipass_kernelILi256ELi4ELi64ELi32E21rocsparse_complex_numIfEEEv20rocsparse_direction_iiiiii21rocsparse_index_base_PKT3_PKiS9_S4_PS5_PiSB_, .Lfunc_end141-_ZN9rocsparseL44csr2gebsr_wavefront_per_row_multipass_kernelILi256ELi4ELi64ELi32E21rocsparse_complex_numIfEEEv20rocsparse_direction_iiiiii21rocsparse_index_base_PKT3_PKiS9_S4_PS5_PiSB_
                                        ; -- End function
	.set _ZN9rocsparseL44csr2gebsr_wavefront_per_row_multipass_kernelILi256ELi4ELi64ELi32E21rocsparse_complex_numIfEEEv20rocsparse_direction_iiiiii21rocsparse_index_base_PKT3_PKiS9_S4_PS5_PiSB_.num_vgpr, 52
	.set _ZN9rocsparseL44csr2gebsr_wavefront_per_row_multipass_kernelILi256ELi4ELi64ELi32E21rocsparse_complex_numIfEEEv20rocsparse_direction_iiiiii21rocsparse_index_base_PKT3_PKiS9_S4_PS5_PiSB_.num_agpr, 0
	.set _ZN9rocsparseL44csr2gebsr_wavefront_per_row_multipass_kernelILi256ELi4ELi64ELi32E21rocsparse_complex_numIfEEEv20rocsparse_direction_iiiiii21rocsparse_index_base_PKT3_PKiS9_S4_PS5_PiSB_.numbered_sgpr, 30
	.set _ZN9rocsparseL44csr2gebsr_wavefront_per_row_multipass_kernelILi256ELi4ELi64ELi32E21rocsparse_complex_numIfEEEv20rocsparse_direction_iiiiii21rocsparse_index_base_PKT3_PKiS9_S4_PS5_PiSB_.num_named_barrier, 0
	.set _ZN9rocsparseL44csr2gebsr_wavefront_per_row_multipass_kernelILi256ELi4ELi64ELi32E21rocsparse_complex_numIfEEEv20rocsparse_direction_iiiiii21rocsparse_index_base_PKT3_PKiS9_S4_PS5_PiSB_.private_seg_size, 0
	.set _ZN9rocsparseL44csr2gebsr_wavefront_per_row_multipass_kernelILi256ELi4ELi64ELi32E21rocsparse_complex_numIfEEEv20rocsparse_direction_iiiiii21rocsparse_index_base_PKT3_PKiS9_S4_PS5_PiSB_.uses_vcc, 1
	.set _ZN9rocsparseL44csr2gebsr_wavefront_per_row_multipass_kernelILi256ELi4ELi64ELi32E21rocsparse_complex_numIfEEEv20rocsparse_direction_iiiiii21rocsparse_index_base_PKT3_PKiS9_S4_PS5_PiSB_.uses_flat_scratch, 0
	.set _ZN9rocsparseL44csr2gebsr_wavefront_per_row_multipass_kernelILi256ELi4ELi64ELi32E21rocsparse_complex_numIfEEEv20rocsparse_direction_iiiiii21rocsparse_index_base_PKT3_PKiS9_S4_PS5_PiSB_.has_dyn_sized_stack, 0
	.set _ZN9rocsparseL44csr2gebsr_wavefront_per_row_multipass_kernelILi256ELi4ELi64ELi32E21rocsparse_complex_numIfEEEv20rocsparse_direction_iiiiii21rocsparse_index_base_PKT3_PKiS9_S4_PS5_PiSB_.has_recursion, 0
	.set _ZN9rocsparseL44csr2gebsr_wavefront_per_row_multipass_kernelILi256ELi4ELi64ELi32E21rocsparse_complex_numIfEEEv20rocsparse_direction_iiiiii21rocsparse_index_base_PKT3_PKiS9_S4_PS5_PiSB_.has_indirect_call, 0
	.section	.AMDGPU.csdata,"",@progbits
; Kernel info:
; codeLenInByte = 2352
; TotalNumSgprs: 32
; NumVgprs: 52
; ScratchSize: 0
; MemoryBound: 0
; FloatMode: 240
; IeeeMode: 1
; LDSByteSize: 16392 bytes/workgroup (compile time only)
; SGPRBlocks: 0
; VGPRBlocks: 3
; NumSGPRsForWavesPerEU: 32
; NumVGPRsForWavesPerEU: 52
; NamedBarCnt: 0
; Occupancy: 16
; WaveLimiterHint : 0
; COMPUTE_PGM_RSRC2:SCRATCH_EN: 0
; COMPUTE_PGM_RSRC2:USER_SGPR: 2
; COMPUTE_PGM_RSRC2:TRAP_HANDLER: 0
; COMPUTE_PGM_RSRC2:TGID_X_EN: 1
; COMPUTE_PGM_RSRC2:TGID_Y_EN: 0
; COMPUTE_PGM_RSRC2:TGID_Z_EN: 0
; COMPUTE_PGM_RSRC2:TIDIG_COMP_CNT: 0
	.section	.text._ZN9rocsparseL44csr2gebsr_wavefront_per_row_multipass_kernelILi256ELi8ELi2ELi16E21rocsparse_complex_numIfEEEv20rocsparse_direction_iiiiii21rocsparse_index_base_PKT3_PKiS9_S4_PS5_PiSB_,"axG",@progbits,_ZN9rocsparseL44csr2gebsr_wavefront_per_row_multipass_kernelILi256ELi8ELi2ELi16E21rocsparse_complex_numIfEEEv20rocsparse_direction_iiiiii21rocsparse_index_base_PKT3_PKiS9_S4_PS5_PiSB_,comdat
	.globl	_ZN9rocsparseL44csr2gebsr_wavefront_per_row_multipass_kernelILi256ELi8ELi2ELi16E21rocsparse_complex_numIfEEEv20rocsparse_direction_iiiiii21rocsparse_index_base_PKT3_PKiS9_S4_PS5_PiSB_ ; -- Begin function _ZN9rocsparseL44csr2gebsr_wavefront_per_row_multipass_kernelILi256ELi8ELi2ELi16E21rocsparse_complex_numIfEEEv20rocsparse_direction_iiiiii21rocsparse_index_base_PKT3_PKiS9_S4_PS5_PiSB_
	.p2align	8
	.type	_ZN9rocsparseL44csr2gebsr_wavefront_per_row_multipass_kernelILi256ELi8ELi2ELi16E21rocsparse_complex_numIfEEEv20rocsparse_direction_iiiiii21rocsparse_index_base_PKT3_PKiS9_S4_PS5_PiSB_,@function
_ZN9rocsparseL44csr2gebsr_wavefront_per_row_multipass_kernelILi256ELi8ELi2ELi16E21rocsparse_complex_numIfEEEv20rocsparse_direction_iiiiii21rocsparse_index_base_PKT3_PKiS9_S4_PS5_PiSB_: ; @_ZN9rocsparseL44csr2gebsr_wavefront_per_row_multipass_kernelILi256ELi8ELi2ELi16E21rocsparse_complex_numIfEEEv20rocsparse_direction_iiiiii21rocsparse_index_base_PKT3_PKiS9_S4_PS5_PiSB_
; %bb.0:
	s_clause 0x1
	s_load_b128 s[4:7], s[0:1], 0xc
	s_load_b64 s[12:13], s[0:1], 0x0
	s_bfe_u32 s2, ttmp6, 0x4000c
	s_and_b32 s3, ttmp6, 15
	s_add_co_i32 s2, s2, 1
	s_getreg_b32 s8, hwreg(HW_REG_IB_STS2, 6, 4)
	s_mul_i32 s2, ttmp9, s2
	v_dual_lshrrev_b32 v18, 4, v0 :: v_dual_mov_b32 v2, 0
	s_add_co_i32 s3, s3, s2
	s_cmp_eq_u32 s8, 0
	v_bfe_u32 v1, v0, 1, 3
	s_cselect_b32 s2, ttmp9, s3
	s_clause 0x1
	s_load_b32 s16, s[0:1], 0x1c
	s_load_b64 s[8:9], s[0:1], 0x28
	v_lshl_or_b32 v3, s2, 4, v18
	v_mov_b32_e32 v8, 0
	s_wait_kmcnt 0x0
	s_delay_alu instid0(VALU_DEP_2) | instskip(SKIP_1) | instid1(VALU_DEP_2)
	v_mad_u32 v4, v3, s6, v1
	v_cmp_gt_i32_e32 vcc_lo, s6, v1
	v_cmp_gt_i32_e64 s2, s13, v4
	s_and_b32 s2, vcc_lo, s2
	s_delay_alu instid0(SALU_CYCLE_1)
	s_and_saveexec_b32 s3, s2
	s_cbranch_execz .LBB142_2
; %bb.1:
	global_load_b32 v5, v4, s[8:9] scale_offset
	s_wait_loadcnt 0x0
	v_subrev_nc_u32_e32 v8, s16, v5
.LBB142_2:
	s_or_b32 exec_lo, exec_lo, s3
	v_mov_b32_e32 v19, 0
	s_and_saveexec_b32 s3, s2
	s_cbranch_execz .LBB142_4
; %bb.3:
	global_load_b32 v4, v4, s[8:9] offset:4 scale_offset
	s_wait_loadcnt 0x0
	v_subrev_nc_u32_e32 v19, s16, v4
.LBB142_4:
	s_or_b32 exec_lo, exec_lo, s3
	s_load_b32 s17, s[0:1], 0x38
	s_mov_b32 s3, exec_lo
	v_cmpx_gt_i32_e64 s4, v3
	s_cbranch_execz .LBB142_6
; %bb.5:
	s_load_b64 s[8:9], s[0:1], 0x48
	s_wait_kmcnt 0x0
	global_load_b32 v2, v3, s[8:9] scale_offset
	s_wait_loadcnt 0x0
	v_subrev_nc_u32_e32 v2, s17, v2
.LBB142_6:
	s_or_b32 exec_lo, exec_lo, s3
	s_cmp_lt_i32 s5, 1
	s_cbranch_scc1 .LBB142_24
; %bb.7:
	v_mbcnt_lo_u32_b32 v3, -1, 0
	s_clause 0x3
	s_load_b64 s[2:3], s[0:1], 0x50
	s_load_b64 s[14:15], s[0:1], 0x40
	;; [unrolled: 1-line block ×4, first 2 shown]
	v_and_b32_e32 v5, 0xf0, v0
	v_dual_mov_b32 v28, 1 :: v_dual_bitop2_b32 v0, 1, v0 bitop3:0x40
	v_dual_lshlrev_b32 v6, 4, v1 :: v_dual_bitop2_b32 v4, 1, v3 bitop3:0x14
	v_lshlrev_b32_e32 v9, 2, v3
	s_mov_b32 s13, 0
	s_wait_xcnt 0x0
	s_delay_alu instid0(VALU_DEP_2) | instskip(SKIP_3) | instid1(VALU_DEP_4)
	v_cmp_gt_i32_e64 s0, 32, v4
	v_lshl_or_b32 v20, v5, 3, v6
	v_mul_lo_u32 v6, s7, v1
	v_dual_lshlrev_b32 v10, 3, v0 :: v_dual_bitop2_b32 v22, 4, v9 bitop3:0x54
	v_cndmask_b32_e64 v4, v3, v4, s0
	v_cmp_gt_u32_e64 s0, s7, v0
	v_dual_mov_b32 v5, 0 :: v_dual_bitop2_b32 v27, 60, v9 bitop3:0x54
	s_delay_alu instid0(VALU_DEP_3)
	v_lshlrev_b32_e32 v21, 2, v4
	v_mul_lo_u32 v4, s6, v0
	s_and_b32 s4, vcc_lo, s0
	v_ashrrev_i32_e32 v7, 31, v6
	v_or_b32_e32 v23, v20, v10
	s_cmp_lg_u32 s12, 0
	s_mov_b32 s12, s6
	s_cselect_b32 s18, -1, 0
	s_abs_i32 s6, s7
	s_wait_kmcnt 0x0
	v_lshl_add_u64 v[14:15], v[6:7], 3, s[14:15]
	s_cvt_f32_u32 s19, s6
	v_mov_b32_e32 v11, v5
	v_lshl_add_u64 v[12:13], v[4:5], 3, s[14:15]
	v_lshlrev_b32_e32 v4, 3, v1
	v_rcp_iflag_f32_e32 v16, s19
	v_mov_b32_e32 v1, v5
	v_add_nc_u64_e32 v[10:11], v[14:15], v[10:11]
	s_ashr_i32 s1, s7, 31
	v_add_nc_u64_e32 v[6:7], v[12:13], v[4:5]
	v_xor_b32_e32 v12, 4, v3
	v_xor_b32_e32 v4, 8, v3
	v_readfirstlane_b32 s14, v16
	s_mov_b32 s0, s7
	v_cmp_gt_i32_e32 vcc_lo, 32, v4
	s_mul_f32 s14, s14, 0x4f7ffffe
	v_dual_cndmask_b32 v4, v3, v4, vcc_lo :: v_dual_bitop2_b32 v13, 2, v3 bitop3:0x14
	v_cmp_gt_i32_e32 vcc_lo, 32, v12
	s_delay_alu instid0(SALU_CYCLE_1) | instskip(SKIP_1) | instid1(VALU_DEP_2)
	s_cvt_u32_f32 s19, s14
	s_sub_co_i32 s14, 0, s6
	v_lshlrev_b32_e32 v24, 2, v4
	v_cndmask_b32_e32 v12, v3, v12, vcc_lo
	v_cmp_gt_i32_e32 vcc_lo, 32, v13
	s_mul_i32 s14, s14, s19
	s_delay_alu instid0(SALU_CYCLE_1) | instskip(NEXT) | instid1(VALU_DEP_2)
	s_mul_hi_u32 s20, s19, s14
	v_dual_lshlrev_b32 v25, 2, v12 :: v_dual_cndmask_b32 v3, v3, v13, vcc_lo
	v_mov_b64_e32 v[12:13], 0
	s_mul_u64 s[14:15], s[0:1], s[12:13]
	s_add_co_i32 s12, s19, s20
	s_mov_b32 s19, s13
	v_dual_mov_b32 v3, 0 :: v_dual_lshlrev_b32 v26, 2, v3
	s_branch .LBB142_10
.LBB142_8:                              ;   in Loop: Header=BB142_10 Depth=1
	s_wait_xcnt 0x0
	s_or_b32 exec_lo, exec_lo, s20
	v_mov_b32_e32 v4, 1
.LBB142_9:                              ;   in Loop: Header=BB142_10 Depth=1
	s_or_b32 exec_lo, exec_lo, s0
	ds_bpermute_b32 v3, v24, v29
	s_wait_storecnt_dscnt 0x0
	v_dual_add_nc_u32 v2, v4, v2 :: v_dual_min_i32 v3, v3, v29
	ds_bpermute_b32 v9, v25, v3
	s_wait_dscnt 0x0
	v_min_i32_e32 v3, v9, v3
	ds_bpermute_b32 v9, v26, v3
	s_wait_dscnt 0x0
	v_min_i32_e32 v3, v9, v3
	;; [unrolled: 3-line block ×3, first 2 shown]
	ds_bpermute_b32 v3, v27, v3
	s_wait_dscnt 0x0
	v_cmp_le_i32_e32 vcc_lo, s5, v3
	s_or_b32 s19, vcc_lo, s19
	s_delay_alu instid0(SALU_CYCLE_1)
	s_and_not1_b32 exec_lo, exec_lo, s19
	s_cbranch_execz .LBB142_24
.LBB142_10:                             ; =>This Loop Header: Depth=1
                                        ;     Child Loop BB142_13 Depth 2
	v_dual_mov_b32 v29, s5 :: v_dual_add_nc_u32 v16, v8, v0
	v_mov_b32_e32 v30, v19
	s_mov_b32 s20, exec_lo
	ds_store_b8 v18, v5 offset:2048
	ds_store_b64 v23, v[12:13]
	s_wait_dscnt 0x0
	v_cmpx_lt_i32_e64 v16, v19
	s_cbranch_execz .LBB142_18
; %bb.11:                               ;   in Loop: Header=BB142_10 Depth=1
	v_dual_ashrrev_i32 v9, 31, v8 :: v_dual_mov_b32 v29, s5
	v_mul_lo_u32 v17, v3, s7
	v_mov_b32_e32 v30, v19
	s_mov_b32 s21, 0
	s_delay_alu instid0(VALU_DEP_3) | instskip(NEXT) | instid1(VALU_DEP_1)
	v_add_nc_u64_e32 v[14:15], v[0:1], v[8:9]
	v_lshl_add_u64 v[8:9], v[14:15], 2, s[10:11]
	v_lshl_add_u64 v[14:15], v[14:15], 3, s[8:9]
	s_branch .LBB142_13
.LBB142_12:                             ;   in Loop: Header=BB142_13 Depth=2
	s_wait_xcnt 0x0
	s_or_b32 exec_lo, exec_lo, s0
	v_add_nc_u32_e32 v16, 2, v16
	s_xor_b32 s22, vcc_lo, -1
	v_add_nc_u64_e32 v[8:9], 8, v[8:9]
	v_add_nc_u64_e32 v[14:15], 16, v[14:15]
	s_delay_alu instid0(VALU_DEP_3) | instskip(SKIP_1) | instid1(SALU_CYCLE_1)
	v_cmp_ge_i32_e64 s0, v16, v19
	s_or_b32 s0, s22, s0
	s_and_b32 s0, exec_lo, s0
	s_delay_alu instid0(SALU_CYCLE_1) | instskip(NEXT) | instid1(SALU_CYCLE_1)
	s_or_b32 s21, s0, s21
	s_and_not1_b32 exec_lo, exec_lo, s21
	s_cbranch_execz .LBB142_17
.LBB142_13:                             ;   Parent Loop BB142_10 Depth=1
                                        ; =>  This Inner Loop Header: Depth=2
	global_load_b32 v4, v[8:9], off
	s_wait_loadcnt 0x0
	v_subrev_nc_u32_e32 v31, s16, v4
	s_delay_alu instid0(VALU_DEP_1) | instskip(NEXT) | instid1(VALU_DEP_1)
	v_sub_nc_u32_e32 v4, 0, v31
	v_max_i32_e32 v4, v31, v4
	s_delay_alu instid0(VALU_DEP_1) | instskip(NEXT) | instid1(VALU_DEP_1)
	v_mul_u64_e32 v[32:33], s[12:13], v[4:5]
	v_mul_lo_u32 v32, v33, s6
	s_delay_alu instid0(VALU_DEP_1) | instskip(NEXT) | instid1(VALU_DEP_1)
	v_dual_sub_nc_u32 v4, v4, v32 :: v_dual_add_nc_u32 v32, 1, v33
	v_cmp_le_u32_e32 vcc_lo, s6, v4
	s_delay_alu instid0(VALU_DEP_2) | instskip(SKIP_1) | instid1(VALU_DEP_1)
	v_cndmask_b32_e32 v32, v33, v32, vcc_lo
	v_subrev_nc_u32_e32 v34, s6, v4
	v_dual_cndmask_b32 v4, v4, v34 :: v_dual_ashrrev_i32 v33, 31, v31
	s_delay_alu instid0(VALU_DEP_3) | instskip(NEXT) | instid1(VALU_DEP_2)
	v_add_nc_u32_e32 v34, 1, v32
	v_cmp_le_u32_e32 vcc_lo, s6, v4
	s_delay_alu instid0(VALU_DEP_2) | instskip(NEXT) | instid1(VALU_DEP_1)
	v_dual_cndmask_b32 v4, v32, v34, vcc_lo :: v_dual_bitop2_b32 v33, s1, v33 bitop3:0x14
	v_xor_b32_e32 v4, v4, v33
	s_delay_alu instid0(VALU_DEP_1) | instskip(NEXT) | instid1(VALU_DEP_1)
	v_dual_sub_nc_u32 v32, v4, v33 :: v_dual_mov_b32 v4, v30
	v_cmp_ne_u32_e64 s0, v32, v3
	v_cmp_eq_u32_e32 vcc_lo, v32, v3
	s_wait_xcnt 0x0
	s_and_saveexec_b32 s22, s0
	s_delay_alu instid0(SALU_CYCLE_1)
	s_xor_b32 s0, exec_lo, s22
; %bb.14:                               ;   in Loop: Header=BB142_13 Depth=2
	v_min_i32_e32 v29, v32, v29
                                        ; implicit-def: $vgpr31
                                        ; implicit-def: $vgpr4
; %bb.15:                               ;   in Loop: Header=BB142_13 Depth=2
	s_or_saveexec_b32 s0, s0
	v_mov_b32_e32 v30, v16
	s_xor_b32 exec_lo, exec_lo, s0
	s_cbranch_execz .LBB142_12
; %bb.16:                               ;   in Loop: Header=BB142_13 Depth=2
	global_load_b64 v[32:33], v[14:15], off
	v_sub_nc_u32_e32 v30, v31, v17
	s_delay_alu instid0(VALU_DEP_1)
	v_lshl_add_u32 v31, v30, 3, v20
	v_mov_b32_e32 v30, v4
	ds_store_b8 v18, v28 offset:2048
	s_wait_loadcnt 0x0
	ds_store_b64 v31, v[32:33]
	s_branch .LBB142_12
.LBB142_17:                             ;   in Loop: Header=BB142_10 Depth=1
	s_or_b32 exec_lo, exec_lo, s21
.LBB142_18:                             ;   in Loop: Header=BB142_10 Depth=1
	s_delay_alu instid0(SALU_CYCLE_1)
	s_or_b32 exec_lo, exec_lo, s20
	ds_bpermute_b32 v4, v21, v30
	s_wait_dscnt 0x0
	ds_load_u8 v9, v18 offset:2048
	v_min_i32_e32 v4, v4, v30
	ds_bpermute_b32 v8, v22, v4
	s_wait_dscnt 0x1
	v_and_b32_e32 v4, 1, v9
	s_delay_alu instid0(VALU_DEP_1)
	v_cmp_eq_u32_e32 vcc_lo, 1, v4
	v_mov_b32_e32 v4, 0
	s_and_saveexec_b32 s0, vcc_lo
	s_cbranch_execz .LBB142_9
; %bb.19:                               ;   in Loop: Header=BB142_10 Depth=1
	v_add_nc_u32_e32 v3, s17, v3
	global_store_b32 v2, v3, s[2:3] scale_offset
	s_wait_xcnt 0x0
	s_and_saveexec_b32 s20, s4
	s_cbranch_execz .LBB142_8
; %bb.20:                               ;   in Loop: Header=BB142_10 Depth=1
	v_ashrrev_i32_e32 v3, 31, v2
	ds_load_b64 v[16:17], v23
	s_and_b32 vcc_lo, exec_lo, s18
	v_mul_u64_e32 v[14:15], s[14:15], v[2:3]
	s_cbranch_vccz .LBB142_22
; %bb.21:                               ;   in Loop: Header=BB142_10 Depth=1
	s_delay_alu instid0(VALU_DEP_1)
	v_lshl_add_u64 v[30:31], v[14:15], 3, v[6:7]
	s_wait_dscnt 0x0
	global_store_b64 v[30:31], v[16:17], off
	s_cbranch_execnz .LBB142_8
	s_branch .LBB142_23
.LBB142_22:                             ;   in Loop: Header=BB142_10 Depth=1
.LBB142_23:                             ;   in Loop: Header=BB142_10 Depth=1
	s_delay_alu instid0(VALU_DEP_1)
	v_lshl_add_u64 v[14:15], v[14:15], 3, v[10:11]
	s_wait_dscnt 0x0
	global_store_b64 v[14:15], v[16:17], off
	s_branch .LBB142_8
.LBB142_24:
	s_endpgm
	.section	.rodata,"a",@progbits
	.p2align	6, 0x0
	.amdhsa_kernel _ZN9rocsparseL44csr2gebsr_wavefront_per_row_multipass_kernelILi256ELi8ELi2ELi16E21rocsparse_complex_numIfEEEv20rocsparse_direction_iiiiii21rocsparse_index_base_PKT3_PKiS9_S4_PS5_PiSB_
		.amdhsa_group_segment_fixed_size 2064
		.amdhsa_private_segment_fixed_size 0
		.amdhsa_kernarg_size 88
		.amdhsa_user_sgpr_count 2
		.amdhsa_user_sgpr_dispatch_ptr 0
		.amdhsa_user_sgpr_queue_ptr 0
		.amdhsa_user_sgpr_kernarg_segment_ptr 1
		.amdhsa_user_sgpr_dispatch_id 0
		.amdhsa_user_sgpr_kernarg_preload_length 0
		.amdhsa_user_sgpr_kernarg_preload_offset 0
		.amdhsa_user_sgpr_private_segment_size 0
		.amdhsa_wavefront_size32 1
		.amdhsa_uses_dynamic_stack 0
		.amdhsa_enable_private_segment 0
		.amdhsa_system_sgpr_workgroup_id_x 1
		.amdhsa_system_sgpr_workgroup_id_y 0
		.amdhsa_system_sgpr_workgroup_id_z 0
		.amdhsa_system_sgpr_workgroup_info 0
		.amdhsa_system_vgpr_workitem_id 0
		.amdhsa_next_free_vgpr 35
		.amdhsa_next_free_sgpr 23
		.amdhsa_named_barrier_count 0
		.amdhsa_reserve_vcc 1
		.amdhsa_float_round_mode_32 0
		.amdhsa_float_round_mode_16_64 0
		.amdhsa_float_denorm_mode_32 3
		.amdhsa_float_denorm_mode_16_64 3
		.amdhsa_fp16_overflow 0
		.amdhsa_memory_ordered 1
		.amdhsa_forward_progress 1
		.amdhsa_inst_pref_size 11
		.amdhsa_round_robin_scheduling 0
		.amdhsa_exception_fp_ieee_invalid_op 0
		.amdhsa_exception_fp_denorm_src 0
		.amdhsa_exception_fp_ieee_div_zero 0
		.amdhsa_exception_fp_ieee_overflow 0
		.amdhsa_exception_fp_ieee_underflow 0
		.amdhsa_exception_fp_ieee_inexact 0
		.amdhsa_exception_int_div_zero 0
	.end_amdhsa_kernel
	.section	.text._ZN9rocsparseL44csr2gebsr_wavefront_per_row_multipass_kernelILi256ELi8ELi2ELi16E21rocsparse_complex_numIfEEEv20rocsparse_direction_iiiiii21rocsparse_index_base_PKT3_PKiS9_S4_PS5_PiSB_,"axG",@progbits,_ZN9rocsparseL44csr2gebsr_wavefront_per_row_multipass_kernelILi256ELi8ELi2ELi16E21rocsparse_complex_numIfEEEv20rocsparse_direction_iiiiii21rocsparse_index_base_PKT3_PKiS9_S4_PS5_PiSB_,comdat
.Lfunc_end142:
	.size	_ZN9rocsparseL44csr2gebsr_wavefront_per_row_multipass_kernelILi256ELi8ELi2ELi16E21rocsparse_complex_numIfEEEv20rocsparse_direction_iiiiii21rocsparse_index_base_PKT3_PKiS9_S4_PS5_PiSB_, .Lfunc_end142-_ZN9rocsparseL44csr2gebsr_wavefront_per_row_multipass_kernelILi256ELi8ELi2ELi16E21rocsparse_complex_numIfEEEv20rocsparse_direction_iiiiii21rocsparse_index_base_PKT3_PKiS9_S4_PS5_PiSB_
                                        ; -- End function
	.set _ZN9rocsparseL44csr2gebsr_wavefront_per_row_multipass_kernelILi256ELi8ELi2ELi16E21rocsparse_complex_numIfEEEv20rocsparse_direction_iiiiii21rocsparse_index_base_PKT3_PKiS9_S4_PS5_PiSB_.num_vgpr, 35
	.set _ZN9rocsparseL44csr2gebsr_wavefront_per_row_multipass_kernelILi256ELi8ELi2ELi16E21rocsparse_complex_numIfEEEv20rocsparse_direction_iiiiii21rocsparse_index_base_PKT3_PKiS9_S4_PS5_PiSB_.num_agpr, 0
	.set _ZN9rocsparseL44csr2gebsr_wavefront_per_row_multipass_kernelILi256ELi8ELi2ELi16E21rocsparse_complex_numIfEEEv20rocsparse_direction_iiiiii21rocsparse_index_base_PKT3_PKiS9_S4_PS5_PiSB_.numbered_sgpr, 23
	.set _ZN9rocsparseL44csr2gebsr_wavefront_per_row_multipass_kernelILi256ELi8ELi2ELi16E21rocsparse_complex_numIfEEEv20rocsparse_direction_iiiiii21rocsparse_index_base_PKT3_PKiS9_S4_PS5_PiSB_.num_named_barrier, 0
	.set _ZN9rocsparseL44csr2gebsr_wavefront_per_row_multipass_kernelILi256ELi8ELi2ELi16E21rocsparse_complex_numIfEEEv20rocsparse_direction_iiiiii21rocsparse_index_base_PKT3_PKiS9_S4_PS5_PiSB_.private_seg_size, 0
	.set _ZN9rocsparseL44csr2gebsr_wavefront_per_row_multipass_kernelILi256ELi8ELi2ELi16E21rocsparse_complex_numIfEEEv20rocsparse_direction_iiiiii21rocsparse_index_base_PKT3_PKiS9_S4_PS5_PiSB_.uses_vcc, 1
	.set _ZN9rocsparseL44csr2gebsr_wavefront_per_row_multipass_kernelILi256ELi8ELi2ELi16E21rocsparse_complex_numIfEEEv20rocsparse_direction_iiiiii21rocsparse_index_base_PKT3_PKiS9_S4_PS5_PiSB_.uses_flat_scratch, 0
	.set _ZN9rocsparseL44csr2gebsr_wavefront_per_row_multipass_kernelILi256ELi8ELi2ELi16E21rocsparse_complex_numIfEEEv20rocsparse_direction_iiiiii21rocsparse_index_base_PKT3_PKiS9_S4_PS5_PiSB_.has_dyn_sized_stack, 0
	.set _ZN9rocsparseL44csr2gebsr_wavefront_per_row_multipass_kernelILi256ELi8ELi2ELi16E21rocsparse_complex_numIfEEEv20rocsparse_direction_iiiiii21rocsparse_index_base_PKT3_PKiS9_S4_PS5_PiSB_.has_recursion, 0
	.set _ZN9rocsparseL44csr2gebsr_wavefront_per_row_multipass_kernelILi256ELi8ELi2ELi16E21rocsparse_complex_numIfEEEv20rocsparse_direction_iiiiii21rocsparse_index_base_PKT3_PKiS9_S4_PS5_PiSB_.has_indirect_call, 0
	.section	.AMDGPU.csdata,"",@progbits
; Kernel info:
; codeLenInByte = 1372
; TotalNumSgprs: 25
; NumVgprs: 35
; ScratchSize: 0
; MemoryBound: 0
; FloatMode: 240
; IeeeMode: 1
; LDSByteSize: 2064 bytes/workgroup (compile time only)
; SGPRBlocks: 0
; VGPRBlocks: 2
; NumSGPRsForWavesPerEU: 25
; NumVGPRsForWavesPerEU: 35
; NamedBarCnt: 0
; Occupancy: 16
; WaveLimiterHint : 0
; COMPUTE_PGM_RSRC2:SCRATCH_EN: 0
; COMPUTE_PGM_RSRC2:USER_SGPR: 2
; COMPUTE_PGM_RSRC2:TRAP_HANDLER: 0
; COMPUTE_PGM_RSRC2:TGID_X_EN: 1
; COMPUTE_PGM_RSRC2:TGID_Y_EN: 0
; COMPUTE_PGM_RSRC2:TGID_Z_EN: 0
; COMPUTE_PGM_RSRC2:TIDIG_COMP_CNT: 0
	.section	.text._ZN9rocsparseL44csr2gebsr_wavefront_per_row_multipass_kernelILi256ELi8ELi4ELi32E21rocsparse_complex_numIfEEEv20rocsparse_direction_iiiiii21rocsparse_index_base_PKT3_PKiS9_S4_PS5_PiSB_,"axG",@progbits,_ZN9rocsparseL44csr2gebsr_wavefront_per_row_multipass_kernelILi256ELi8ELi4ELi32E21rocsparse_complex_numIfEEEv20rocsparse_direction_iiiiii21rocsparse_index_base_PKT3_PKiS9_S4_PS5_PiSB_,comdat
	.globl	_ZN9rocsparseL44csr2gebsr_wavefront_per_row_multipass_kernelILi256ELi8ELi4ELi32E21rocsparse_complex_numIfEEEv20rocsparse_direction_iiiiii21rocsparse_index_base_PKT3_PKiS9_S4_PS5_PiSB_ ; -- Begin function _ZN9rocsparseL44csr2gebsr_wavefront_per_row_multipass_kernelILi256ELi8ELi4ELi32E21rocsparse_complex_numIfEEEv20rocsparse_direction_iiiiii21rocsparse_index_base_PKT3_PKiS9_S4_PS5_PiSB_
	.p2align	8
	.type	_ZN9rocsparseL44csr2gebsr_wavefront_per_row_multipass_kernelILi256ELi8ELi4ELi32E21rocsparse_complex_numIfEEEv20rocsparse_direction_iiiiii21rocsparse_index_base_PKT3_PKiS9_S4_PS5_PiSB_,@function
_ZN9rocsparseL44csr2gebsr_wavefront_per_row_multipass_kernelILi256ELi8ELi4ELi32E21rocsparse_complex_numIfEEEv20rocsparse_direction_iiiiii21rocsparse_index_base_PKT3_PKiS9_S4_PS5_PiSB_: ; @_ZN9rocsparseL44csr2gebsr_wavefront_per_row_multipass_kernelILi256ELi8ELi4ELi32E21rocsparse_complex_numIfEEEv20rocsparse_direction_iiiiii21rocsparse_index_base_PKT3_PKiS9_S4_PS5_PiSB_
; %bb.0:
	s_clause 0x1
	s_load_b128 s[4:7], s[0:1], 0xc
	s_load_b64 s[12:13], s[0:1], 0x0
	s_bfe_u32 s2, ttmp6, 0x4000c
	s_and_b32 s3, ttmp6, 15
	s_add_co_i32 s2, s2, 1
	s_getreg_b32 s8, hwreg(HW_REG_IB_STS2, 6, 4)
	s_mul_i32 s2, ttmp9, s2
	v_dual_lshrrev_b32 v18, 5, v0 :: v_dual_mov_b32 v2, 0
	s_add_co_i32 s3, s3, s2
	s_cmp_eq_u32 s8, 0
	v_bfe_u32 v1, v0, 2, 3
	s_cselect_b32 s2, ttmp9, s3
	s_clause 0x1
	s_load_b32 s16, s[0:1], 0x1c
	s_load_b64 s[8:9], s[0:1], 0x28
	v_lshl_or_b32 v3, s2, 3, v18
	v_mov_b32_e32 v6, 0
	s_wait_kmcnt 0x0
	s_delay_alu instid0(VALU_DEP_2) | instskip(SKIP_1) | instid1(VALU_DEP_2)
	v_mad_u32 v4, v3, s6, v1
	v_cmp_gt_i32_e32 vcc_lo, s6, v1
	v_cmp_gt_i32_e64 s2, s13, v4
	s_and_b32 s2, vcc_lo, s2
	s_delay_alu instid0(SALU_CYCLE_1)
	s_and_saveexec_b32 s3, s2
	s_cbranch_execz .LBB143_2
; %bb.1:
	global_load_b32 v5, v4, s[8:9] scale_offset
	s_wait_loadcnt 0x0
	v_subrev_nc_u32_e32 v6, s16, v5
.LBB143_2:
	s_or_b32 exec_lo, exec_lo, s3
	v_mov_b32_e32 v19, 0
	s_and_saveexec_b32 s3, s2
	s_cbranch_execz .LBB143_4
; %bb.3:
	global_load_b32 v4, v4, s[8:9] offset:4 scale_offset
	s_wait_loadcnt 0x0
	v_subrev_nc_u32_e32 v19, s16, v4
.LBB143_4:
	s_or_b32 exec_lo, exec_lo, s3
	s_load_b32 s17, s[0:1], 0x38
	s_mov_b32 s3, exec_lo
	v_cmpx_gt_i32_e64 s4, v3
	s_cbranch_execz .LBB143_6
; %bb.5:
	s_load_b64 s[8:9], s[0:1], 0x48
	s_wait_kmcnt 0x0
	global_load_b32 v2, v3, s[8:9] scale_offset
	s_wait_loadcnt 0x0
	v_subrev_nc_u32_e32 v2, s17, v2
.LBB143_6:
	s_or_b32 exec_lo, exec_lo, s3
	s_cmp_lt_i32 s5, 1
	s_cbranch_scc1 .LBB143_24
; %bb.7:
	v_mbcnt_lo_u32_b32 v3, -1, 0
	s_clause 0x3
	s_load_b64 s[2:3], s[0:1], 0x50
	s_load_b64 s[14:15], s[0:1], 0x40
	;; [unrolled: 1-line block ×4, first 2 shown]
	v_and_b32_e32 v7, 0xe0, v0
	s_mov_b32 s13, 0
	v_dual_lshlrev_b32 v8, 5, v1 :: v_dual_bitop2_b32 v4, 2, v3 bitop3:0x14
	v_lshl_or_b32 v23, v3, 2, 12
	v_dual_mov_b32 v29, 1 :: v_dual_bitop2_b32 v0, 3, v0 bitop3:0x40
	s_delay_alu instid0(VALU_DEP_3)
	v_lshl_or_b32 v20, v7, 3, v8
	s_wait_xcnt 0x0
	v_cmp_gt_i32_e64 s0, 32, v4
	v_xor_b32_e32 v5, 1, v3
	v_mul_lo_u32 v8, s7, v1
	v_lshlrev_b32_e32 v10, 3, v0
	v_mov_b32_e32 v28, 0x7c
	v_cndmask_b32_e64 v4, v3, v4, s0
	v_cmp_gt_i32_e64 s0, 32, v5
	s_delay_alu instid0(VALU_DEP_1) | instskip(SKIP_2) | instid1(VALU_DEP_3)
	v_dual_cndmask_b32 v5, v3, v5, s0 :: v_dual_lshlrev_b32 v21, 2, v4
	v_mul_lo_u32 v4, s6, v0
	v_cmp_gt_u32_e64 s0, s7, v0
	v_dual_ashrrev_i32 v9, 31, v8 :: v_dual_lshlrev_b32 v22, 2, v5
	v_dual_mov_b32 v5, 0 :: v_dual_bitop2_b32 v24, v20, v10 bitop3:0x54
	s_and_b32 s4, vcc_lo, s0
	s_cmp_lg_u32 s12, 0
	s_mov_b32 s12, s6
	s_cselect_b32 s18, -1, 0
	s_abs_i32 s6, s7
	s_wait_kmcnt 0x0
	v_lshl_add_u64 v[12:13], v[4:5], 3, s[14:15]
	v_dual_mov_b32 v11, v5 :: v_dual_lshlrev_b32 v4, 3, v1
	s_cvt_f32_u32 s19, s6
	v_lshl_add_u64 v[14:15], v[8:9], 3, s[14:15]
	v_mov_b32_e32 v1, v5
	s_delay_alu instid0(VALU_DEP_3)
	v_add_nc_u64_e32 v[8:9], v[12:13], v[4:5]
	v_xor_b32_e32 v4, 16, v3
	v_rcp_iflag_f32_e32 v7, s19
	v_add_nc_u64_e32 v[10:11], v[14:15], v[10:11]
	s_ashr_i32 s1, s7, 31
	s_mov_b32 s0, s7
	v_cmp_gt_i32_e32 vcc_lo, 32, v4
	v_xor_b32_e32 v12, 8, v3
	s_delay_alu instid0(TRANS32_DEP_1) | instskip(SKIP_1) | instid1(VALU_DEP_3)
	v_readfirstlane_b32 s14, v7
	v_cndmask_b32_e32 v4, v3, v4, vcc_lo
	v_cmp_gt_i32_e32 vcc_lo, 32, v12
	v_xor_b32_e32 v13, 4, v3
	s_mul_f32 s14, s14, 0x4f7ffffe
	s_delay_alu instid0(VALU_DEP_3) | instskip(SKIP_1) | instid1(VALU_DEP_3)
	v_lshlrev_b32_e32 v25, 2, v4
	v_cndmask_b32_e32 v7, v3, v12, vcc_lo
	v_cmp_gt_i32_e32 vcc_lo, 32, v13
	s_cvt_u32_f32 s19, s14
	s_sub_co_i32 s14, 0, s6
	s_delay_alu instid0(VALU_DEP_2) | instskip(SKIP_2) | instid1(SALU_CYCLE_1)
	v_dual_cndmask_b32 v3, v3, v13 :: v_dual_lshlrev_b32 v26, 2, v7
	v_mov_b64_e32 v[12:13], 0
	s_mul_i32 s14, s14, s19
	s_mul_hi_u32 s20, s19, s14
	s_delay_alu instid0(VALU_DEP_2)
	v_dual_lshlrev_b32 v27, 2, v3 :: v_dual_mov_b32 v3, 0
	s_mul_u64 s[14:15], s[0:1], s[12:13]
	s_add_co_i32 s12, s19, s20
	s_mov_b32 s19, s13
	s_branch .LBB143_10
.LBB143_8:                              ;   in Loop: Header=BB143_10 Depth=1
	s_wait_xcnt 0x0
	s_or_b32 exec_lo, exec_lo, s20
	v_mov_b32_e32 v4, 1
.LBB143_9:                              ;   in Loop: Header=BB143_10 Depth=1
	s_or_b32 exec_lo, exec_lo, s0
	ds_bpermute_b32 v3, v25, v30
	s_wait_storecnt_dscnt 0x0
	v_add_nc_u32_e32 v2, v4, v2
	v_min_i32_e32 v3, v3, v30
	ds_bpermute_b32 v7, v26, v3
	s_wait_dscnt 0x0
	v_min_i32_e32 v3, v7, v3
	ds_bpermute_b32 v7, v27, v3
	s_wait_dscnt 0x0
	;; [unrolled: 3-line block ×5, first 2 shown]
	v_cmp_le_i32_e32 vcc_lo, s5, v3
	s_or_b32 s19, vcc_lo, s19
	s_delay_alu instid0(SALU_CYCLE_1)
	s_and_not1_b32 exec_lo, exec_lo, s19
	s_cbranch_execz .LBB143_24
.LBB143_10:                             ; =>This Loop Header: Depth=1
                                        ;     Child Loop BB143_13 Depth 2
	v_dual_add_nc_u32 v16, v6, v0 :: v_dual_mov_b32 v30, s5
	v_mov_b32_e32 v31, v19
	s_mov_b32 s20, exec_lo
	ds_store_b8 v18, v5 offset:2048
	ds_store_b64 v24, v[12:13]
	s_wait_dscnt 0x0
	v_cmpx_lt_i32_e64 v16, v19
	s_cbranch_execz .LBB143_18
; %bb.11:                               ;   in Loop: Header=BB143_10 Depth=1
	v_dual_mov_b32 v30, s5 :: v_dual_ashrrev_i32 v7, 31, v6
	v_mul_lo_u32 v17, v3, s7
	v_mov_b32_e32 v31, v19
	s_mov_b32 s21, 0
	s_delay_alu instid0(VALU_DEP_3) | instskip(NEXT) | instid1(VALU_DEP_1)
	v_add_nc_u64_e32 v[14:15], v[0:1], v[6:7]
	v_lshl_add_u64 v[6:7], v[14:15], 2, s[10:11]
	v_lshl_add_u64 v[14:15], v[14:15], 3, s[8:9]
	s_branch .LBB143_13
.LBB143_12:                             ;   in Loop: Header=BB143_13 Depth=2
	s_wait_xcnt 0x0
	s_or_b32 exec_lo, exec_lo, s0
	v_add_nc_u32_e32 v16, 4, v16
	s_xor_b32 s22, vcc_lo, -1
	v_add_nc_u64_e32 v[6:7], 16, v[6:7]
	v_add_nc_u64_e32 v[14:15], 32, v[14:15]
	s_delay_alu instid0(VALU_DEP_3) | instskip(SKIP_1) | instid1(SALU_CYCLE_1)
	v_cmp_ge_i32_e64 s0, v16, v19
	s_or_b32 s0, s22, s0
	s_and_b32 s0, exec_lo, s0
	s_delay_alu instid0(SALU_CYCLE_1) | instskip(NEXT) | instid1(SALU_CYCLE_1)
	s_or_b32 s21, s0, s21
	s_and_not1_b32 exec_lo, exec_lo, s21
	s_cbranch_execz .LBB143_17
.LBB143_13:                             ;   Parent Loop BB143_10 Depth=1
                                        ; =>  This Inner Loop Header: Depth=2
	global_load_b32 v4, v[6:7], off
	s_wait_loadcnt 0x0
	v_subrev_nc_u32_e32 v32, s16, v4
	s_delay_alu instid0(VALU_DEP_1) | instskip(NEXT) | instid1(VALU_DEP_1)
	v_sub_nc_u32_e32 v4, 0, v32
	v_max_i32_e32 v4, v32, v4
	s_delay_alu instid0(VALU_DEP_1) | instskip(NEXT) | instid1(VALU_DEP_1)
	v_mul_u64_e32 v[34:35], s[12:13], v[4:5]
	v_mul_lo_u32 v33, v35, s6
	s_delay_alu instid0(VALU_DEP_1) | instskip(NEXT) | instid1(VALU_DEP_1)
	v_dual_sub_nc_u32 v4, v4, v33 :: v_dual_add_nc_u32 v33, 1, v35
	v_cmp_le_u32_e32 vcc_lo, s6, v4
	s_delay_alu instid0(VALU_DEP_2) | instskip(SKIP_1) | instid1(VALU_DEP_1)
	v_dual_cndmask_b32 v33, v35, v33, vcc_lo :: v_dual_ashrrev_i32 v35, 31, v32
	v_subrev_nc_u32_e32 v34, s6, v4
	v_dual_cndmask_b32 v4, v4, v34, vcc_lo :: v_dual_add_nc_u32 v34, 1, v33
	s_delay_alu instid0(VALU_DEP_1) | instskip(NEXT) | instid1(VALU_DEP_2)
	v_cmp_le_u32_e32 vcc_lo, s6, v4
	v_dual_cndmask_b32 v4, v33, v34, vcc_lo :: v_dual_bitop2_b32 v35, s1, v35 bitop3:0x14
	s_delay_alu instid0(VALU_DEP_1) | instskip(NEXT) | instid1(VALU_DEP_1)
	v_xor_b32_e32 v4, v4, v35
	v_dual_mov_b32 v4, v31 :: v_dual_sub_nc_u32 v33, v4, v35
	s_delay_alu instid0(VALU_DEP_1) | instskip(SKIP_3) | instid1(SALU_CYCLE_1)
	v_cmp_ne_u32_e64 s0, v33, v3
	v_cmp_eq_u32_e32 vcc_lo, v33, v3
	s_wait_xcnt 0x0
	s_and_saveexec_b32 s22, s0
	s_xor_b32 s0, exec_lo, s22
; %bb.14:                               ;   in Loop: Header=BB143_13 Depth=2
	v_min_i32_e32 v30, v33, v30
                                        ; implicit-def: $vgpr32
                                        ; implicit-def: $vgpr4
; %bb.15:                               ;   in Loop: Header=BB143_13 Depth=2
	s_or_saveexec_b32 s0, s0
	v_mov_b32_e32 v31, v16
	s_xor_b32 exec_lo, exec_lo, s0
	s_cbranch_execz .LBB143_12
; %bb.16:                               ;   in Loop: Header=BB143_13 Depth=2
	global_load_b64 v[34:35], v[14:15], off
	v_sub_nc_u32_e32 v31, v32, v17
	s_delay_alu instid0(VALU_DEP_1)
	v_lshl_add_u32 v32, v31, 3, v20
	v_mov_b32_e32 v31, v4
	ds_store_b8 v18, v29 offset:2048
	s_wait_loadcnt 0x0
	ds_store_b64 v32, v[34:35]
	s_branch .LBB143_12
.LBB143_17:                             ;   in Loop: Header=BB143_10 Depth=1
	s_or_b32 exec_lo, exec_lo, s21
.LBB143_18:                             ;   in Loop: Header=BB143_10 Depth=1
	s_delay_alu instid0(SALU_CYCLE_1)
	s_or_b32 exec_lo, exec_lo, s20
	ds_bpermute_b32 v4, v21, v31
	s_wait_dscnt 0x0
	ds_load_u8 v7, v18 offset:2048
	v_min_i32_e32 v4, v4, v31
	ds_bpermute_b32 v6, v22, v4
	s_wait_dscnt 0x0
	v_min_i32_e32 v4, v6, v4
	ds_bpermute_b32 v6, v23, v4
	v_and_b32_e32 v4, 1, v7
	s_delay_alu instid0(VALU_DEP_1)
	v_cmp_eq_u32_e32 vcc_lo, 1, v4
	v_mov_b32_e32 v4, 0
	s_and_saveexec_b32 s0, vcc_lo
	s_cbranch_execz .LBB143_9
; %bb.19:                               ;   in Loop: Header=BB143_10 Depth=1
	v_add_nc_u32_e32 v3, s17, v3
	global_store_b32 v2, v3, s[2:3] scale_offset
	s_wait_xcnt 0x0
	s_and_saveexec_b32 s20, s4
	s_cbranch_execz .LBB143_8
; %bb.20:                               ;   in Loop: Header=BB143_10 Depth=1
	v_ashrrev_i32_e32 v3, 31, v2
	ds_load_b64 v[16:17], v24
	s_and_b32 vcc_lo, exec_lo, s18
	v_mul_u64_e32 v[14:15], s[14:15], v[2:3]
	s_cbranch_vccz .LBB143_22
; %bb.21:                               ;   in Loop: Header=BB143_10 Depth=1
	s_delay_alu instid0(VALU_DEP_1)
	v_lshl_add_u64 v[32:33], v[14:15], 3, v[8:9]
	s_wait_dscnt 0x0
	global_store_b64 v[32:33], v[16:17], off
	s_cbranch_execnz .LBB143_8
	s_branch .LBB143_23
.LBB143_22:                             ;   in Loop: Header=BB143_10 Depth=1
.LBB143_23:                             ;   in Loop: Header=BB143_10 Depth=1
	s_delay_alu instid0(VALU_DEP_1)
	v_lshl_add_u64 v[14:15], v[14:15], 3, v[10:11]
	s_wait_dscnt 0x0
	global_store_b64 v[14:15], v[16:17], off
	s_branch .LBB143_8
.LBB143_24:
	s_endpgm
	.section	.rodata,"a",@progbits
	.p2align	6, 0x0
	.amdhsa_kernel _ZN9rocsparseL44csr2gebsr_wavefront_per_row_multipass_kernelILi256ELi8ELi4ELi32E21rocsparse_complex_numIfEEEv20rocsparse_direction_iiiiii21rocsparse_index_base_PKT3_PKiS9_S4_PS5_PiSB_
		.amdhsa_group_segment_fixed_size 2056
		.amdhsa_private_segment_fixed_size 0
		.amdhsa_kernarg_size 88
		.amdhsa_user_sgpr_count 2
		.amdhsa_user_sgpr_dispatch_ptr 0
		.amdhsa_user_sgpr_queue_ptr 0
		.amdhsa_user_sgpr_kernarg_segment_ptr 1
		.amdhsa_user_sgpr_dispatch_id 0
		.amdhsa_user_sgpr_kernarg_preload_length 0
		.amdhsa_user_sgpr_kernarg_preload_offset 0
		.amdhsa_user_sgpr_private_segment_size 0
		.amdhsa_wavefront_size32 1
		.amdhsa_uses_dynamic_stack 0
		.amdhsa_enable_private_segment 0
		.amdhsa_system_sgpr_workgroup_id_x 1
		.amdhsa_system_sgpr_workgroup_id_y 0
		.amdhsa_system_sgpr_workgroup_id_z 0
		.amdhsa_system_sgpr_workgroup_info 0
		.amdhsa_system_vgpr_workitem_id 0
		.amdhsa_next_free_vgpr 36
		.amdhsa_next_free_sgpr 23
		.amdhsa_named_barrier_count 0
		.amdhsa_reserve_vcc 1
		.amdhsa_float_round_mode_32 0
		.amdhsa_float_round_mode_16_64 0
		.amdhsa_float_denorm_mode_32 3
		.amdhsa_float_denorm_mode_16_64 3
		.amdhsa_fp16_overflow 0
		.amdhsa_memory_ordered 1
		.amdhsa_forward_progress 1
		.amdhsa_inst_pref_size 12
		.amdhsa_round_robin_scheduling 0
		.amdhsa_exception_fp_ieee_invalid_op 0
		.amdhsa_exception_fp_denorm_src 0
		.amdhsa_exception_fp_ieee_div_zero 0
		.amdhsa_exception_fp_ieee_overflow 0
		.amdhsa_exception_fp_ieee_underflow 0
		.amdhsa_exception_fp_ieee_inexact 0
		.amdhsa_exception_int_div_zero 0
	.end_amdhsa_kernel
	.section	.text._ZN9rocsparseL44csr2gebsr_wavefront_per_row_multipass_kernelILi256ELi8ELi4ELi32E21rocsparse_complex_numIfEEEv20rocsparse_direction_iiiiii21rocsparse_index_base_PKT3_PKiS9_S4_PS5_PiSB_,"axG",@progbits,_ZN9rocsparseL44csr2gebsr_wavefront_per_row_multipass_kernelILi256ELi8ELi4ELi32E21rocsparse_complex_numIfEEEv20rocsparse_direction_iiiiii21rocsparse_index_base_PKT3_PKiS9_S4_PS5_PiSB_,comdat
.Lfunc_end143:
	.size	_ZN9rocsparseL44csr2gebsr_wavefront_per_row_multipass_kernelILi256ELi8ELi4ELi32E21rocsparse_complex_numIfEEEv20rocsparse_direction_iiiiii21rocsparse_index_base_PKT3_PKiS9_S4_PS5_PiSB_, .Lfunc_end143-_ZN9rocsparseL44csr2gebsr_wavefront_per_row_multipass_kernelILi256ELi8ELi4ELi32E21rocsparse_complex_numIfEEEv20rocsparse_direction_iiiiii21rocsparse_index_base_PKT3_PKiS9_S4_PS5_PiSB_
                                        ; -- End function
	.set _ZN9rocsparseL44csr2gebsr_wavefront_per_row_multipass_kernelILi256ELi8ELi4ELi32E21rocsparse_complex_numIfEEEv20rocsparse_direction_iiiiii21rocsparse_index_base_PKT3_PKiS9_S4_PS5_PiSB_.num_vgpr, 36
	.set _ZN9rocsparseL44csr2gebsr_wavefront_per_row_multipass_kernelILi256ELi8ELi4ELi32E21rocsparse_complex_numIfEEEv20rocsparse_direction_iiiiii21rocsparse_index_base_PKT3_PKiS9_S4_PS5_PiSB_.num_agpr, 0
	.set _ZN9rocsparseL44csr2gebsr_wavefront_per_row_multipass_kernelILi256ELi8ELi4ELi32E21rocsparse_complex_numIfEEEv20rocsparse_direction_iiiiii21rocsparse_index_base_PKT3_PKiS9_S4_PS5_PiSB_.numbered_sgpr, 23
	.set _ZN9rocsparseL44csr2gebsr_wavefront_per_row_multipass_kernelILi256ELi8ELi4ELi32E21rocsparse_complex_numIfEEEv20rocsparse_direction_iiiiii21rocsparse_index_base_PKT3_PKiS9_S4_PS5_PiSB_.num_named_barrier, 0
	.set _ZN9rocsparseL44csr2gebsr_wavefront_per_row_multipass_kernelILi256ELi8ELi4ELi32E21rocsparse_complex_numIfEEEv20rocsparse_direction_iiiiii21rocsparse_index_base_PKT3_PKiS9_S4_PS5_PiSB_.private_seg_size, 0
	.set _ZN9rocsparseL44csr2gebsr_wavefront_per_row_multipass_kernelILi256ELi8ELi4ELi32E21rocsparse_complex_numIfEEEv20rocsparse_direction_iiiiii21rocsparse_index_base_PKT3_PKiS9_S4_PS5_PiSB_.uses_vcc, 1
	.set _ZN9rocsparseL44csr2gebsr_wavefront_per_row_multipass_kernelILi256ELi8ELi4ELi32E21rocsparse_complex_numIfEEEv20rocsparse_direction_iiiiii21rocsparse_index_base_PKT3_PKiS9_S4_PS5_PiSB_.uses_flat_scratch, 0
	.set _ZN9rocsparseL44csr2gebsr_wavefront_per_row_multipass_kernelILi256ELi8ELi4ELi32E21rocsparse_complex_numIfEEEv20rocsparse_direction_iiiiii21rocsparse_index_base_PKT3_PKiS9_S4_PS5_PiSB_.has_dyn_sized_stack, 0
	.set _ZN9rocsparseL44csr2gebsr_wavefront_per_row_multipass_kernelILi256ELi8ELi4ELi32E21rocsparse_complex_numIfEEEv20rocsparse_direction_iiiiii21rocsparse_index_base_PKT3_PKiS9_S4_PS5_PiSB_.has_recursion, 0
	.set _ZN9rocsparseL44csr2gebsr_wavefront_per_row_multipass_kernelILi256ELi8ELi4ELi32E21rocsparse_complex_numIfEEEv20rocsparse_direction_iiiiii21rocsparse_index_base_PKT3_PKiS9_S4_PS5_PiSB_.has_indirect_call, 0
	.section	.AMDGPU.csdata,"",@progbits
; Kernel info:
; codeLenInByte = 1432
; TotalNumSgprs: 25
; NumVgprs: 36
; ScratchSize: 0
; MemoryBound: 0
; FloatMode: 240
; IeeeMode: 1
; LDSByteSize: 2056 bytes/workgroup (compile time only)
; SGPRBlocks: 0
; VGPRBlocks: 2
; NumSGPRsForWavesPerEU: 25
; NumVGPRsForWavesPerEU: 36
; NamedBarCnt: 0
; Occupancy: 16
; WaveLimiterHint : 0
; COMPUTE_PGM_RSRC2:SCRATCH_EN: 0
; COMPUTE_PGM_RSRC2:USER_SGPR: 2
; COMPUTE_PGM_RSRC2:TRAP_HANDLER: 0
; COMPUTE_PGM_RSRC2:TGID_X_EN: 1
; COMPUTE_PGM_RSRC2:TGID_Y_EN: 0
; COMPUTE_PGM_RSRC2:TGID_Z_EN: 0
; COMPUTE_PGM_RSRC2:TIDIG_COMP_CNT: 0
	.section	.text._ZN9rocsparseL44csr2gebsr_wavefront_per_row_multipass_kernelILi256ELi8ELi8ELi64E21rocsparse_complex_numIfEEEv20rocsparse_direction_iiiiii21rocsparse_index_base_PKT3_PKiS9_S4_PS5_PiSB_,"axG",@progbits,_ZN9rocsparseL44csr2gebsr_wavefront_per_row_multipass_kernelILi256ELi8ELi8ELi64E21rocsparse_complex_numIfEEEv20rocsparse_direction_iiiiii21rocsparse_index_base_PKT3_PKiS9_S4_PS5_PiSB_,comdat
	.globl	_ZN9rocsparseL44csr2gebsr_wavefront_per_row_multipass_kernelILi256ELi8ELi8ELi64E21rocsparse_complex_numIfEEEv20rocsparse_direction_iiiiii21rocsparse_index_base_PKT3_PKiS9_S4_PS5_PiSB_ ; -- Begin function _ZN9rocsparseL44csr2gebsr_wavefront_per_row_multipass_kernelILi256ELi8ELi8ELi64E21rocsparse_complex_numIfEEEv20rocsparse_direction_iiiiii21rocsparse_index_base_PKT3_PKiS9_S4_PS5_PiSB_
	.p2align	8
	.type	_ZN9rocsparseL44csr2gebsr_wavefront_per_row_multipass_kernelILi256ELi8ELi8ELi64E21rocsparse_complex_numIfEEEv20rocsparse_direction_iiiiii21rocsparse_index_base_PKT3_PKiS9_S4_PS5_PiSB_,@function
_ZN9rocsparseL44csr2gebsr_wavefront_per_row_multipass_kernelILi256ELi8ELi8ELi64E21rocsparse_complex_numIfEEEv20rocsparse_direction_iiiiii21rocsparse_index_base_PKT3_PKiS9_S4_PS5_PiSB_: ; @_ZN9rocsparseL44csr2gebsr_wavefront_per_row_multipass_kernelILi256ELi8ELi8ELi64E21rocsparse_complex_numIfEEEv20rocsparse_direction_iiiiii21rocsparse_index_base_PKT3_PKiS9_S4_PS5_PiSB_
; %bb.0:
	s_clause 0x1
	s_load_b128 s[4:7], s[0:1], 0xc
	s_load_b64 s[12:13], s[0:1], 0x0
	s_bfe_u32 s2, ttmp6, 0x4000c
	s_and_b32 s3, ttmp6, 15
	s_add_co_i32 s2, s2, 1
	s_getreg_b32 s8, hwreg(HW_REG_IB_STS2, 6, 4)
	s_mul_i32 s2, ttmp9, s2
	v_dual_lshrrev_b32 v18, 6, v0 :: v_dual_mov_b32 v2, 0
	s_add_co_i32 s3, s3, s2
	s_cmp_eq_u32 s8, 0
	v_bfe_u32 v3, v0, 3, 3
	s_cselect_b32 s2, ttmp9, s3
	s_clause 0x1
	s_load_b32 s16, s[0:1], 0x1c
	s_load_b64 s[8:9], s[0:1], 0x28
	v_lshl_or_b32 v1, s2, 2, v18
	v_mov_b32_e32 v6, 0
	s_wait_kmcnt 0x0
	s_delay_alu instid0(VALU_DEP_2) | instskip(SKIP_1) | instid1(VALU_DEP_2)
	v_mad_u32 v4, v1, s6, v3
	v_cmp_gt_i32_e32 vcc_lo, s6, v3
	v_cmp_gt_i32_e64 s2, s13, v4
	s_and_b32 s2, vcc_lo, s2
	s_delay_alu instid0(SALU_CYCLE_1)
	s_and_saveexec_b32 s3, s2
	s_cbranch_execz .LBB144_2
; %bb.1:
	global_load_b32 v5, v4, s[8:9] scale_offset
	s_wait_loadcnt 0x0
	v_subrev_nc_u32_e32 v6, s16, v5
.LBB144_2:
	s_or_b32 exec_lo, exec_lo, s3
	v_mov_b32_e32 v19, 0
	s_and_saveexec_b32 s3, s2
	s_cbranch_execz .LBB144_4
; %bb.3:
	global_load_b32 v4, v4, s[8:9] offset:4 scale_offset
	s_wait_loadcnt 0x0
	v_subrev_nc_u32_e32 v19, s16, v4
.LBB144_4:
	s_or_b32 exec_lo, exec_lo, s3
	s_load_b32 s17, s[0:1], 0x38
	s_mov_b32 s3, exec_lo
	v_cmpx_gt_i32_e64 s4, v1
	s_cbranch_execz .LBB144_6
; %bb.5:
	s_load_b64 s[8:9], s[0:1], 0x48
	s_wait_kmcnt 0x0
	global_load_b32 v1, v1, s[8:9] scale_offset
	s_wait_loadcnt 0x0
	v_subrev_nc_u32_e32 v2, s17, v1
.LBB144_6:
	s_or_b32 exec_lo, exec_lo, s3
	s_cmp_lt_i32 s5, 1
	s_cbranch_scc1 .LBB144_24
; %bb.7:
	v_mbcnt_lo_u32_b32 v7, -1, 0
	s_clause 0x3
	s_load_b64 s[2:3], s[0:1], 0x50
	s_load_b64 s[14:15], s[0:1], 0x40
	;; [unrolled: 1-line block ×4, first 2 shown]
	v_dual_lshlrev_b32 v8, 6, v3 :: v_dual_bitop2_b32 v4, 7, v0 bitop3:0x40
	v_and_b32_e32 v0, 0xc0, v0
	v_xor_b32_e32 v5, 2, v7
	v_xor_b32_e32 v1, 4, v7
	v_lshl_or_b32 v24, v7, 2, 28
	v_bfrev_b32_e32 v29, 0.5
	v_lshl_or_b32 v20, v0, 3, v8
	v_mul_lo_u32 v0, s6, v4
	s_wait_xcnt 0x0
	v_cmp_gt_i32_e64 s0, 32, v1
	v_mul_lo_u32 v8, s7, v3
	s_mov_b32 s13, 0
	v_dual_lshlrev_b32 v10, 3, v4 :: v_dual_mov_b32 v30, 1
	v_dual_cndmask_b32 v1, v7, v1, s0 :: v_dual_bitop2_b32 v9, 1, v7 bitop3:0x14
	v_cmp_gt_i32_e64 s0, 32, v5
	s_delay_alu instid0(VALU_DEP_2) | instskip(NEXT) | instid1(VALU_DEP_2)
	v_dual_lshlrev_b32 v21, 2, v1 :: v_dual_bitop2_b32 v25, v20, v10 bitop3:0x54
	v_dual_mov_b32 v1, 0 :: v_dual_cndmask_b32 v5, v7, v5, s0
	s_delay_alu instid0(VALU_DEP_4) | instskip(SKIP_1) | instid1(VALU_DEP_2)
	v_cmp_gt_i32_e64 s0, 32, v9
	s_wait_kmcnt 0x0
	v_lshl_add_u64 v[12:13], v[0:1], 3, s[14:15]
	s_delay_alu instid0(VALU_DEP_3) | instskip(NEXT) | instid1(VALU_DEP_3)
	v_lshlrev_b32_e32 v22, 2, v5
	v_cndmask_b32_e64 v9, v7, v9, s0
	v_cmp_gt_u32_e64 s0, s7, v4
	v_dual_mov_b32 v11, v1 :: v_dual_lshlrev_b32 v0, 3, v3
	s_delay_alu instid0(VALU_DEP_3)
	v_dual_mov_b32 v5, v1 :: v_dual_lshlrev_b32 v23, 2, v9
	s_and_b32 s4, vcc_lo, s0
	v_ashrrev_i32_e32 v9, 31, v8
	s_cmp_lg_u32 s12, 0
	s_mov_b32 s12, s6
	s_cselect_b32 s18, -1, 0
	s_abs_i32 s6, s7
	v_lshl_add_u64 v[14:15], v[8:9], 3, s[14:15]
	s_cvt_f32_u32 s19, s6
	v_add_nc_u64_e32 v[8:9], v[12:13], v[0:1]
	v_xor_b32_e32 v12, 16, v7
	v_or_b32_e32 v0, 32, v7
	v_rcp_iflag_f32_e32 v3, s19
	v_add_nc_u64_e32 v[10:11], v[14:15], v[10:11]
	s_ashr_i32 s1, s7, 31
	s_mov_b32 s0, s7
	v_cmp_gt_i32_e32 vcc_lo, 32, v0
	s_delay_alu instid0(TRANS32_DEP_1) | instskip(SKIP_3) | instid1(VALU_DEP_2)
	v_readfirstlane_b32 s14, v3
	v_dual_cndmask_b32 v0, v7, v0, vcc_lo :: v_dual_bitop2_b32 v13, 8, v7 bitop3:0x14
	v_cmp_gt_i32_e32 vcc_lo, 32, v12
	s_mul_f32 s14, s14, 0x4f7ffffe
	v_lshlrev_b32_e32 v26, 2, v0
	v_cndmask_b32_e32 v3, v7, v12, vcc_lo
	v_cmp_gt_i32_e32 vcc_lo, 32, v13
	s_cvt_u32_f32 s19, s14
	s_sub_co_i32 s14, 0, s6
	s_delay_alu instid0(VALU_DEP_2)
	v_dual_lshlrev_b32 v27, 2, v3 :: v_dual_cndmask_b32 v7, v7, v13, vcc_lo
	v_mov_b64_e32 v[12:13], 0
	s_mul_i32 s14, s14, s19
	v_mov_b32_e32 v3, 0
	s_mul_hi_u32 s20, s19, s14
	v_lshlrev_b32_e32 v28, 2, v7
	s_mul_u64 s[14:15], s[0:1], s[12:13]
	s_add_co_i32 s12, s19, s20
	s_mov_b32 s19, s13
	s_branch .LBB144_10
.LBB144_8:                              ;   in Loop: Header=BB144_10 Depth=1
	s_wait_xcnt 0x0
	s_or_b32 exec_lo, exec_lo, s20
	v_mov_b32_e32 v0, 1
.LBB144_9:                              ;   in Loop: Header=BB144_10 Depth=1
	s_or_b32 exec_lo, exec_lo, s0
	ds_bpermute_b32 v3, v26, v31
	s_wait_storecnt_dscnt 0x0
	v_dual_add_nc_u32 v2, v0, v2 :: v_dual_min_i32 v3, v3, v31
	ds_bpermute_b32 v7, v27, v3
	s_wait_dscnt 0x0
	v_min_i32_e32 v3, v7, v3
	ds_bpermute_b32 v7, v28, v3
	s_wait_dscnt 0x0
	v_min_i32_e32 v3, v7, v3
	;; [unrolled: 3-line block ×5, first 2 shown]
	ds_bpermute_b32 v3, v29, v3
	s_wait_dscnt 0x0
	v_cmp_le_i32_e32 vcc_lo, s5, v3
	s_or_b32 s19, vcc_lo, s19
	s_delay_alu instid0(SALU_CYCLE_1)
	s_and_not1_b32 exec_lo, exec_lo, s19
	s_cbranch_execz .LBB144_24
.LBB144_10:                             ; =>This Loop Header: Depth=1
                                        ;     Child Loop BB144_13 Depth 2
	v_dual_mov_b32 v31, s5 :: v_dual_add_nc_u32 v16, v6, v4
	v_mov_b32_e32 v32, v19
	s_mov_b32 s20, exec_lo
	ds_store_b8 v18, v1 offset:2048
	ds_store_b64 v25, v[12:13]
	s_wait_dscnt 0x0
	v_cmpx_lt_i32_e64 v16, v19
	s_cbranch_execz .LBB144_18
; %bb.11:                               ;   in Loop: Header=BB144_10 Depth=1
	v_dual_ashrrev_i32 v7, 31, v6 :: v_dual_mov_b32 v31, s5
	v_mul_lo_u32 v17, v3, s7
	v_mov_b32_e32 v32, v19
	s_mov_b32 s21, 0
	s_delay_alu instid0(VALU_DEP_3) | instskip(NEXT) | instid1(VALU_DEP_1)
	v_add_nc_u64_e32 v[14:15], v[4:5], v[6:7]
	v_lshl_add_u64 v[6:7], v[14:15], 2, s[10:11]
	v_lshl_add_u64 v[14:15], v[14:15], 3, s[8:9]
	s_branch .LBB144_13
.LBB144_12:                             ;   in Loop: Header=BB144_13 Depth=2
	s_wait_xcnt 0x0
	s_or_b32 exec_lo, exec_lo, s0
	v_add_nc_u32_e32 v16, 8, v16
	s_xor_b32 s22, vcc_lo, -1
	v_add_nc_u64_e32 v[6:7], 32, v[6:7]
	v_add_nc_u64_e32 v[14:15], 64, v[14:15]
	s_delay_alu instid0(VALU_DEP_3) | instskip(SKIP_1) | instid1(SALU_CYCLE_1)
	v_cmp_ge_i32_e64 s0, v16, v19
	s_or_b32 s0, s22, s0
	s_and_b32 s0, exec_lo, s0
	s_delay_alu instid0(SALU_CYCLE_1) | instskip(NEXT) | instid1(SALU_CYCLE_1)
	s_or_b32 s21, s0, s21
	s_and_not1_b32 exec_lo, exec_lo, s21
	s_cbranch_execz .LBB144_17
.LBB144_13:                             ;   Parent Loop BB144_10 Depth=1
                                        ; =>  This Inner Loop Header: Depth=2
	global_load_b32 v0, v[6:7], off
	s_wait_loadcnt 0x0
	v_subrev_nc_u32_e32 v33, s16, v0
	s_delay_alu instid0(VALU_DEP_1) | instskip(NEXT) | instid1(VALU_DEP_1)
	v_sub_nc_u32_e32 v0, 0, v33
	v_max_i32_e32 v0, v33, v0
	s_delay_alu instid0(VALU_DEP_1) | instskip(NEXT) | instid1(VALU_DEP_1)
	v_mul_u64_e32 v[34:35], s[12:13], v[0:1]
	v_mul_lo_u32 v34, v35, s6
	s_delay_alu instid0(VALU_DEP_1) | instskip(NEXT) | instid1(VALU_DEP_1)
	v_dual_sub_nc_u32 v0, v0, v34 :: v_dual_add_nc_u32 v34, 1, v35
	v_cmp_le_u32_e32 vcc_lo, s6, v0
	s_delay_alu instid0(VALU_DEP_2) | instskip(SKIP_1) | instid1(VALU_DEP_1)
	v_dual_cndmask_b32 v34, v35, v34 :: v_dual_ashrrev_i32 v35, 31, v33
	v_subrev_nc_u32_e32 v36, s6, v0
	v_dual_cndmask_b32 v0, v0, v36, vcc_lo :: v_dual_add_nc_u32 v36, 1, v34
	s_delay_alu instid0(VALU_DEP_1) | instskip(NEXT) | instid1(VALU_DEP_2)
	v_cmp_le_u32_e32 vcc_lo, s6, v0
	v_dual_cndmask_b32 v0, v34, v36, vcc_lo :: v_dual_bitop2_b32 v35, s1, v35 bitop3:0x14
	s_delay_alu instid0(VALU_DEP_1) | instskip(NEXT) | instid1(VALU_DEP_1)
	v_xor_b32_e32 v0, v0, v35
	v_sub_nc_u32_e32 v34, v0, v35
	v_mov_b32_e32 v0, v32
	s_delay_alu instid0(VALU_DEP_2) | instskip(SKIP_3) | instid1(SALU_CYCLE_1)
	v_cmp_ne_u32_e64 s0, v34, v3
	v_cmp_eq_u32_e32 vcc_lo, v34, v3
	s_wait_xcnt 0x0
	s_and_saveexec_b32 s22, s0
	s_xor_b32 s0, exec_lo, s22
; %bb.14:                               ;   in Loop: Header=BB144_13 Depth=2
	v_min_i32_e32 v31, v34, v31
                                        ; implicit-def: $vgpr33
                                        ; implicit-def: $vgpr0
; %bb.15:                               ;   in Loop: Header=BB144_13 Depth=2
	s_or_saveexec_b32 s0, s0
	v_mov_b32_e32 v32, v16
	s_xor_b32 exec_lo, exec_lo, s0
	s_cbranch_execz .LBB144_12
; %bb.16:                               ;   in Loop: Header=BB144_13 Depth=2
	global_load_b64 v[34:35], v[14:15], off
	v_sub_nc_u32_e32 v32, v33, v17
	s_delay_alu instid0(VALU_DEP_1)
	v_lshl_add_u32 v33, v32, 3, v20
	v_mov_b32_e32 v32, v0
	ds_store_b8 v18, v30 offset:2048
	s_wait_loadcnt 0x0
	ds_store_b64 v33, v[34:35]
	s_branch .LBB144_12
.LBB144_17:                             ;   in Loop: Header=BB144_10 Depth=1
	s_or_b32 exec_lo, exec_lo, s21
.LBB144_18:                             ;   in Loop: Header=BB144_10 Depth=1
	s_delay_alu instid0(SALU_CYCLE_1)
	s_or_b32 exec_lo, exec_lo, s20
	ds_bpermute_b32 v0, v21, v32
	s_wait_dscnt 0x0
	ds_load_u8 v7, v18 offset:2048
	v_min_i32_e32 v0, v0, v32
	ds_bpermute_b32 v6, v22, v0
	s_wait_dscnt 0x0
	v_min_i32_e32 v0, v6, v0
	ds_bpermute_b32 v6, v23, v0
	s_wait_dscnt 0x0
	v_min_i32_e32 v0, v6, v0
	ds_bpermute_b32 v6, v24, v0
	v_and_b32_e32 v0, 1, v7
	s_delay_alu instid0(VALU_DEP_1)
	v_cmp_eq_u32_e32 vcc_lo, 1, v0
	v_mov_b32_e32 v0, 0
	s_and_saveexec_b32 s0, vcc_lo
	s_cbranch_execz .LBB144_9
; %bb.19:                               ;   in Loop: Header=BB144_10 Depth=1
	v_add_nc_u32_e32 v0, s17, v3
	global_store_b32 v2, v0, s[2:3] scale_offset
	s_wait_xcnt 0x0
	s_and_saveexec_b32 s20, s4
	s_cbranch_execz .LBB144_8
; %bb.20:                               ;   in Loop: Header=BB144_10 Depth=1
	v_ashrrev_i32_e32 v3, 31, v2
	ds_load_b64 v[16:17], v25
	s_and_b32 vcc_lo, exec_lo, s18
	v_mul_u64_e32 v[14:15], s[14:15], v[2:3]
	s_cbranch_vccz .LBB144_22
; %bb.21:                               ;   in Loop: Header=BB144_10 Depth=1
	s_delay_alu instid0(VALU_DEP_1)
	v_lshl_add_u64 v[32:33], v[14:15], 3, v[8:9]
	s_wait_dscnt 0x0
	global_store_b64 v[32:33], v[16:17], off
	s_cbranch_execnz .LBB144_8
	s_branch .LBB144_23
.LBB144_22:                             ;   in Loop: Header=BB144_10 Depth=1
.LBB144_23:                             ;   in Loop: Header=BB144_10 Depth=1
	s_delay_alu instid0(VALU_DEP_1)
	v_lshl_add_u64 v[14:15], v[14:15], 3, v[10:11]
	s_wait_dscnt 0x0
	global_store_b64 v[14:15], v[16:17], off
	s_branch .LBB144_8
.LBB144_24:
	s_endpgm
	.section	.rodata,"a",@progbits
	.p2align	6, 0x0
	.amdhsa_kernel _ZN9rocsparseL44csr2gebsr_wavefront_per_row_multipass_kernelILi256ELi8ELi8ELi64E21rocsparse_complex_numIfEEEv20rocsparse_direction_iiiiii21rocsparse_index_base_PKT3_PKiS9_S4_PS5_PiSB_
		.amdhsa_group_segment_fixed_size 2052
		.amdhsa_private_segment_fixed_size 0
		.amdhsa_kernarg_size 88
		.amdhsa_user_sgpr_count 2
		.amdhsa_user_sgpr_dispatch_ptr 0
		.amdhsa_user_sgpr_queue_ptr 0
		.amdhsa_user_sgpr_kernarg_segment_ptr 1
		.amdhsa_user_sgpr_dispatch_id 0
		.amdhsa_user_sgpr_kernarg_preload_length 0
		.amdhsa_user_sgpr_kernarg_preload_offset 0
		.amdhsa_user_sgpr_private_segment_size 0
		.amdhsa_wavefront_size32 1
		.amdhsa_uses_dynamic_stack 0
		.amdhsa_enable_private_segment 0
		.amdhsa_system_sgpr_workgroup_id_x 1
		.amdhsa_system_sgpr_workgroup_id_y 0
		.amdhsa_system_sgpr_workgroup_id_z 0
		.amdhsa_system_sgpr_workgroup_info 0
		.amdhsa_system_vgpr_workitem_id 0
		.amdhsa_next_free_vgpr 37
		.amdhsa_next_free_sgpr 23
		.amdhsa_named_barrier_count 0
		.amdhsa_reserve_vcc 1
		.amdhsa_float_round_mode_32 0
		.amdhsa_float_round_mode_16_64 0
		.amdhsa_float_denorm_mode_32 3
		.amdhsa_float_denorm_mode_16_64 3
		.amdhsa_fp16_overflow 0
		.amdhsa_memory_ordered 1
		.amdhsa_forward_progress 1
		.amdhsa_inst_pref_size 12
		.amdhsa_round_robin_scheduling 0
		.amdhsa_exception_fp_ieee_invalid_op 0
		.amdhsa_exception_fp_denorm_src 0
		.amdhsa_exception_fp_ieee_div_zero 0
		.amdhsa_exception_fp_ieee_overflow 0
		.amdhsa_exception_fp_ieee_underflow 0
		.amdhsa_exception_fp_ieee_inexact 0
		.amdhsa_exception_int_div_zero 0
	.end_amdhsa_kernel
	.section	.text._ZN9rocsparseL44csr2gebsr_wavefront_per_row_multipass_kernelILi256ELi8ELi8ELi64E21rocsparse_complex_numIfEEEv20rocsparse_direction_iiiiii21rocsparse_index_base_PKT3_PKiS9_S4_PS5_PiSB_,"axG",@progbits,_ZN9rocsparseL44csr2gebsr_wavefront_per_row_multipass_kernelILi256ELi8ELi8ELi64E21rocsparse_complex_numIfEEEv20rocsparse_direction_iiiiii21rocsparse_index_base_PKT3_PKiS9_S4_PS5_PiSB_,comdat
.Lfunc_end144:
	.size	_ZN9rocsparseL44csr2gebsr_wavefront_per_row_multipass_kernelILi256ELi8ELi8ELi64E21rocsparse_complex_numIfEEEv20rocsparse_direction_iiiiii21rocsparse_index_base_PKT3_PKiS9_S4_PS5_PiSB_, .Lfunc_end144-_ZN9rocsparseL44csr2gebsr_wavefront_per_row_multipass_kernelILi256ELi8ELi8ELi64E21rocsparse_complex_numIfEEEv20rocsparse_direction_iiiiii21rocsparse_index_base_PKT3_PKiS9_S4_PS5_PiSB_
                                        ; -- End function
	.set _ZN9rocsparseL44csr2gebsr_wavefront_per_row_multipass_kernelILi256ELi8ELi8ELi64E21rocsparse_complex_numIfEEEv20rocsparse_direction_iiiiii21rocsparse_index_base_PKT3_PKiS9_S4_PS5_PiSB_.num_vgpr, 37
	.set _ZN9rocsparseL44csr2gebsr_wavefront_per_row_multipass_kernelILi256ELi8ELi8ELi64E21rocsparse_complex_numIfEEEv20rocsparse_direction_iiiiii21rocsparse_index_base_PKT3_PKiS9_S4_PS5_PiSB_.num_agpr, 0
	.set _ZN9rocsparseL44csr2gebsr_wavefront_per_row_multipass_kernelILi256ELi8ELi8ELi64E21rocsparse_complex_numIfEEEv20rocsparse_direction_iiiiii21rocsparse_index_base_PKT3_PKiS9_S4_PS5_PiSB_.numbered_sgpr, 23
	.set _ZN9rocsparseL44csr2gebsr_wavefront_per_row_multipass_kernelILi256ELi8ELi8ELi64E21rocsparse_complex_numIfEEEv20rocsparse_direction_iiiiii21rocsparse_index_base_PKT3_PKiS9_S4_PS5_PiSB_.num_named_barrier, 0
	.set _ZN9rocsparseL44csr2gebsr_wavefront_per_row_multipass_kernelILi256ELi8ELi8ELi64E21rocsparse_complex_numIfEEEv20rocsparse_direction_iiiiii21rocsparse_index_base_PKT3_PKiS9_S4_PS5_PiSB_.private_seg_size, 0
	.set _ZN9rocsparseL44csr2gebsr_wavefront_per_row_multipass_kernelILi256ELi8ELi8ELi64E21rocsparse_complex_numIfEEEv20rocsparse_direction_iiiiii21rocsparse_index_base_PKT3_PKiS9_S4_PS5_PiSB_.uses_vcc, 1
	.set _ZN9rocsparseL44csr2gebsr_wavefront_per_row_multipass_kernelILi256ELi8ELi8ELi64E21rocsparse_complex_numIfEEEv20rocsparse_direction_iiiiii21rocsparse_index_base_PKT3_PKiS9_S4_PS5_PiSB_.uses_flat_scratch, 0
	.set _ZN9rocsparseL44csr2gebsr_wavefront_per_row_multipass_kernelILi256ELi8ELi8ELi64E21rocsparse_complex_numIfEEEv20rocsparse_direction_iiiiii21rocsparse_index_base_PKT3_PKiS9_S4_PS5_PiSB_.has_dyn_sized_stack, 0
	.set _ZN9rocsparseL44csr2gebsr_wavefront_per_row_multipass_kernelILi256ELi8ELi8ELi64E21rocsparse_complex_numIfEEEv20rocsparse_direction_iiiiii21rocsparse_index_base_PKT3_PKiS9_S4_PS5_PiSB_.has_recursion, 0
	.set _ZN9rocsparseL44csr2gebsr_wavefront_per_row_multipass_kernelILi256ELi8ELi8ELi64E21rocsparse_complex_numIfEEEv20rocsparse_direction_iiiiii21rocsparse_index_base_PKT3_PKiS9_S4_PS5_PiSB_.has_indirect_call, 0
	.section	.AMDGPU.csdata,"",@progbits
; Kernel info:
; codeLenInByte = 1484
; TotalNumSgprs: 25
; NumVgprs: 37
; ScratchSize: 0
; MemoryBound: 0
; FloatMode: 240
; IeeeMode: 1
; LDSByteSize: 2052 bytes/workgroup (compile time only)
; SGPRBlocks: 0
; VGPRBlocks: 2
; NumSGPRsForWavesPerEU: 25
; NumVGPRsForWavesPerEU: 37
; NamedBarCnt: 0
; Occupancy: 16
; WaveLimiterHint : 0
; COMPUTE_PGM_RSRC2:SCRATCH_EN: 0
; COMPUTE_PGM_RSRC2:USER_SGPR: 2
; COMPUTE_PGM_RSRC2:TRAP_HANDLER: 0
; COMPUTE_PGM_RSRC2:TGID_X_EN: 1
; COMPUTE_PGM_RSRC2:TGID_Y_EN: 0
; COMPUTE_PGM_RSRC2:TGID_Z_EN: 0
; COMPUTE_PGM_RSRC2:TIDIG_COMP_CNT: 0
	.section	.text._ZN9rocsparseL44csr2gebsr_wavefront_per_row_multipass_kernelILi256ELi8ELi8ELi32E21rocsparse_complex_numIfEEEv20rocsparse_direction_iiiiii21rocsparse_index_base_PKT3_PKiS9_S4_PS5_PiSB_,"axG",@progbits,_ZN9rocsparseL44csr2gebsr_wavefront_per_row_multipass_kernelILi256ELi8ELi8ELi32E21rocsparse_complex_numIfEEEv20rocsparse_direction_iiiiii21rocsparse_index_base_PKT3_PKiS9_S4_PS5_PiSB_,comdat
	.globl	_ZN9rocsparseL44csr2gebsr_wavefront_per_row_multipass_kernelILi256ELi8ELi8ELi32E21rocsparse_complex_numIfEEEv20rocsparse_direction_iiiiii21rocsparse_index_base_PKT3_PKiS9_S4_PS5_PiSB_ ; -- Begin function _ZN9rocsparseL44csr2gebsr_wavefront_per_row_multipass_kernelILi256ELi8ELi8ELi32E21rocsparse_complex_numIfEEEv20rocsparse_direction_iiiiii21rocsparse_index_base_PKT3_PKiS9_S4_PS5_PiSB_
	.p2align	8
	.type	_ZN9rocsparseL44csr2gebsr_wavefront_per_row_multipass_kernelILi256ELi8ELi8ELi32E21rocsparse_complex_numIfEEEv20rocsparse_direction_iiiiii21rocsparse_index_base_PKT3_PKiS9_S4_PS5_PiSB_,@function
_ZN9rocsparseL44csr2gebsr_wavefront_per_row_multipass_kernelILi256ELi8ELi8ELi32E21rocsparse_complex_numIfEEEv20rocsparse_direction_iiiiii21rocsparse_index_base_PKT3_PKiS9_S4_PS5_PiSB_: ; @_ZN9rocsparseL44csr2gebsr_wavefront_per_row_multipass_kernelILi256ELi8ELi8ELi32E21rocsparse_complex_numIfEEEv20rocsparse_direction_iiiiii21rocsparse_index_base_PKT3_PKiS9_S4_PS5_PiSB_
; %bb.0:
	s_clause 0x1
	s_load_b128 s[4:7], s[0:1], 0xc
	s_load_b64 s[12:13], s[0:1], 0x0
	s_bfe_u32 s2, ttmp6, 0x4000c
	s_and_b32 s3, ttmp6, 15
	s_add_co_i32 s2, s2, 1
	s_getreg_b32 s8, hwreg(HW_REG_IB_STS2, 6, 4)
	s_mul_i32 s2, ttmp9, s2
	v_dual_lshrrev_b32 v20, 5, v0 :: v_dual_mov_b32 v2, 0
	s_add_co_i32 s3, s3, s2
	s_cmp_eq_u32 s8, 0
	v_bfe_u32 v3, v0, 2, 3
	s_cselect_b32 s2, ttmp9, s3
	s_clause 0x1
	s_load_b32 s18, s[0:1], 0x1c
	s_load_b64 s[8:9], s[0:1], 0x28
	v_lshl_or_b32 v1, s2, 3, v20
	v_mov_b32_e32 v18, 0
	s_wait_kmcnt 0x0
	s_delay_alu instid0(VALU_DEP_2) | instskip(SKIP_1) | instid1(VALU_DEP_2)
	v_mad_u32 v4, v1, s6, v3
	v_cmp_gt_i32_e32 vcc_lo, s6, v3
	v_cmp_gt_i32_e64 s2, s13, v4
	s_and_b32 s2, vcc_lo, s2
	s_delay_alu instid0(SALU_CYCLE_1)
	s_and_saveexec_b32 s3, s2
	s_cbranch_execz .LBB145_2
; %bb.1:
	global_load_b32 v5, v4, s[8:9] scale_offset
	s_wait_loadcnt 0x0
	v_subrev_nc_u32_e32 v18, s18, v5
.LBB145_2:
	s_or_b32 exec_lo, exec_lo, s3
	v_mov_b32_e32 v21, 0
	s_and_saveexec_b32 s3, s2
	s_cbranch_execz .LBB145_4
; %bb.3:
	global_load_b32 v4, v4, s[8:9] offset:4 scale_offset
	s_wait_loadcnt 0x0
	v_subrev_nc_u32_e32 v21, s18, v4
.LBB145_4:
	s_or_b32 exec_lo, exec_lo, s3
	s_load_b32 s19, s[0:1], 0x38
	s_mov_b32 s3, exec_lo
	v_cmpx_gt_i32_e64 s4, v1
	s_cbranch_execz .LBB145_6
; %bb.5:
	s_load_b64 s[8:9], s[0:1], 0x48
	s_wait_kmcnt 0x0
	global_load_b32 v1, v1, s[8:9] scale_offset
	s_wait_loadcnt 0x0
	v_subrev_nc_u32_e32 v2, s19, v1
.LBB145_6:
	s_or_b32 exec_lo, exec_lo, s3
	s_cmp_lt_i32 s5, 1
	s_cbranch_scc1 .LBB145_31
; %bb.7:
	v_mbcnt_lo_u32_b32 v10, -1, 0
	s_clause 0x3
	s_load_b64 s[2:3], s[0:1], 0x50
	s_load_b64 s[20:21], s[0:1], 0x40
	;; [unrolled: 1-line block ×4, first 2 shown]
	v_mul_lo_u32 v4, s7, v3
	s_cmp_lg_u32 s12, 0
	s_mov_b32 s13, 0
	v_dual_lshlrev_b32 v6, 6, v3 :: v_dual_bitop2_b32 v1, 2, v10 bitop3:0x14
	s_cselect_b32 s4, -1, 0
	s_mov_b32 s12, s6
	s_ashr_i32 s15, s7, 31
	s_wait_xcnt 0x0
	v_cmp_gt_i32_e64 s0, 32, v1
	v_xor_b32_e32 v5, 1, v10
	v_lshl_or_b32 v23, v20, 9, v6
	s_mov_b32 s14, s7
	v_lshl_or_b32 v26, v10, 2, 12
	v_cndmask_b32_e64 v1, v10, v1, s0
	v_cmp_gt_i32_e64 s0, 32, v5
	s_mul_u64 s[16:17], s[14:15], s[12:13]
	s_abs_i32 s14, s7
	v_mov_b64_e32 v[12:13], 0
	v_dual_cndmask_b32 v5, v10, v5, s0 :: v_dual_bitop2_b32 v22, 3, v0 bitop3:0x40
	v_dual_mov_b32 v1, 0 :: v_dual_lshlrev_b32 v24, 2, v1
	v_dual_lshlrev_b32 v0, 3, v3 :: v_dual_bitop2_b32 v3, 8, v10 bitop3:0x14
	s_delay_alu instid0(VALU_DEP_3) | instskip(NEXT) | instid1(VALU_DEP_3)
	v_dual_lshlrev_b32 v25, 2, v5 :: v_dual_ashrrev_i32 v5, 31, v4
	v_dual_mov_b32 v7, v1 :: v_dual_lshlrev_b32 v6, 3, v22
	s_cvt_f32_u32 s1, s14
	v_dual_mov_b32 v11, v1 :: v_dual_bitop2_b32 v32, -4, v22 bitop3:0x54
	s_wait_kmcnt 0x0
	v_lshl_add_u64 v[8:9], v[4:5], 3, s[20:21]
	v_add_nc_u64_e32 v[4:5], s[20:21], v[0:1]
	v_xor_b32_e32 v0, 16, v10
	v_dual_mov_b32 v33, 1 :: v_dual_bitop2_b32 v27, v23, v6 bitop3:0x54
	v_mov_b32_e32 v35, 0
	v_add_nc_u64_e32 v[6:7], v[8:9], v[6:7]
	s_delay_alu instid0(VALU_DEP_4) | instskip(SKIP_2) | instid1(VALU_DEP_2)
	v_cmp_gt_i32_e64 s0, 32, v0
	v_rcp_iflag_f32_e32 v9, s1
	v_mov_b32_e32 v31, 0x7c
	v_dual_cndmask_b32 v0, v10, v0, s0 :: v_dual_bitop2_b32 v8, 4, v10 bitop3:0x14
	v_cmp_gt_i32_e64 s0, 32, v3
	s_delay_alu instid0(VALU_DEP_2) | instskip(NEXT) | instid1(VALU_DEP_2)
	v_dual_lshlrev_b32 v28, 2, v0 :: v_dual_bitop2_b32 v0, 4, v22 bitop3:0x54
	v_cndmask_b32_e64 v3, v10, v3, s0
	s_delay_alu instid0(VALU_DEP_4) | instskip(NEXT) | instid1(VALU_DEP_1)
	v_cmp_gt_i32_e64 s0, 32, v8
	v_dual_lshlrev_b32 v29, 2, v3 :: v_dual_cndmask_b32 v10, v10, v8, s0
	v_mul_lo_u32 v8, v22, s6
	v_readfirstlane_b32 s0, v9
	v_mov_b32_e32 v9, v1
	v_cmp_gt_u32_e64 s1, s7, v0
	v_lshlrev_b32_e32 v30, 2, v10
	s_mul_f32 s12, s0, 0x4f7ffffe
	v_cmp_gt_u32_e64 s0, s7, v22
	s_and_b32 s1, vcc_lo, s1
	s_delay_alu instid0(SALU_CYCLE_1) | instskip(SKIP_2) | instid1(SALU_CYCLE_1)
	s_cvt_u32_f32 s12, s12
	v_lshl_add_u32 v10, s6, 2, v8
	s_sub_co_i32 s6, 0, s14
	s_mul_i32 s20, s6, s12
	s_and_b32 s6, s0, vcc_lo
	s_mul_hi_u32 s0, s12, s20
	s_mov_b32 s20, s13
	s_add_co_i32 s12, s12, s0
	s_branch .LBB145_10
.LBB145_8:                              ;   in Loop: Header=BB145_10 Depth=1
	s_wait_xcnt 0x0
	s_or_b32 exec_lo, exec_lo, s21
	v_mov_b32_e32 v0, 1
.LBB145_9:                              ;   in Loop: Header=BB145_10 Depth=1
	s_or_b32 exec_lo, exec_lo, s0
	ds_bpermute_b32 v3, v28, v34
	s_wait_storecnt_dscnt 0x0
	v_add_nc_u32_e32 v2, v0, v2
	v_min_i32_e32 v3, v3, v34
	ds_bpermute_b32 v14, v29, v3
	s_wait_dscnt 0x0
	v_min_i32_e32 v3, v14, v3
	ds_bpermute_b32 v14, v30, v3
	s_wait_dscnt 0x0
	;; [unrolled: 3-line block ×5, first 2 shown]
	v_cmp_le_i32_e32 vcc_lo, s5, v35
	s_or_b32 s20, vcc_lo, s20
	s_delay_alu instid0(SALU_CYCLE_1)
	s_and_not1_b32 exec_lo, exec_lo, s20
	s_cbranch_execz .LBB145_31
.LBB145_10:                             ; =>This Loop Header: Depth=1
                                        ;     Child Loop BB145_11 Depth 2
                                        ;     Child Loop BB145_15 Depth 2
	v_dual_mov_b32 v0, v27 :: v_dual_mov_b32 v3, v32
	s_mov_b32 s0, 0
	ds_store_b8 v20, v1 offset:4096
.LBB145_11:                             ;   Parent Loop BB145_10 Depth=1
                                        ; =>  This Inner Loop Header: Depth=2
	v_add_co_u32 v3, s21, v3, 4
	s_xor_b32 s21, s21, -1
	ds_store_b64 v0, v[12:13]
	v_add_nc_u32_e32 v0, 32, v0
	s_and_b32 s21, exec_lo, s21
	s_delay_alu instid0(SALU_CYCLE_1) | instskip(NEXT) | instid1(SALU_CYCLE_1)
	s_or_b32 s0, s21, s0
	s_and_not1_b32 exec_lo, exec_lo, s0
	s_cbranch_execnz .LBB145_11
; %bb.12:                               ;   in Loop: Header=BB145_10 Depth=1
	s_or_b32 exec_lo, exec_lo, s0
	v_dual_add_nc_u32 v14, v18, v22 :: v_dual_mov_b32 v34, s5
	v_mov_b32_e32 v15, v21
	s_mov_b32 s21, exec_lo
	s_wait_dscnt 0x0
	s_delay_alu instid0(VALU_DEP_2)
	v_cmpx_lt_i32_e64 v14, v21
	s_cbranch_execz .LBB145_20
; %bb.13:                               ;   in Loop: Header=BB145_10 Depth=1
	v_mul_lo_u32 v3, v35, s7
	v_dual_mov_b32 v34, s5 :: v_dual_ashrrev_i32 v15, 31, v14
	s_mov_b32 s22, 0
	s_delay_alu instid0(VALU_DEP_1)
	v_lshl_add_u64 v[16:17], v[14:15], 2, s[10:11]
	v_lshl_add_u64 v[18:19], v[14:15], 3, s[8:9]
	v_mov_b32_e32 v15, v21
	s_branch .LBB145_15
.LBB145_14:                             ;   in Loop: Header=BB145_15 Depth=2
	s_wait_xcnt 0x0
	s_or_b32 exec_lo, exec_lo, s0
	v_add_nc_u32_e32 v14, 4, v14
	s_xor_b32 s23, vcc_lo, -1
	v_add_nc_u64_e32 v[16:17], 16, v[16:17]
	v_add_nc_u64_e32 v[18:19], 32, v[18:19]
	s_delay_alu instid0(VALU_DEP_3) | instskip(SKIP_1) | instid1(SALU_CYCLE_1)
	v_cmp_ge_i32_e64 s0, v14, v21
	s_or_b32 s0, s23, s0
	s_and_b32 s0, exec_lo, s0
	s_delay_alu instid0(SALU_CYCLE_1) | instskip(NEXT) | instid1(SALU_CYCLE_1)
	s_or_b32 s22, s0, s22
	s_and_not1_b32 exec_lo, exec_lo, s22
	s_cbranch_execz .LBB145_19
.LBB145_15:                             ;   Parent Loop BB145_10 Depth=1
                                        ; =>  This Inner Loop Header: Depth=2
	global_load_b32 v0, v[16:17], off
	s_wait_loadcnt 0x0
	v_subrev_nc_u32_e32 v36, s18, v0
	s_delay_alu instid0(VALU_DEP_1) | instskip(NEXT) | instid1(VALU_DEP_1)
	v_sub_nc_u32_e32 v0, 0, v36
	v_max_i32_e32 v0, v36, v0
	s_delay_alu instid0(VALU_DEP_1) | instskip(NEXT) | instid1(VALU_DEP_1)
	v_mul_u64_e32 v[38:39], s[12:13], v[0:1]
	v_mul_lo_u32 v37, v39, s14
	s_delay_alu instid0(VALU_DEP_1) | instskip(NEXT) | instid1(VALU_DEP_1)
	v_dual_sub_nc_u32 v0, v0, v37 :: v_dual_add_nc_u32 v37, 1, v39
	v_cmp_le_u32_e32 vcc_lo, s14, v0
	s_delay_alu instid0(VALU_DEP_2) | instskip(SKIP_1) | instid1(VALU_DEP_1)
	v_dual_cndmask_b32 v37, v39, v37, vcc_lo :: v_dual_ashrrev_i32 v39, 31, v36
	v_subrev_nc_u32_e32 v38, s14, v0
	v_dual_cndmask_b32 v0, v0, v38, vcc_lo :: v_dual_add_nc_u32 v38, 1, v37
	s_delay_alu instid0(VALU_DEP_1) | instskip(NEXT) | instid1(VALU_DEP_2)
	v_cmp_le_u32_e32 vcc_lo, s14, v0
	v_dual_cndmask_b32 v0, v37, v38, vcc_lo :: v_dual_bitop2_b32 v39, s15, v39 bitop3:0x14
	s_delay_alu instid0(VALU_DEP_1) | instskip(NEXT) | instid1(VALU_DEP_1)
	v_xor_b32_e32 v0, v0, v39
	v_dual_mov_b32 v0, v15 :: v_dual_sub_nc_u32 v37, v0, v39
	s_delay_alu instid0(VALU_DEP_1) | instskip(SKIP_3) | instid1(SALU_CYCLE_1)
	v_cmp_ne_u32_e64 s0, v37, v35
	v_cmp_eq_u32_e32 vcc_lo, v37, v35
	s_wait_xcnt 0x0
	s_and_saveexec_b32 s23, s0
	s_xor_b32 s0, exec_lo, s23
; %bb.16:                               ;   in Loop: Header=BB145_15 Depth=2
	v_min_i32_e32 v34, v37, v34
                                        ; implicit-def: $vgpr36
                                        ; implicit-def: $vgpr0
; %bb.17:                               ;   in Loop: Header=BB145_15 Depth=2
	s_or_saveexec_b32 s0, s0
	v_mov_b32_e32 v15, v14
	s_xor_b32 exec_lo, exec_lo, s0
	s_cbranch_execz .LBB145_14
; %bb.18:                               ;   in Loop: Header=BB145_15 Depth=2
	global_load_b64 v[38:39], v[18:19], off
	v_sub_nc_u32_e32 v15, v36, v3
	s_delay_alu instid0(VALU_DEP_1)
	v_lshl_add_u32 v36, v15, 3, v23
	v_mov_b32_e32 v15, v0
	ds_store_b8 v20, v33 offset:4096
	s_wait_loadcnt 0x0
	ds_store_b64 v36, v[38:39]
	s_branch .LBB145_14
.LBB145_19:                             ;   in Loop: Header=BB145_10 Depth=1
	s_or_b32 exec_lo, exec_lo, s22
.LBB145_20:                             ;   in Loop: Header=BB145_10 Depth=1
	s_delay_alu instid0(SALU_CYCLE_1)
	s_or_b32 exec_lo, exec_lo, s21
	ds_bpermute_b32 v0, v24, v15
	s_wait_dscnt 0x0
	ds_load_u8 v14, v20 offset:4096
	v_min_i32_e32 v0, v0, v15
	ds_bpermute_b32 v3, v25, v0
	s_wait_dscnt 0x0
	v_min_i32_e32 v0, v3, v0
	ds_bpermute_b32 v18, v26, v0
	v_and_b32_e32 v0, 1, v14
	s_delay_alu instid0(VALU_DEP_1)
	v_cmp_eq_u32_e32 vcc_lo, 1, v0
	v_mov_b32_e32 v0, 0
	s_and_saveexec_b32 s0, vcc_lo
	s_cbranch_execz .LBB145_9
; %bb.21:                               ;   in Loop: Header=BB145_10 Depth=1
	v_dual_ashrrev_i32 v3, 31, v2 :: v_dual_add_nc_u32 v0, s19, v35
	s_delay_alu instid0(VALU_DEP_1) | instskip(SKIP_2) | instid1(VALU_DEP_1)
	v_mul_u64_e32 v[14:15], s[16:17], v[2:3]
	global_store_b32 v2, v0, s[2:3] scale_offset
	v_lshlrev_b64_e32 v[14:15], 3, v[14:15]
	v_add_nc_u64_e32 v[16:17], v[4:5], v[14:15]
	v_add_nc_u64_e32 v[14:15], v[6:7], v[14:15]
	s_wait_xcnt 0x0
	s_and_saveexec_b32 s21, s6
	s_cbranch_execz .LBB145_25
; %bb.22:                               ;   in Loop: Header=BB145_10 Depth=1
	s_and_b32 vcc_lo, exec_lo, s4
	s_cbranch_vccz .LBB145_28
; %bb.23:                               ;   in Loop: Header=BB145_10 Depth=1
	ds_load_b64 v[36:37], v27
	v_lshl_add_u64 v[38:39], v[8:9], 3, v[16:17]
	s_wait_dscnt 0x0
	global_store_b64 v[38:39], v[36:37], off
	s_cbranch_execnz .LBB145_25
.LBB145_24:                             ;   in Loop: Header=BB145_10 Depth=1
	s_wait_xcnt 0x0
	ds_load_b64 v[36:37], v27
	s_wait_dscnt 0x0
	global_store_b64 v[14:15], v[36:37], off
.LBB145_25:                             ;   in Loop: Header=BB145_10 Depth=1
	s_wait_xcnt 0x0
	s_or_b32 exec_lo, exec_lo, s21
	s_and_saveexec_b32 s21, s1
	s_cbranch_execz .LBB145_8
; %bb.26:                               ;   in Loop: Header=BB145_10 Depth=1
	s_and_not1_b32 vcc_lo, exec_lo, s4
	s_cbranch_vccnz .LBB145_29
; %bb.27:                               ;   in Loop: Header=BB145_10 Depth=1
	ds_load_b64 v[36:37], v27 offset:32
	v_lshl_add_u64 v[16:17], v[10:11], 3, v[16:17]
	s_wait_dscnt 0x0
	global_store_b64 v[16:17], v[36:37], off
	s_cbranch_execnz .LBB145_8
	s_branch .LBB145_30
.LBB145_28:                             ;   in Loop: Header=BB145_10 Depth=1
	s_branch .LBB145_24
.LBB145_29:                             ;   in Loop: Header=BB145_10 Depth=1
.LBB145_30:                             ;   in Loop: Header=BB145_10 Depth=1
	s_wait_xcnt 0x0
	ds_load_b64 v[16:17], v27 offset:32
	s_wait_dscnt 0x0
	global_store_b64 v[14:15], v[16:17], off offset:32
	s_branch .LBB145_8
.LBB145_31:
	s_endpgm
	.section	.rodata,"a",@progbits
	.p2align	6, 0x0
	.amdhsa_kernel _ZN9rocsparseL44csr2gebsr_wavefront_per_row_multipass_kernelILi256ELi8ELi8ELi32E21rocsparse_complex_numIfEEEv20rocsparse_direction_iiiiii21rocsparse_index_base_PKT3_PKiS9_S4_PS5_PiSB_
		.amdhsa_group_segment_fixed_size 4104
		.amdhsa_private_segment_fixed_size 0
		.amdhsa_kernarg_size 88
		.amdhsa_user_sgpr_count 2
		.amdhsa_user_sgpr_dispatch_ptr 0
		.amdhsa_user_sgpr_queue_ptr 0
		.amdhsa_user_sgpr_kernarg_segment_ptr 1
		.amdhsa_user_sgpr_dispatch_id 0
		.amdhsa_user_sgpr_kernarg_preload_length 0
		.amdhsa_user_sgpr_kernarg_preload_offset 0
		.amdhsa_user_sgpr_private_segment_size 0
		.amdhsa_wavefront_size32 1
		.amdhsa_uses_dynamic_stack 0
		.amdhsa_enable_private_segment 0
		.amdhsa_system_sgpr_workgroup_id_x 1
		.amdhsa_system_sgpr_workgroup_id_y 0
		.amdhsa_system_sgpr_workgroup_id_z 0
		.amdhsa_system_sgpr_workgroup_info 0
		.amdhsa_system_vgpr_workitem_id 0
		.amdhsa_next_free_vgpr 40
		.amdhsa_next_free_sgpr 24
		.amdhsa_named_barrier_count 0
		.amdhsa_reserve_vcc 1
		.amdhsa_float_round_mode_32 0
		.amdhsa_float_round_mode_16_64 0
		.amdhsa_float_denorm_mode_32 3
		.amdhsa_float_denorm_mode_16_64 3
		.amdhsa_fp16_overflow 0
		.amdhsa_memory_ordered 1
		.amdhsa_forward_progress 1
		.amdhsa_inst_pref_size 13
		.amdhsa_round_robin_scheduling 0
		.amdhsa_exception_fp_ieee_invalid_op 0
		.amdhsa_exception_fp_denorm_src 0
		.amdhsa_exception_fp_ieee_div_zero 0
		.amdhsa_exception_fp_ieee_overflow 0
		.amdhsa_exception_fp_ieee_underflow 0
		.amdhsa_exception_fp_ieee_inexact 0
		.amdhsa_exception_int_div_zero 0
	.end_amdhsa_kernel
	.section	.text._ZN9rocsparseL44csr2gebsr_wavefront_per_row_multipass_kernelILi256ELi8ELi8ELi32E21rocsparse_complex_numIfEEEv20rocsparse_direction_iiiiii21rocsparse_index_base_PKT3_PKiS9_S4_PS5_PiSB_,"axG",@progbits,_ZN9rocsparseL44csr2gebsr_wavefront_per_row_multipass_kernelILi256ELi8ELi8ELi32E21rocsparse_complex_numIfEEEv20rocsparse_direction_iiiiii21rocsparse_index_base_PKT3_PKiS9_S4_PS5_PiSB_,comdat
.Lfunc_end145:
	.size	_ZN9rocsparseL44csr2gebsr_wavefront_per_row_multipass_kernelILi256ELi8ELi8ELi32E21rocsparse_complex_numIfEEEv20rocsparse_direction_iiiiii21rocsparse_index_base_PKT3_PKiS9_S4_PS5_PiSB_, .Lfunc_end145-_ZN9rocsparseL44csr2gebsr_wavefront_per_row_multipass_kernelILi256ELi8ELi8ELi32E21rocsparse_complex_numIfEEEv20rocsparse_direction_iiiiii21rocsparse_index_base_PKT3_PKiS9_S4_PS5_PiSB_
                                        ; -- End function
	.set _ZN9rocsparseL44csr2gebsr_wavefront_per_row_multipass_kernelILi256ELi8ELi8ELi32E21rocsparse_complex_numIfEEEv20rocsparse_direction_iiiiii21rocsparse_index_base_PKT3_PKiS9_S4_PS5_PiSB_.num_vgpr, 40
	.set _ZN9rocsparseL44csr2gebsr_wavefront_per_row_multipass_kernelILi256ELi8ELi8ELi32E21rocsparse_complex_numIfEEEv20rocsparse_direction_iiiiii21rocsparse_index_base_PKT3_PKiS9_S4_PS5_PiSB_.num_agpr, 0
	.set _ZN9rocsparseL44csr2gebsr_wavefront_per_row_multipass_kernelILi256ELi8ELi8ELi32E21rocsparse_complex_numIfEEEv20rocsparse_direction_iiiiii21rocsparse_index_base_PKT3_PKiS9_S4_PS5_PiSB_.numbered_sgpr, 24
	.set _ZN9rocsparseL44csr2gebsr_wavefront_per_row_multipass_kernelILi256ELi8ELi8ELi32E21rocsparse_complex_numIfEEEv20rocsparse_direction_iiiiii21rocsparse_index_base_PKT3_PKiS9_S4_PS5_PiSB_.num_named_barrier, 0
	.set _ZN9rocsparseL44csr2gebsr_wavefront_per_row_multipass_kernelILi256ELi8ELi8ELi32E21rocsparse_complex_numIfEEEv20rocsparse_direction_iiiiii21rocsparse_index_base_PKT3_PKiS9_S4_PS5_PiSB_.private_seg_size, 0
	.set _ZN9rocsparseL44csr2gebsr_wavefront_per_row_multipass_kernelILi256ELi8ELi8ELi32E21rocsparse_complex_numIfEEEv20rocsparse_direction_iiiiii21rocsparse_index_base_PKT3_PKiS9_S4_PS5_PiSB_.uses_vcc, 1
	.set _ZN9rocsparseL44csr2gebsr_wavefront_per_row_multipass_kernelILi256ELi8ELi8ELi32E21rocsparse_complex_numIfEEEv20rocsparse_direction_iiiiii21rocsparse_index_base_PKT3_PKiS9_S4_PS5_PiSB_.uses_flat_scratch, 0
	.set _ZN9rocsparseL44csr2gebsr_wavefront_per_row_multipass_kernelILi256ELi8ELi8ELi32E21rocsparse_complex_numIfEEEv20rocsparse_direction_iiiiii21rocsparse_index_base_PKT3_PKiS9_S4_PS5_PiSB_.has_dyn_sized_stack, 0
	.set _ZN9rocsparseL44csr2gebsr_wavefront_per_row_multipass_kernelILi256ELi8ELi8ELi32E21rocsparse_complex_numIfEEEv20rocsparse_direction_iiiiii21rocsparse_index_base_PKT3_PKiS9_S4_PS5_PiSB_.has_recursion, 0
	.set _ZN9rocsparseL44csr2gebsr_wavefront_per_row_multipass_kernelILi256ELi8ELi8ELi32E21rocsparse_complex_numIfEEEv20rocsparse_direction_iiiiii21rocsparse_index_base_PKT3_PKiS9_S4_PS5_PiSB_.has_indirect_call, 0
	.section	.AMDGPU.csdata,"",@progbits
; Kernel info:
; codeLenInByte = 1628
; TotalNumSgprs: 26
; NumVgprs: 40
; ScratchSize: 0
; MemoryBound: 0
; FloatMode: 240
; IeeeMode: 1
; LDSByteSize: 4104 bytes/workgroup (compile time only)
; SGPRBlocks: 0
; VGPRBlocks: 2
; NumSGPRsForWavesPerEU: 26
; NumVGPRsForWavesPerEU: 40
; NamedBarCnt: 0
; Occupancy: 16
; WaveLimiterHint : 0
; COMPUTE_PGM_RSRC2:SCRATCH_EN: 0
; COMPUTE_PGM_RSRC2:USER_SGPR: 2
; COMPUTE_PGM_RSRC2:TRAP_HANDLER: 0
; COMPUTE_PGM_RSRC2:TGID_X_EN: 1
; COMPUTE_PGM_RSRC2:TGID_Y_EN: 0
; COMPUTE_PGM_RSRC2:TGID_Z_EN: 0
; COMPUTE_PGM_RSRC2:TIDIG_COMP_CNT: 0
	.section	.text._ZN9rocsparseL44csr2gebsr_wavefront_per_row_multipass_kernelILi256ELi8ELi16ELi64E21rocsparse_complex_numIfEEEv20rocsparse_direction_iiiiii21rocsparse_index_base_PKT3_PKiS9_S4_PS5_PiSB_,"axG",@progbits,_ZN9rocsparseL44csr2gebsr_wavefront_per_row_multipass_kernelILi256ELi8ELi16ELi64E21rocsparse_complex_numIfEEEv20rocsparse_direction_iiiiii21rocsparse_index_base_PKT3_PKiS9_S4_PS5_PiSB_,comdat
	.globl	_ZN9rocsparseL44csr2gebsr_wavefront_per_row_multipass_kernelILi256ELi8ELi16ELi64E21rocsparse_complex_numIfEEEv20rocsparse_direction_iiiiii21rocsparse_index_base_PKT3_PKiS9_S4_PS5_PiSB_ ; -- Begin function _ZN9rocsparseL44csr2gebsr_wavefront_per_row_multipass_kernelILi256ELi8ELi16ELi64E21rocsparse_complex_numIfEEEv20rocsparse_direction_iiiiii21rocsparse_index_base_PKT3_PKiS9_S4_PS5_PiSB_
	.p2align	8
	.type	_ZN9rocsparseL44csr2gebsr_wavefront_per_row_multipass_kernelILi256ELi8ELi16ELi64E21rocsparse_complex_numIfEEEv20rocsparse_direction_iiiiii21rocsparse_index_base_PKT3_PKiS9_S4_PS5_PiSB_,@function
_ZN9rocsparseL44csr2gebsr_wavefront_per_row_multipass_kernelILi256ELi8ELi16ELi64E21rocsparse_complex_numIfEEEv20rocsparse_direction_iiiiii21rocsparse_index_base_PKT3_PKiS9_S4_PS5_PiSB_: ; @_ZN9rocsparseL44csr2gebsr_wavefront_per_row_multipass_kernelILi256ELi8ELi16ELi64E21rocsparse_complex_numIfEEEv20rocsparse_direction_iiiiii21rocsparse_index_base_PKT3_PKiS9_S4_PS5_PiSB_
; %bb.0:
	s_clause 0x1
	s_load_b128 s[4:7], s[0:1], 0xc
	s_load_b64 s[12:13], s[0:1], 0x0
	s_bfe_u32 s2, ttmp6, 0x4000c
	s_and_b32 s3, ttmp6, 15
	s_add_co_i32 s2, s2, 1
	s_getreg_b32 s8, hwreg(HW_REG_IB_STS2, 6, 4)
	s_mul_i32 s2, ttmp9, s2
	v_dual_lshrrev_b32 v20, 6, v0 :: v_dual_mov_b32 v2, 0
	s_add_co_i32 s3, s3, s2
	s_cmp_eq_u32 s8, 0
	v_bfe_u32 v3, v0, 3, 3
	s_cselect_b32 s2, ttmp9, s3
	s_clause 0x1
	s_load_b32 s18, s[0:1], 0x1c
	s_load_b64 s[8:9], s[0:1], 0x28
	v_lshl_or_b32 v1, s2, 2, v20
	v_mov_b32_e32 v18, 0
	s_wait_kmcnt 0x0
	s_delay_alu instid0(VALU_DEP_2) | instskip(SKIP_1) | instid1(VALU_DEP_2)
	v_mad_u32 v4, v1, s6, v3
	v_cmp_gt_i32_e32 vcc_lo, s6, v3
	v_cmp_gt_i32_e64 s2, s13, v4
	s_and_b32 s2, vcc_lo, s2
	s_delay_alu instid0(SALU_CYCLE_1)
	s_and_saveexec_b32 s3, s2
	s_cbranch_execz .LBB146_2
; %bb.1:
	global_load_b32 v5, v4, s[8:9] scale_offset
	s_wait_loadcnt 0x0
	v_subrev_nc_u32_e32 v18, s18, v5
.LBB146_2:
	s_or_b32 exec_lo, exec_lo, s3
	v_mov_b32_e32 v21, 0
	s_and_saveexec_b32 s3, s2
	s_cbranch_execz .LBB146_4
; %bb.3:
	global_load_b32 v4, v4, s[8:9] offset:4 scale_offset
	s_wait_loadcnt 0x0
	v_subrev_nc_u32_e32 v21, s18, v4
.LBB146_4:
	s_or_b32 exec_lo, exec_lo, s3
	s_load_b32 s19, s[0:1], 0x38
	s_mov_b32 s3, exec_lo
	v_cmpx_gt_i32_e64 s4, v1
	s_cbranch_execz .LBB146_6
; %bb.5:
	s_load_b64 s[8:9], s[0:1], 0x48
	s_wait_kmcnt 0x0
	global_load_b32 v1, v1, s[8:9] scale_offset
	s_wait_loadcnt 0x0
	v_subrev_nc_u32_e32 v2, s19, v1
.LBB146_6:
	s_or_b32 exec_lo, exec_lo, s3
	s_cmp_lt_i32 s5, 1
	s_cbranch_scc1 .LBB146_31
; %bb.7:
	v_mbcnt_lo_u32_b32 v10, -1, 0
	s_clause 0x3
	s_load_b64 s[2:3], s[0:1], 0x50
	s_load_b64 s[20:21], s[0:1], 0x40
	;; [unrolled: 1-line block ×4, first 2 shown]
	v_mul_lo_u32 v4, s7, v3
	s_cmp_lg_u32 s12, 0
	s_mov_b32 s13, 0
	v_dual_lshlrev_b32 v5, 7, v3 :: v_dual_bitop2_b32 v1, 4, v10 bitop3:0x14
	s_cselect_b32 s4, -1, 0
	s_mov_b32 s12, s6
	s_ashr_i32 s15, s7, 31
	s_wait_xcnt 0x0
	v_cmp_gt_i32_e64 s0, 32, v1
	v_and_b32_e32 v22, 7, v0
	v_lshl_or_b32 v23, v20, 10, v5
	s_mov_b32 s14, s7
	v_lshl_or_b32 v27, v10, 2, 28
	v_dual_cndmask_b32 v1, v10, v1, s0 :: v_dual_bitop2_b32 v0, 2, v10 bitop3:0x14
	s_mul_u64 s[16:17], s[14:15], s[12:13]
	s_abs_i32 s14, s7
	v_mov_b64_e32 v[12:13], 0
	s_delay_alu instid0(VALU_DEP_2)
	v_lshlrev_b32_e32 v24, 2, v1
	v_cmp_gt_i32_e64 s0, 32, v0
	v_xor_b32_e32 v6, 1, v10
	s_cvt_f32_u32 s1, s14
	v_bfrev_b32_e32 v32, 0.5
	v_dual_mov_b32 v34, 1 :: v_dual_mov_b32 v36, 0
	v_cndmask_b32_e64 v0, v10, v0, s0
	v_cmp_gt_i32_e64 s0, 32, v6
	v_dual_ashrrev_i32 v5, 31, v4 :: v_dual_mov_b32 v1, 0
	s_delay_alu instid0(VALU_DEP_3) | instskip(NEXT) | instid1(VALU_DEP_3)
	v_dual_lshlrev_b32 v25, 2, v0 :: v_dual_bitop2_b32 v33, -8, v22 bitop3:0x54
	v_dual_cndmask_b32 v6, v10, v6, s0 :: v_dual_lshlrev_b32 v0, 3, v3
	s_delay_alu instid0(VALU_DEP_3)
	v_mov_b32_e32 v7, v1
	s_wait_kmcnt 0x0
	v_lshl_add_u64 v[8:9], v[4:5], 3, s[20:21]
	v_xor_b32_e32 v3, 16, v10
	v_lshlrev_b32_e32 v26, 2, v6
	v_lshlrev_b32_e32 v6, 3, v22
	v_add_nc_u64_e32 v[4:5], s[20:21], v[0:1]
	v_dual_mov_b32 v11, v1 :: v_dual_bitop2_b32 v0, 32, v10 bitop3:0x54
	s_delay_alu instid0(VALU_DEP_1) | instskip(NEXT) | instid1(VALU_DEP_4)
	v_cmp_gt_i32_e64 s0, 32, v0
	v_or_b32_e32 v28, v23, v6
	v_add_nc_u64_e32 v[6:7], v[8:9], v[6:7]
	v_rcp_iflag_f32_e32 v9, s1
	s_delay_alu instid0(VALU_DEP_3) | instskip(SKIP_1) | instid1(VALU_DEP_2)
	v_dual_cndmask_b32 v0, v10, v0, s0 :: v_dual_bitop2_b32 v8, 8, v10 bitop3:0x14
	v_cmp_gt_i32_e64 s0, 32, v3
	v_dual_lshlrev_b32 v29, 2, v0 :: v_dual_bitop2_b32 v0, 8, v22 bitop3:0x54
	s_delay_alu instid0(VALU_DEP_2) | instskip(NEXT) | instid1(VALU_DEP_4)
	v_cndmask_b32_e64 v3, v10, v3, s0
	v_cmp_gt_i32_e64 s0, 32, v8
	s_delay_alu instid0(VALU_DEP_1) | instskip(SKIP_3) | instid1(VALU_DEP_4)
	v_cndmask_b32_e64 v10, v10, v8, s0
	v_mul_lo_u32 v8, v22, s6
	v_readfirstlane_b32 s0, v9
	v_dual_mov_b32 v9, v1 :: v_dual_lshlrev_b32 v30, 2, v3
	v_lshlrev_b32_e32 v31, 2, v10
	v_cmp_gt_u32_e64 s1, s7, v0
	s_mul_f32 s12, s0, 0x4f7ffffe
	v_cmp_gt_u32_e64 s0, s7, v22
	s_delay_alu instid0(SALU_CYCLE_2)
	s_cvt_u32_f32 s12, s12
	v_lshl_add_u32 v10, s6, 3, v8
	s_sub_co_i32 s6, 0, s14
	s_and_b32 s1, vcc_lo, s1
	s_mul_i32 s20, s6, s12
	s_and_b32 s6, s0, vcc_lo
	s_mul_hi_u32 s0, s12, s20
	s_mov_b32 s20, s13
	s_add_co_i32 s12, s12, s0
	s_branch .LBB146_10
.LBB146_8:                              ;   in Loop: Header=BB146_10 Depth=1
	s_wait_xcnt 0x0
	s_or_b32 exec_lo, exec_lo, s21
	v_mov_b32_e32 v0, 1
.LBB146_9:                              ;   in Loop: Header=BB146_10 Depth=1
	s_or_b32 exec_lo, exec_lo, s0
	ds_bpermute_b32 v3, v29, v35
	s_wait_storecnt_dscnt 0x0
	v_dual_add_nc_u32 v2, v0, v2 :: v_dual_min_i32 v3, v3, v35
	ds_bpermute_b32 v14, v30, v3
	s_wait_dscnt 0x0
	v_min_i32_e32 v3, v14, v3
	ds_bpermute_b32 v14, v31, v3
	s_wait_dscnt 0x0
	v_min_i32_e32 v3, v14, v3
	;; [unrolled: 3-line block ×5, first 2 shown]
	ds_bpermute_b32 v36, v32, v3
	s_wait_dscnt 0x0
	v_cmp_le_i32_e32 vcc_lo, s5, v36
	s_or_b32 s20, vcc_lo, s20
	s_delay_alu instid0(SALU_CYCLE_1)
	s_and_not1_b32 exec_lo, exec_lo, s20
	s_cbranch_execz .LBB146_31
.LBB146_10:                             ; =>This Loop Header: Depth=1
                                        ;     Child Loop BB146_11 Depth 2
                                        ;     Child Loop BB146_15 Depth 2
	v_dual_mov_b32 v0, v28 :: v_dual_mov_b32 v3, v33
	s_mov_b32 s0, 0
	ds_store_b8 v20, v1 offset:4096
.LBB146_11:                             ;   Parent Loop BB146_10 Depth=1
                                        ; =>  This Inner Loop Header: Depth=2
	v_add_co_u32 v3, s21, v3, 8
	s_xor_b32 s21, s21, -1
	ds_store_b64 v0, v[12:13]
	v_add_nc_u32_e32 v0, 64, v0
	s_and_b32 s21, exec_lo, s21
	s_delay_alu instid0(SALU_CYCLE_1) | instskip(NEXT) | instid1(SALU_CYCLE_1)
	s_or_b32 s0, s21, s0
	s_and_not1_b32 exec_lo, exec_lo, s0
	s_cbranch_execnz .LBB146_11
; %bb.12:                               ;   in Loop: Header=BB146_10 Depth=1
	s_or_b32 exec_lo, exec_lo, s0
	v_dual_mov_b32 v35, s5 :: v_dual_add_nc_u32 v14, v18, v22
	v_mov_b32_e32 v15, v21
	s_mov_b32 s21, exec_lo
	s_wait_dscnt 0x0
	s_delay_alu instid0(VALU_DEP_2)
	v_cmpx_lt_i32_e64 v14, v21
	s_cbranch_execz .LBB146_20
; %bb.13:                               ;   in Loop: Header=BB146_10 Depth=1
	v_mul_lo_u32 v3, v36, s7
	v_dual_ashrrev_i32 v15, 31, v14 :: v_dual_mov_b32 v35, s5
	s_mov_b32 s22, 0
	s_delay_alu instid0(VALU_DEP_1)
	v_lshl_add_u64 v[16:17], v[14:15], 2, s[10:11]
	v_lshl_add_u64 v[18:19], v[14:15], 3, s[8:9]
	v_mov_b32_e32 v15, v21
	s_branch .LBB146_15
.LBB146_14:                             ;   in Loop: Header=BB146_15 Depth=2
	s_wait_xcnt 0x0
	s_or_b32 exec_lo, exec_lo, s0
	v_add_nc_u32_e32 v14, 8, v14
	s_xor_b32 s23, vcc_lo, -1
	v_add_nc_u64_e32 v[16:17], 32, v[16:17]
	v_add_nc_u64_e32 v[18:19], 64, v[18:19]
	s_delay_alu instid0(VALU_DEP_3) | instskip(SKIP_1) | instid1(SALU_CYCLE_1)
	v_cmp_ge_i32_e64 s0, v14, v21
	s_or_b32 s0, s23, s0
	s_and_b32 s0, exec_lo, s0
	s_delay_alu instid0(SALU_CYCLE_1) | instskip(NEXT) | instid1(SALU_CYCLE_1)
	s_or_b32 s22, s0, s22
	s_and_not1_b32 exec_lo, exec_lo, s22
	s_cbranch_execz .LBB146_19
.LBB146_15:                             ;   Parent Loop BB146_10 Depth=1
                                        ; =>  This Inner Loop Header: Depth=2
	global_load_b32 v0, v[16:17], off
	s_wait_loadcnt 0x0
	v_subrev_nc_u32_e32 v37, s18, v0
	s_delay_alu instid0(VALU_DEP_1) | instskip(NEXT) | instid1(VALU_DEP_1)
	v_sub_nc_u32_e32 v0, 0, v37
	v_max_i32_e32 v0, v37, v0
	s_delay_alu instid0(VALU_DEP_1) | instskip(NEXT) | instid1(VALU_DEP_1)
	v_mul_u64_e32 v[38:39], s[12:13], v[0:1]
	v_mul_lo_u32 v38, v39, s14
	s_delay_alu instid0(VALU_DEP_1) | instskip(NEXT) | instid1(VALU_DEP_1)
	v_dual_sub_nc_u32 v0, v0, v38 :: v_dual_add_nc_u32 v38, 1, v39
	v_cmp_le_u32_e32 vcc_lo, s14, v0
	s_delay_alu instid0(VALU_DEP_2) | instskip(SKIP_1) | instid1(VALU_DEP_1)
	v_dual_cndmask_b32 v38, v39, v38 :: v_dual_ashrrev_i32 v39, 31, v37
	v_subrev_nc_u32_e32 v40, s14, v0
	v_dual_cndmask_b32 v0, v0, v40, vcc_lo :: v_dual_add_nc_u32 v40, 1, v38
	s_delay_alu instid0(VALU_DEP_1) | instskip(NEXT) | instid1(VALU_DEP_2)
	v_cmp_le_u32_e32 vcc_lo, s14, v0
	v_dual_cndmask_b32 v0, v38, v40, vcc_lo :: v_dual_bitop2_b32 v39, s15, v39 bitop3:0x14
	s_delay_alu instid0(VALU_DEP_1) | instskip(NEXT) | instid1(VALU_DEP_1)
	v_xor_b32_e32 v0, v0, v39
	v_dual_sub_nc_u32 v38, v0, v39 :: v_dual_mov_b32 v0, v15
	s_delay_alu instid0(VALU_DEP_1) | instskip(SKIP_3) | instid1(SALU_CYCLE_1)
	v_cmp_ne_u32_e64 s0, v38, v36
	v_cmp_eq_u32_e32 vcc_lo, v38, v36
	s_wait_xcnt 0x0
	s_and_saveexec_b32 s23, s0
	s_xor_b32 s0, exec_lo, s23
; %bb.16:                               ;   in Loop: Header=BB146_15 Depth=2
	v_min_i32_e32 v35, v38, v35
                                        ; implicit-def: $vgpr37
                                        ; implicit-def: $vgpr0
; %bb.17:                               ;   in Loop: Header=BB146_15 Depth=2
	s_or_saveexec_b32 s0, s0
	v_mov_b32_e32 v15, v14
	s_xor_b32 exec_lo, exec_lo, s0
	s_cbranch_execz .LBB146_14
; %bb.18:                               ;   in Loop: Header=BB146_15 Depth=2
	global_load_b64 v[38:39], v[18:19], off
	v_sub_nc_u32_e32 v15, v37, v3
	s_delay_alu instid0(VALU_DEP_1)
	v_lshl_add_u32 v37, v15, 3, v23
	v_mov_b32_e32 v15, v0
	ds_store_b8 v20, v34 offset:4096
	s_wait_loadcnt 0x0
	ds_store_b64 v37, v[38:39]
	s_branch .LBB146_14
.LBB146_19:                             ;   in Loop: Header=BB146_10 Depth=1
	s_or_b32 exec_lo, exec_lo, s22
.LBB146_20:                             ;   in Loop: Header=BB146_10 Depth=1
	s_delay_alu instid0(SALU_CYCLE_1)
	s_or_b32 exec_lo, exec_lo, s21
	ds_bpermute_b32 v0, v24, v15
	s_wait_dscnt 0x0
	ds_load_u8 v14, v20 offset:4096
	v_min_i32_e32 v0, v0, v15
	ds_bpermute_b32 v3, v25, v0
	s_wait_dscnt 0x0
	v_min_i32_e32 v0, v3, v0
	ds_bpermute_b32 v3, v26, v0
	s_wait_dscnt 0x0
	v_min_i32_e32 v0, v3, v0
	ds_bpermute_b32 v18, v27, v0
	v_and_b32_e32 v0, 1, v14
	s_delay_alu instid0(VALU_DEP_1)
	v_cmp_eq_u32_e32 vcc_lo, 1, v0
	v_mov_b32_e32 v0, 0
	s_and_saveexec_b32 s0, vcc_lo
	s_cbranch_execz .LBB146_9
; %bb.21:                               ;   in Loop: Header=BB146_10 Depth=1
	v_dual_ashrrev_i32 v3, 31, v2 :: v_dual_add_nc_u32 v0, s19, v36
	s_delay_alu instid0(VALU_DEP_1) | instskip(SKIP_2) | instid1(VALU_DEP_1)
	v_mul_u64_e32 v[14:15], s[16:17], v[2:3]
	global_store_b32 v2, v0, s[2:3] scale_offset
	v_lshlrev_b64_e32 v[14:15], 3, v[14:15]
	v_add_nc_u64_e32 v[16:17], v[4:5], v[14:15]
	v_add_nc_u64_e32 v[14:15], v[6:7], v[14:15]
	s_wait_xcnt 0x0
	s_and_saveexec_b32 s21, s6
	s_cbranch_execz .LBB146_25
; %bb.22:                               ;   in Loop: Header=BB146_10 Depth=1
	s_and_b32 vcc_lo, exec_lo, s4
	s_cbranch_vccz .LBB146_28
; %bb.23:                               ;   in Loop: Header=BB146_10 Depth=1
	ds_load_b64 v[36:37], v28
	v_lshl_add_u64 v[38:39], v[8:9], 3, v[16:17]
	s_wait_dscnt 0x0
	global_store_b64 v[38:39], v[36:37], off
	s_cbranch_execnz .LBB146_25
.LBB146_24:                             ;   in Loop: Header=BB146_10 Depth=1
	s_wait_xcnt 0x0
	ds_load_b64 v[36:37], v28
	s_wait_dscnt 0x0
	global_store_b64 v[14:15], v[36:37], off
.LBB146_25:                             ;   in Loop: Header=BB146_10 Depth=1
	s_wait_xcnt 0x0
	s_or_b32 exec_lo, exec_lo, s21
	s_and_saveexec_b32 s21, s1
	s_cbranch_execz .LBB146_8
; %bb.26:                               ;   in Loop: Header=BB146_10 Depth=1
	s_and_not1_b32 vcc_lo, exec_lo, s4
	s_cbranch_vccnz .LBB146_29
; %bb.27:                               ;   in Loop: Header=BB146_10 Depth=1
	ds_load_b64 v[36:37], v28 offset:64
	v_lshl_add_u64 v[16:17], v[10:11], 3, v[16:17]
	s_wait_dscnt 0x0
	global_store_b64 v[16:17], v[36:37], off
	s_cbranch_execnz .LBB146_8
	s_branch .LBB146_30
.LBB146_28:                             ;   in Loop: Header=BB146_10 Depth=1
	s_branch .LBB146_24
.LBB146_29:                             ;   in Loop: Header=BB146_10 Depth=1
.LBB146_30:                             ;   in Loop: Header=BB146_10 Depth=1
	s_wait_xcnt 0x0
	ds_load_b64 v[16:17], v28 offset:64
	s_wait_dscnt 0x0
	global_store_b64 v[14:15], v[16:17], off offset:64
	s_branch .LBB146_8
.LBB146_31:
	s_endpgm
	.section	.rodata,"a",@progbits
	.p2align	6, 0x0
	.amdhsa_kernel _ZN9rocsparseL44csr2gebsr_wavefront_per_row_multipass_kernelILi256ELi8ELi16ELi64E21rocsparse_complex_numIfEEEv20rocsparse_direction_iiiiii21rocsparse_index_base_PKT3_PKiS9_S4_PS5_PiSB_
		.amdhsa_group_segment_fixed_size 4100
		.amdhsa_private_segment_fixed_size 0
		.amdhsa_kernarg_size 88
		.amdhsa_user_sgpr_count 2
		.amdhsa_user_sgpr_dispatch_ptr 0
		.amdhsa_user_sgpr_queue_ptr 0
		.amdhsa_user_sgpr_kernarg_segment_ptr 1
		.amdhsa_user_sgpr_dispatch_id 0
		.amdhsa_user_sgpr_kernarg_preload_length 0
		.amdhsa_user_sgpr_kernarg_preload_offset 0
		.amdhsa_user_sgpr_private_segment_size 0
		.amdhsa_wavefront_size32 1
		.amdhsa_uses_dynamic_stack 0
		.amdhsa_enable_private_segment 0
		.amdhsa_system_sgpr_workgroup_id_x 1
		.amdhsa_system_sgpr_workgroup_id_y 0
		.amdhsa_system_sgpr_workgroup_id_z 0
		.amdhsa_system_sgpr_workgroup_info 0
		.amdhsa_system_vgpr_workitem_id 0
		.amdhsa_next_free_vgpr 41
		.amdhsa_next_free_sgpr 24
		.amdhsa_named_barrier_count 0
		.amdhsa_reserve_vcc 1
		.amdhsa_float_round_mode_32 0
		.amdhsa_float_round_mode_16_64 0
		.amdhsa_float_denorm_mode_32 3
		.amdhsa_float_denorm_mode_16_64 3
		.amdhsa_fp16_overflow 0
		.amdhsa_memory_ordered 1
		.amdhsa_forward_progress 1
		.amdhsa_inst_pref_size 14
		.amdhsa_round_robin_scheduling 0
		.amdhsa_exception_fp_ieee_invalid_op 0
		.amdhsa_exception_fp_denorm_src 0
		.amdhsa_exception_fp_ieee_div_zero 0
		.amdhsa_exception_fp_ieee_overflow 0
		.amdhsa_exception_fp_ieee_underflow 0
		.amdhsa_exception_fp_ieee_inexact 0
		.amdhsa_exception_int_div_zero 0
	.end_amdhsa_kernel
	.section	.text._ZN9rocsparseL44csr2gebsr_wavefront_per_row_multipass_kernelILi256ELi8ELi16ELi64E21rocsparse_complex_numIfEEEv20rocsparse_direction_iiiiii21rocsparse_index_base_PKT3_PKiS9_S4_PS5_PiSB_,"axG",@progbits,_ZN9rocsparseL44csr2gebsr_wavefront_per_row_multipass_kernelILi256ELi8ELi16ELi64E21rocsparse_complex_numIfEEEv20rocsparse_direction_iiiiii21rocsparse_index_base_PKT3_PKiS9_S4_PS5_PiSB_,comdat
.Lfunc_end146:
	.size	_ZN9rocsparseL44csr2gebsr_wavefront_per_row_multipass_kernelILi256ELi8ELi16ELi64E21rocsparse_complex_numIfEEEv20rocsparse_direction_iiiiii21rocsparse_index_base_PKT3_PKiS9_S4_PS5_PiSB_, .Lfunc_end146-_ZN9rocsparseL44csr2gebsr_wavefront_per_row_multipass_kernelILi256ELi8ELi16ELi64E21rocsparse_complex_numIfEEEv20rocsparse_direction_iiiiii21rocsparse_index_base_PKT3_PKiS9_S4_PS5_PiSB_
                                        ; -- End function
	.set _ZN9rocsparseL44csr2gebsr_wavefront_per_row_multipass_kernelILi256ELi8ELi16ELi64E21rocsparse_complex_numIfEEEv20rocsparse_direction_iiiiii21rocsparse_index_base_PKT3_PKiS9_S4_PS5_PiSB_.num_vgpr, 41
	.set _ZN9rocsparseL44csr2gebsr_wavefront_per_row_multipass_kernelILi256ELi8ELi16ELi64E21rocsparse_complex_numIfEEEv20rocsparse_direction_iiiiii21rocsparse_index_base_PKT3_PKiS9_S4_PS5_PiSB_.num_agpr, 0
	.set _ZN9rocsparseL44csr2gebsr_wavefront_per_row_multipass_kernelILi256ELi8ELi16ELi64E21rocsparse_complex_numIfEEEv20rocsparse_direction_iiiiii21rocsparse_index_base_PKT3_PKiS9_S4_PS5_PiSB_.numbered_sgpr, 24
	.set _ZN9rocsparseL44csr2gebsr_wavefront_per_row_multipass_kernelILi256ELi8ELi16ELi64E21rocsparse_complex_numIfEEEv20rocsparse_direction_iiiiii21rocsparse_index_base_PKT3_PKiS9_S4_PS5_PiSB_.num_named_barrier, 0
	.set _ZN9rocsparseL44csr2gebsr_wavefront_per_row_multipass_kernelILi256ELi8ELi16ELi64E21rocsparse_complex_numIfEEEv20rocsparse_direction_iiiiii21rocsparse_index_base_PKT3_PKiS9_S4_PS5_PiSB_.private_seg_size, 0
	.set _ZN9rocsparseL44csr2gebsr_wavefront_per_row_multipass_kernelILi256ELi8ELi16ELi64E21rocsparse_complex_numIfEEEv20rocsparse_direction_iiiiii21rocsparse_index_base_PKT3_PKiS9_S4_PS5_PiSB_.uses_vcc, 1
	.set _ZN9rocsparseL44csr2gebsr_wavefront_per_row_multipass_kernelILi256ELi8ELi16ELi64E21rocsparse_complex_numIfEEEv20rocsparse_direction_iiiiii21rocsparse_index_base_PKT3_PKiS9_S4_PS5_PiSB_.uses_flat_scratch, 0
	.set _ZN9rocsparseL44csr2gebsr_wavefront_per_row_multipass_kernelILi256ELi8ELi16ELi64E21rocsparse_complex_numIfEEEv20rocsparse_direction_iiiiii21rocsparse_index_base_PKT3_PKiS9_S4_PS5_PiSB_.has_dyn_sized_stack, 0
	.set _ZN9rocsparseL44csr2gebsr_wavefront_per_row_multipass_kernelILi256ELi8ELi16ELi64E21rocsparse_complex_numIfEEEv20rocsparse_direction_iiiiii21rocsparse_index_base_PKT3_PKiS9_S4_PS5_PiSB_.has_recursion, 0
	.set _ZN9rocsparseL44csr2gebsr_wavefront_per_row_multipass_kernelILi256ELi8ELi16ELi64E21rocsparse_complex_numIfEEEv20rocsparse_direction_iiiiii21rocsparse_index_base_PKT3_PKiS9_S4_PS5_PiSB_.has_indirect_call, 0
	.section	.AMDGPU.csdata,"",@progbits
; Kernel info:
; codeLenInByte = 1696
; TotalNumSgprs: 26
; NumVgprs: 41
; ScratchSize: 0
; MemoryBound: 0
; FloatMode: 240
; IeeeMode: 1
; LDSByteSize: 4100 bytes/workgroup (compile time only)
; SGPRBlocks: 0
; VGPRBlocks: 2
; NumSGPRsForWavesPerEU: 26
; NumVGPRsForWavesPerEU: 41
; NamedBarCnt: 0
; Occupancy: 16
; WaveLimiterHint : 0
; COMPUTE_PGM_RSRC2:SCRATCH_EN: 0
; COMPUTE_PGM_RSRC2:USER_SGPR: 2
; COMPUTE_PGM_RSRC2:TRAP_HANDLER: 0
; COMPUTE_PGM_RSRC2:TGID_X_EN: 1
; COMPUTE_PGM_RSRC2:TGID_Y_EN: 0
; COMPUTE_PGM_RSRC2:TGID_Z_EN: 0
; COMPUTE_PGM_RSRC2:TIDIG_COMP_CNT: 0
	.section	.text._ZN9rocsparseL44csr2gebsr_wavefront_per_row_multipass_kernelILi256ELi8ELi16ELi32E21rocsparse_complex_numIfEEEv20rocsparse_direction_iiiiii21rocsparse_index_base_PKT3_PKiS9_S4_PS5_PiSB_,"axG",@progbits,_ZN9rocsparseL44csr2gebsr_wavefront_per_row_multipass_kernelILi256ELi8ELi16ELi32E21rocsparse_complex_numIfEEEv20rocsparse_direction_iiiiii21rocsparse_index_base_PKT3_PKiS9_S4_PS5_PiSB_,comdat
	.globl	_ZN9rocsparseL44csr2gebsr_wavefront_per_row_multipass_kernelILi256ELi8ELi16ELi32E21rocsparse_complex_numIfEEEv20rocsparse_direction_iiiiii21rocsparse_index_base_PKT3_PKiS9_S4_PS5_PiSB_ ; -- Begin function _ZN9rocsparseL44csr2gebsr_wavefront_per_row_multipass_kernelILi256ELi8ELi16ELi32E21rocsparse_complex_numIfEEEv20rocsparse_direction_iiiiii21rocsparse_index_base_PKT3_PKiS9_S4_PS5_PiSB_
	.p2align	8
	.type	_ZN9rocsparseL44csr2gebsr_wavefront_per_row_multipass_kernelILi256ELi8ELi16ELi32E21rocsparse_complex_numIfEEEv20rocsparse_direction_iiiiii21rocsparse_index_base_PKT3_PKiS9_S4_PS5_PiSB_,@function
_ZN9rocsparseL44csr2gebsr_wavefront_per_row_multipass_kernelILi256ELi8ELi16ELi32E21rocsparse_complex_numIfEEEv20rocsparse_direction_iiiiii21rocsparse_index_base_PKT3_PKiS9_S4_PS5_PiSB_: ; @_ZN9rocsparseL44csr2gebsr_wavefront_per_row_multipass_kernelILi256ELi8ELi16ELi32E21rocsparse_complex_numIfEEEv20rocsparse_direction_iiiiii21rocsparse_index_base_PKT3_PKiS9_S4_PS5_PiSB_
; %bb.0:
	s_clause 0x1
	s_load_b128 s[4:7], s[0:1], 0xc
	s_load_b64 s[14:15], s[0:1], 0x0
	s_bfe_u32 s2, ttmp6, 0x4000c
	s_and_b32 s3, ttmp6, 15
	s_add_co_i32 s2, s2, 1
	s_getreg_b32 s8, hwreg(HW_REG_IB_STS2, 6, 4)
	s_mul_i32 s2, ttmp9, s2
	v_dual_lshrrev_b32 v24, 5, v0 :: v_dual_mov_b32 v2, 0
	s_add_co_i32 s3, s3, s2
	s_cmp_eq_u32 s8, 0
	v_bfe_u32 v1, v0, 2, 3
	s_cselect_b32 s2, ttmp9, s3
	s_clause 0x1
	s_load_b32 s20, s[0:1], 0x1c
	s_load_b64 s[8:9], s[0:1], 0x28
	v_lshl_or_b32 v3, s2, 3, v24
	v_mov_b32_e32 v22, 0
	s_wait_kmcnt 0x0
	s_delay_alu instid0(VALU_DEP_2) | instskip(SKIP_1) | instid1(VALU_DEP_2)
	v_mad_u32 v4, v3, s6, v1
	v_cmp_gt_i32_e32 vcc_lo, s6, v1
	v_cmp_gt_i32_e64 s2, s15, v4
	s_and_b32 s2, vcc_lo, s2
	s_delay_alu instid0(SALU_CYCLE_1)
	s_and_saveexec_b32 s3, s2
	s_cbranch_execz .LBB147_2
; %bb.1:
	global_load_b32 v5, v4, s[8:9] scale_offset
	s_wait_loadcnt 0x0
	v_subrev_nc_u32_e32 v22, s20, v5
.LBB147_2:
	s_or_b32 exec_lo, exec_lo, s3
	v_mov_b32_e32 v25, 0
	s_and_saveexec_b32 s3, s2
	s_cbranch_execz .LBB147_4
; %bb.3:
	global_load_b32 v4, v4, s[8:9] offset:4 scale_offset
	s_wait_loadcnt 0x0
	v_subrev_nc_u32_e32 v25, s20, v4
.LBB147_4:
	s_or_b32 exec_lo, exec_lo, s3
	s_load_b32 s21, s[0:1], 0x38
	s_mov_b32 s3, exec_lo
	v_cmpx_gt_i32_e64 s4, v3
	s_cbranch_execz .LBB147_6
; %bb.5:
	s_load_b64 s[8:9], s[0:1], 0x48
	s_wait_kmcnt 0x0
	global_load_b32 v2, v3, s[8:9] scale_offset
	s_wait_loadcnt 0x0
	v_subrev_nc_u32_e32 v2, s21, v2
.LBB147_6:
	s_or_b32 exec_lo, exec_lo, s3
	s_cmp_lt_i32 s5, 1
	s_cbranch_scc1 .LBB147_41
; %bb.7:
	v_mbcnt_lo_u32_b32 v3, -1, 0
	s_clause 0x3
	s_load_b64 s[8:9], s[0:1], 0x50
	s_load_b64 s[2:3], s[0:1], 0x40
	;; [unrolled: 1-line block ×4, first 2 shown]
	v_and_b32_e32 v26, 3, v0
	v_mul_lo_u32 v6, s7, v1
	s_cmp_lg_u32 s14, 0
	v_dual_lshlrev_b32 v0, 7, v1 :: v_dual_bitop2_b32 v4, 2, v3 bitop3:0x14
	v_xor_b32_e32 v10, 8, v3
	s_mov_b32 s15, 0
	s_cselect_b32 s4, -1, 0
	s_wait_xcnt 0x0
	v_cmp_gt_i32_e64 s0, 32, v4
	v_xor_b32_e32 v5, 1, v3
	v_lshl_or_b32 v27, v24, 10, v0
	s_mov_b32 s14, s6
	s_ashr_i32 s17, s7, 31
	v_cndmask_b32_e64 v4, v3, v4, s0
	v_cmp_gt_i32_e64 s0, 32, v5
	s_mov_b32 s16, s7
	v_lshl_or_b32 v30, v3, 2, 12
	s_mul_u64 s[18:19], s[16:17], s[14:15]
	v_lshlrev_b32_e32 v0, 3, v1
	v_dual_cndmask_b32 v5, v3, v5, s0 :: v_dual_lshlrev_b32 v8, 3, v26
	v_dual_mov_b32 v1, 0 :: v_dual_ashrrev_i32 v7, 31, v6
	s_delay_alu instid0(VALU_DEP_2) | instskip(NEXT) | instid1(VALU_DEP_2)
	v_dual_lshlrev_b32 v28, 2, v4 :: v_dual_lshlrev_b32 v29, 2, v5
	v_dual_mov_b32 v9, v1 :: v_dual_bitop2_b32 v31, v27, v8 bitop3:0x54
	s_wait_kmcnt 0x0
	v_add_nc_u64_e32 v[4:5], s[2:3], v[0:1]
	v_xor_b32_e32 v0, 16, v3
	v_lshl_add_u64 v[6:7], v[6:7], 3, s[2:3]
	s_abs_i32 s16, s7
	v_mov_b64_e32 v[16:17], 0
	s_cvt_f32_u32 s1, s16
	v_cmp_gt_i32_e64 s0, 32, v0
	v_add_nc_u64_e32 v[6:7], v[6:7], v[8:9]
	v_mul_lo_u32 v8, v26, s6
	s_lshl_b32 s6, s6, 2
	v_dual_mov_b32 v37, 1 :: v_dual_mov_b32 v39, 0
	v_dual_cndmask_b32 v0, v3, v0, s0 :: v_dual_bitop2_b32 v11, 4, v3 bitop3:0x14
	v_cmp_gt_i32_e64 s0, 32, v10
	s_mov_b32 s22, s15
	v_dual_mov_b32 v15, v1 :: v_dual_lshlrev_b32 v32, 2, v0
	v_or_b32_e32 v0, 4, v26
	v_cndmask_b32_e64 v10, v3, v10, s0
	v_cmp_gt_i32_e64 s0, 32, v11
	v_mov_b32_e32 v35, 0x7c
	v_dual_mov_b32 v13, v1 :: v_dual_bitop2_b32 v36, -4, v26 bitop3:0x54
	s_delay_alu instid0(VALU_DEP_3) | instskip(SKIP_2) | instid1(VALU_DEP_3)
	v_dual_lshlrev_b32 v33, 2, v10 :: v_dual_cndmask_b32 v3, v3, v11, s0
	v_add_nc_u32_e32 v10, s6, v8
	v_cmp_gt_u32_e64 s0, s7, v26
	v_dual_mov_b32 v11, v1 :: v_dual_lshlrev_b32 v34, 2, v3
	v_rcp_iflag_f32_e32 v3, s1
	s_delay_alu instid0(VALU_DEP_3) | instskip(SKIP_1) | instid1(VALU_DEP_2)
	v_add_nc_u32_e32 v12, s6, v10
	v_cmp_gt_u32_e64 s1, s7, v0
	v_dual_add_nc_u32 v14, s6, v12 :: v_dual_bitop2_b32 v0, 8, v26 bitop3:0x54
	s_delay_alu instid0(TRANS32_DEP_1)
	v_readfirstlane_b32 s3, v3
	v_or_b32_e32 v3, 12, v26
	s_and_b32 s6, s0, vcc_lo
	s_sub_co_i32 s0, 0, s16
	v_cmp_gt_u32_e64 s2, s7, v0
	s_mul_f32 s14, s3, 0x4f7ffffe
	v_cmp_gt_u32_e64 s3, s7, v3
	s_and_b32 s1, vcc_lo, s1
	s_delay_alu instid0(SALU_CYCLE_1) | instskip(SKIP_2) | instid1(SALU_CYCLE_1)
	s_cvt_u32_f32 s14, s14
	s_and_b32 s2, vcc_lo, s2
	s_and_b32 s3, vcc_lo, s3
	s_mul_i32 s0, s0, s14
	s_delay_alu instid0(SALU_CYCLE_1) | instskip(NEXT) | instid1(SALU_CYCLE_1)
	s_mul_hi_u32 s0, s14, s0
	s_add_co_i32 s14, s14, s0
	s_branch .LBB147_10
.LBB147_8:                              ;   in Loop: Header=BB147_10 Depth=1
	s_wait_xcnt 0x0
	s_or_b32 exec_lo, exec_lo, s23
	v_mov_b32_e32 v0, 1
.LBB147_9:                              ;   in Loop: Header=BB147_10 Depth=1
	s_or_b32 exec_lo, exec_lo, s0
	ds_bpermute_b32 v3, v32, v38
	s_wait_storecnt_dscnt 0x0
	v_add_nc_u32_e32 v2, v0, v2
	v_min_i32_e32 v3, v3, v38
	ds_bpermute_b32 v18, v33, v3
	s_wait_dscnt 0x0
	v_min_i32_e32 v3, v18, v3
	ds_bpermute_b32 v18, v34, v3
	s_wait_dscnt 0x0
	;; [unrolled: 3-line block ×5, first 2 shown]
	v_cmp_le_i32_e32 vcc_lo, s5, v39
	s_or_b32 s22, vcc_lo, s22
	s_delay_alu instid0(SALU_CYCLE_1)
	s_and_not1_b32 exec_lo, exec_lo, s22
	s_cbranch_execz .LBB147_41
.LBB147_10:                             ; =>This Loop Header: Depth=1
                                        ;     Child Loop BB147_11 Depth 2
                                        ;     Child Loop BB147_15 Depth 2
	v_dual_mov_b32 v0, v31 :: v_dual_mov_b32 v3, v36
	s_mov_b32 s0, 0
	ds_store_b8 v24, v1 offset:8192
.LBB147_11:                             ;   Parent Loop BB147_10 Depth=1
                                        ; =>  This Inner Loop Header: Depth=2
	v_add_nc_u32_e32 v3, 4, v3
	ds_store_b64 v0, v[16:17]
	v_add_nc_u32_e32 v0, 32, v0
	v_cmp_lt_u32_e32 vcc_lo, 11, v3
	s_or_b32 s0, vcc_lo, s0
	s_delay_alu instid0(SALU_CYCLE_1)
	s_and_not1_b32 exec_lo, exec_lo, s0
	s_cbranch_execnz .LBB147_11
; %bb.12:                               ;   in Loop: Header=BB147_10 Depth=1
	s_or_b32 exec_lo, exec_lo, s0
	v_dual_add_nc_u32 v18, v22, v26 :: v_dual_mov_b32 v38, s5
	v_mov_b32_e32 v19, v25
	s_mov_b32 s23, exec_lo
	s_wait_dscnt 0x0
	s_delay_alu instid0(VALU_DEP_2)
	v_cmpx_lt_i32_e64 v18, v25
	s_cbranch_execz .LBB147_20
; %bb.13:                               ;   in Loop: Header=BB147_10 Depth=1
	v_mul_lo_u32 v3, v39, s7
	v_dual_mov_b32 v38, s5 :: v_dual_ashrrev_i32 v19, 31, v18
	s_mov_b32 s24, 0
	s_delay_alu instid0(VALU_DEP_1)
	v_lshl_add_u64 v[20:21], v[18:19], 2, s[12:13]
	v_lshl_add_u64 v[22:23], v[18:19], 3, s[10:11]
	v_mov_b32_e32 v19, v25
	s_branch .LBB147_15
.LBB147_14:                             ;   in Loop: Header=BB147_15 Depth=2
	s_wait_xcnt 0x0
	s_or_b32 exec_lo, exec_lo, s0
	v_add_nc_u32_e32 v18, 4, v18
	s_xor_b32 s25, vcc_lo, -1
	v_add_nc_u64_e32 v[20:21], 16, v[20:21]
	v_add_nc_u64_e32 v[22:23], 32, v[22:23]
	s_delay_alu instid0(VALU_DEP_3) | instskip(SKIP_1) | instid1(SALU_CYCLE_1)
	v_cmp_ge_i32_e64 s0, v18, v25
	s_or_b32 s0, s25, s0
	s_and_b32 s0, exec_lo, s0
	s_delay_alu instid0(SALU_CYCLE_1) | instskip(NEXT) | instid1(SALU_CYCLE_1)
	s_or_b32 s24, s0, s24
	s_and_not1_b32 exec_lo, exec_lo, s24
	s_cbranch_execz .LBB147_19
.LBB147_15:                             ;   Parent Loop BB147_10 Depth=1
                                        ; =>  This Inner Loop Header: Depth=2
	global_load_b32 v0, v[20:21], off
	s_wait_loadcnt 0x0
	v_subrev_nc_u32_e32 v40, s20, v0
	s_delay_alu instid0(VALU_DEP_1) | instskip(NEXT) | instid1(VALU_DEP_1)
	v_sub_nc_u32_e32 v0, 0, v40
	v_max_i32_e32 v0, v40, v0
	s_delay_alu instid0(VALU_DEP_1) | instskip(NEXT) | instid1(VALU_DEP_1)
	v_mul_u64_e32 v[42:43], s[14:15], v[0:1]
	v_mul_lo_u32 v41, v43, s16
	s_delay_alu instid0(VALU_DEP_1) | instskip(NEXT) | instid1(VALU_DEP_1)
	v_dual_sub_nc_u32 v0, v0, v41 :: v_dual_add_nc_u32 v41, 1, v43
	v_cmp_le_u32_e32 vcc_lo, s16, v0
	s_delay_alu instid0(VALU_DEP_2) | instskip(SKIP_1) | instid1(VALU_DEP_1)
	v_dual_cndmask_b32 v41, v43, v41, vcc_lo :: v_dual_ashrrev_i32 v43, 31, v40
	v_subrev_nc_u32_e32 v42, s16, v0
	v_dual_cndmask_b32 v0, v0, v42, vcc_lo :: v_dual_add_nc_u32 v42, 1, v41
	s_delay_alu instid0(VALU_DEP_1) | instskip(NEXT) | instid1(VALU_DEP_2)
	v_cmp_le_u32_e32 vcc_lo, s16, v0
	v_dual_cndmask_b32 v0, v41, v42, vcc_lo :: v_dual_bitop2_b32 v43, s17, v43 bitop3:0x14
	s_delay_alu instid0(VALU_DEP_1) | instskip(NEXT) | instid1(VALU_DEP_1)
	v_xor_b32_e32 v0, v0, v43
	v_dual_mov_b32 v0, v19 :: v_dual_sub_nc_u32 v41, v0, v43
	s_delay_alu instid0(VALU_DEP_1) | instskip(SKIP_3) | instid1(SALU_CYCLE_1)
	v_cmp_ne_u32_e64 s0, v41, v39
	v_cmp_eq_u32_e32 vcc_lo, v41, v39
	s_wait_xcnt 0x0
	s_and_saveexec_b32 s25, s0
	s_xor_b32 s0, exec_lo, s25
; %bb.16:                               ;   in Loop: Header=BB147_15 Depth=2
	v_min_i32_e32 v38, v41, v38
                                        ; implicit-def: $vgpr40
                                        ; implicit-def: $vgpr0
; %bb.17:                               ;   in Loop: Header=BB147_15 Depth=2
	s_or_saveexec_b32 s0, s0
	v_mov_b32_e32 v19, v18
	s_xor_b32 exec_lo, exec_lo, s0
	s_cbranch_execz .LBB147_14
; %bb.18:                               ;   in Loop: Header=BB147_15 Depth=2
	global_load_b64 v[42:43], v[22:23], off
	v_sub_nc_u32_e32 v19, v40, v3
	s_delay_alu instid0(VALU_DEP_1)
	v_lshl_add_u32 v40, v19, 3, v27
	v_mov_b32_e32 v19, v0
	ds_store_b8 v24, v37 offset:8192
	s_wait_loadcnt 0x0
	ds_store_b64 v40, v[42:43]
	s_branch .LBB147_14
.LBB147_19:                             ;   in Loop: Header=BB147_10 Depth=1
	s_or_b32 exec_lo, exec_lo, s24
.LBB147_20:                             ;   in Loop: Header=BB147_10 Depth=1
	s_delay_alu instid0(SALU_CYCLE_1)
	s_or_b32 exec_lo, exec_lo, s23
	ds_bpermute_b32 v0, v28, v19
	s_wait_dscnt 0x0
	ds_load_u8 v18, v24 offset:8192
	v_min_i32_e32 v0, v0, v19
	ds_bpermute_b32 v3, v29, v0
	s_wait_dscnt 0x0
	v_min_i32_e32 v0, v3, v0
	ds_bpermute_b32 v22, v30, v0
	v_and_b32_e32 v0, 1, v18
	s_delay_alu instid0(VALU_DEP_1)
	v_cmp_eq_u32_e32 vcc_lo, 1, v0
	v_mov_b32_e32 v0, 0
	s_and_saveexec_b32 s0, vcc_lo
	s_cbranch_execz .LBB147_9
; %bb.21:                               ;   in Loop: Header=BB147_10 Depth=1
	v_dual_ashrrev_i32 v3, 31, v2 :: v_dual_add_nc_u32 v0, s21, v39
	s_delay_alu instid0(VALU_DEP_1) | instskip(SKIP_2) | instid1(VALU_DEP_1)
	v_mul_u64_e32 v[18:19], s[18:19], v[2:3]
	global_store_b32 v2, v0, s[8:9] scale_offset
	v_lshlrev_b64_e32 v[18:19], 3, v[18:19]
	v_add_nc_u64_e32 v[20:21], v[4:5], v[18:19]
	v_add_nc_u64_e32 v[18:19], v[6:7], v[18:19]
	s_wait_xcnt 0x0
	s_and_saveexec_b32 s23, s6
	s_cbranch_execz .LBB147_25
; %bb.22:                               ;   in Loop: Header=BB147_10 Depth=1
	s_and_b32 vcc_lo, exec_lo, s4
	s_cbranch_vccz .LBB147_36
; %bb.23:                               ;   in Loop: Header=BB147_10 Depth=1
	ds_load_b64 v[40:41], v31
	v_lshl_add_u64 v[42:43], v[8:9], 3, v[20:21]
	s_wait_dscnt 0x0
	global_store_b64 v[42:43], v[40:41], off
	s_cbranch_execnz .LBB147_25
.LBB147_24:                             ;   in Loop: Header=BB147_10 Depth=1
	s_wait_xcnt 0x0
	ds_load_b64 v[40:41], v31
	s_wait_dscnt 0x0
	global_store_b64 v[18:19], v[40:41], off
.LBB147_25:                             ;   in Loop: Header=BB147_10 Depth=1
	s_wait_xcnt 0x0
	s_or_b32 exec_lo, exec_lo, s23
	s_and_saveexec_b32 s23, s1
	s_cbranch_execz .LBB147_29
; %bb.26:                               ;   in Loop: Header=BB147_10 Depth=1
	s_and_not1_b32 vcc_lo, exec_lo, s4
	s_cbranch_vccnz .LBB147_37
; %bb.27:                               ;   in Loop: Header=BB147_10 Depth=1
	ds_load_b64 v[40:41], v31 offset:32
	v_lshl_add_u64 v[42:43], v[10:11], 3, v[20:21]
	s_wait_dscnt 0x0
	global_store_b64 v[42:43], v[40:41], off
	s_cbranch_execnz .LBB147_29
.LBB147_28:                             ;   in Loop: Header=BB147_10 Depth=1
	s_wait_xcnt 0x0
	ds_load_b64 v[40:41], v31 offset:32
	s_wait_dscnt 0x0
	global_store_b64 v[18:19], v[40:41], off offset:32
.LBB147_29:                             ;   in Loop: Header=BB147_10 Depth=1
	s_wait_xcnt 0x0
	s_or_b32 exec_lo, exec_lo, s23
	s_and_saveexec_b32 s23, s2
	s_cbranch_execz .LBB147_33
; %bb.30:                               ;   in Loop: Header=BB147_10 Depth=1
	s_and_not1_b32 vcc_lo, exec_lo, s4
	s_cbranch_vccnz .LBB147_38
; %bb.31:                               ;   in Loop: Header=BB147_10 Depth=1
	ds_load_b64 v[40:41], v31 offset:64
	v_lshl_add_u64 v[42:43], v[12:13], 3, v[20:21]
	s_wait_dscnt 0x0
	global_store_b64 v[42:43], v[40:41], off
	s_cbranch_execnz .LBB147_33
.LBB147_32:                             ;   in Loop: Header=BB147_10 Depth=1
	s_wait_xcnt 0x0
	ds_load_b64 v[40:41], v31 offset:64
	s_wait_dscnt 0x0
	global_store_b64 v[18:19], v[40:41], off offset:64
.LBB147_33:                             ;   in Loop: Header=BB147_10 Depth=1
	s_wait_xcnt 0x0
	s_or_b32 exec_lo, exec_lo, s23
	s_and_saveexec_b32 s23, s3
	s_cbranch_execz .LBB147_8
; %bb.34:                               ;   in Loop: Header=BB147_10 Depth=1
	s_and_not1_b32 vcc_lo, exec_lo, s4
	s_cbranch_vccnz .LBB147_39
; %bb.35:                               ;   in Loop: Header=BB147_10 Depth=1
	ds_load_b64 v[40:41], v31 offset:96
	v_lshl_add_u64 v[20:21], v[14:15], 3, v[20:21]
	s_wait_dscnt 0x0
	global_store_b64 v[20:21], v[40:41], off
	s_cbranch_execnz .LBB147_8
	s_branch .LBB147_40
.LBB147_36:                             ;   in Loop: Header=BB147_10 Depth=1
	s_branch .LBB147_24
.LBB147_37:                             ;   in Loop: Header=BB147_10 Depth=1
	s_branch .LBB147_28
.LBB147_38:                             ;   in Loop: Header=BB147_10 Depth=1
	s_branch .LBB147_32
.LBB147_39:                             ;   in Loop: Header=BB147_10 Depth=1
.LBB147_40:                             ;   in Loop: Header=BB147_10 Depth=1
	s_wait_xcnt 0x0
	ds_load_b64 v[20:21], v31 offset:96
	s_wait_dscnt 0x0
	global_store_b64 v[18:19], v[20:21], off offset:96
	s_branch .LBB147_8
.LBB147_41:
	s_endpgm
	.section	.rodata,"a",@progbits
	.p2align	6, 0x0
	.amdhsa_kernel _ZN9rocsparseL44csr2gebsr_wavefront_per_row_multipass_kernelILi256ELi8ELi16ELi32E21rocsparse_complex_numIfEEEv20rocsparse_direction_iiiiii21rocsparse_index_base_PKT3_PKiS9_S4_PS5_PiSB_
		.amdhsa_group_segment_fixed_size 8200
		.amdhsa_private_segment_fixed_size 0
		.amdhsa_kernarg_size 88
		.amdhsa_user_sgpr_count 2
		.amdhsa_user_sgpr_dispatch_ptr 0
		.amdhsa_user_sgpr_queue_ptr 0
		.amdhsa_user_sgpr_kernarg_segment_ptr 1
		.amdhsa_user_sgpr_dispatch_id 0
		.amdhsa_user_sgpr_kernarg_preload_length 0
		.amdhsa_user_sgpr_kernarg_preload_offset 0
		.amdhsa_user_sgpr_private_segment_size 0
		.amdhsa_wavefront_size32 1
		.amdhsa_uses_dynamic_stack 0
		.amdhsa_enable_private_segment 0
		.amdhsa_system_sgpr_workgroup_id_x 1
		.amdhsa_system_sgpr_workgroup_id_y 0
		.amdhsa_system_sgpr_workgroup_id_z 0
		.amdhsa_system_sgpr_workgroup_info 0
		.amdhsa_system_vgpr_workitem_id 0
		.amdhsa_next_free_vgpr 44
		.amdhsa_next_free_sgpr 26
		.amdhsa_named_barrier_count 0
		.amdhsa_reserve_vcc 1
		.amdhsa_float_round_mode_32 0
		.amdhsa_float_round_mode_16_64 0
		.amdhsa_float_denorm_mode_32 3
		.amdhsa_float_denorm_mode_16_64 3
		.amdhsa_fp16_overflow 0
		.amdhsa_memory_ordered 1
		.amdhsa_forward_progress 1
		.amdhsa_inst_pref_size 15
		.amdhsa_round_robin_scheduling 0
		.amdhsa_exception_fp_ieee_invalid_op 0
		.amdhsa_exception_fp_denorm_src 0
		.amdhsa_exception_fp_ieee_div_zero 0
		.amdhsa_exception_fp_ieee_overflow 0
		.amdhsa_exception_fp_ieee_underflow 0
		.amdhsa_exception_fp_ieee_inexact 0
		.amdhsa_exception_int_div_zero 0
	.end_amdhsa_kernel
	.section	.text._ZN9rocsparseL44csr2gebsr_wavefront_per_row_multipass_kernelILi256ELi8ELi16ELi32E21rocsparse_complex_numIfEEEv20rocsparse_direction_iiiiii21rocsparse_index_base_PKT3_PKiS9_S4_PS5_PiSB_,"axG",@progbits,_ZN9rocsparseL44csr2gebsr_wavefront_per_row_multipass_kernelILi256ELi8ELi16ELi32E21rocsparse_complex_numIfEEEv20rocsparse_direction_iiiiii21rocsparse_index_base_PKT3_PKiS9_S4_PS5_PiSB_,comdat
.Lfunc_end147:
	.size	_ZN9rocsparseL44csr2gebsr_wavefront_per_row_multipass_kernelILi256ELi8ELi16ELi32E21rocsparse_complex_numIfEEEv20rocsparse_direction_iiiiii21rocsparse_index_base_PKT3_PKiS9_S4_PS5_PiSB_, .Lfunc_end147-_ZN9rocsparseL44csr2gebsr_wavefront_per_row_multipass_kernelILi256ELi8ELi16ELi32E21rocsparse_complex_numIfEEEv20rocsparse_direction_iiiiii21rocsparse_index_base_PKT3_PKiS9_S4_PS5_PiSB_
                                        ; -- End function
	.set _ZN9rocsparseL44csr2gebsr_wavefront_per_row_multipass_kernelILi256ELi8ELi16ELi32E21rocsparse_complex_numIfEEEv20rocsparse_direction_iiiiii21rocsparse_index_base_PKT3_PKiS9_S4_PS5_PiSB_.num_vgpr, 44
	.set _ZN9rocsparseL44csr2gebsr_wavefront_per_row_multipass_kernelILi256ELi8ELi16ELi32E21rocsparse_complex_numIfEEEv20rocsparse_direction_iiiiii21rocsparse_index_base_PKT3_PKiS9_S4_PS5_PiSB_.num_agpr, 0
	.set _ZN9rocsparseL44csr2gebsr_wavefront_per_row_multipass_kernelILi256ELi8ELi16ELi32E21rocsparse_complex_numIfEEEv20rocsparse_direction_iiiiii21rocsparse_index_base_PKT3_PKiS9_S4_PS5_PiSB_.numbered_sgpr, 26
	.set _ZN9rocsparseL44csr2gebsr_wavefront_per_row_multipass_kernelILi256ELi8ELi16ELi32E21rocsparse_complex_numIfEEEv20rocsparse_direction_iiiiii21rocsparse_index_base_PKT3_PKiS9_S4_PS5_PiSB_.num_named_barrier, 0
	.set _ZN9rocsparseL44csr2gebsr_wavefront_per_row_multipass_kernelILi256ELi8ELi16ELi32E21rocsparse_complex_numIfEEEv20rocsparse_direction_iiiiii21rocsparse_index_base_PKT3_PKiS9_S4_PS5_PiSB_.private_seg_size, 0
	.set _ZN9rocsparseL44csr2gebsr_wavefront_per_row_multipass_kernelILi256ELi8ELi16ELi32E21rocsparse_complex_numIfEEEv20rocsparse_direction_iiiiii21rocsparse_index_base_PKT3_PKiS9_S4_PS5_PiSB_.uses_vcc, 1
	.set _ZN9rocsparseL44csr2gebsr_wavefront_per_row_multipass_kernelILi256ELi8ELi16ELi32E21rocsparse_complex_numIfEEEv20rocsparse_direction_iiiiii21rocsparse_index_base_PKT3_PKiS9_S4_PS5_PiSB_.uses_flat_scratch, 0
	.set _ZN9rocsparseL44csr2gebsr_wavefront_per_row_multipass_kernelILi256ELi8ELi16ELi32E21rocsparse_complex_numIfEEEv20rocsparse_direction_iiiiii21rocsparse_index_base_PKT3_PKiS9_S4_PS5_PiSB_.has_dyn_sized_stack, 0
	.set _ZN9rocsparseL44csr2gebsr_wavefront_per_row_multipass_kernelILi256ELi8ELi16ELi32E21rocsparse_complex_numIfEEEv20rocsparse_direction_iiiiii21rocsparse_index_base_PKT3_PKiS9_S4_PS5_PiSB_.has_recursion, 0
	.set _ZN9rocsparseL44csr2gebsr_wavefront_per_row_multipass_kernelILi256ELi8ELi16ELi32E21rocsparse_complex_numIfEEEv20rocsparse_direction_iiiiii21rocsparse_index_base_PKT3_PKiS9_S4_PS5_PiSB_.has_indirect_call, 0
	.section	.AMDGPU.csdata,"",@progbits
; Kernel info:
; codeLenInByte = 1856
; TotalNumSgprs: 28
; NumVgprs: 44
; ScratchSize: 0
; MemoryBound: 0
; FloatMode: 240
; IeeeMode: 1
; LDSByteSize: 8200 bytes/workgroup (compile time only)
; SGPRBlocks: 0
; VGPRBlocks: 2
; NumSGPRsForWavesPerEU: 28
; NumVGPRsForWavesPerEU: 44
; NamedBarCnt: 0
; Occupancy: 16
; WaveLimiterHint : 0
; COMPUTE_PGM_RSRC2:SCRATCH_EN: 0
; COMPUTE_PGM_RSRC2:USER_SGPR: 2
; COMPUTE_PGM_RSRC2:TRAP_HANDLER: 0
; COMPUTE_PGM_RSRC2:TGID_X_EN: 1
; COMPUTE_PGM_RSRC2:TGID_Y_EN: 0
; COMPUTE_PGM_RSRC2:TGID_Z_EN: 0
; COMPUTE_PGM_RSRC2:TIDIG_COMP_CNT: 0
	.section	.text._ZN9rocsparseL44csr2gebsr_wavefront_per_row_multipass_kernelILi256ELi8ELi32ELi64E21rocsparse_complex_numIfEEEv20rocsparse_direction_iiiiii21rocsparse_index_base_PKT3_PKiS9_S4_PS5_PiSB_,"axG",@progbits,_ZN9rocsparseL44csr2gebsr_wavefront_per_row_multipass_kernelILi256ELi8ELi32ELi64E21rocsparse_complex_numIfEEEv20rocsparse_direction_iiiiii21rocsparse_index_base_PKT3_PKiS9_S4_PS5_PiSB_,comdat
	.globl	_ZN9rocsparseL44csr2gebsr_wavefront_per_row_multipass_kernelILi256ELi8ELi32ELi64E21rocsparse_complex_numIfEEEv20rocsparse_direction_iiiiii21rocsparse_index_base_PKT3_PKiS9_S4_PS5_PiSB_ ; -- Begin function _ZN9rocsparseL44csr2gebsr_wavefront_per_row_multipass_kernelILi256ELi8ELi32ELi64E21rocsparse_complex_numIfEEEv20rocsparse_direction_iiiiii21rocsparse_index_base_PKT3_PKiS9_S4_PS5_PiSB_
	.p2align	8
	.type	_ZN9rocsparseL44csr2gebsr_wavefront_per_row_multipass_kernelILi256ELi8ELi32ELi64E21rocsparse_complex_numIfEEEv20rocsparse_direction_iiiiii21rocsparse_index_base_PKT3_PKiS9_S4_PS5_PiSB_,@function
_ZN9rocsparseL44csr2gebsr_wavefront_per_row_multipass_kernelILi256ELi8ELi32ELi64E21rocsparse_complex_numIfEEEv20rocsparse_direction_iiiiii21rocsparse_index_base_PKT3_PKiS9_S4_PS5_PiSB_: ; @_ZN9rocsparseL44csr2gebsr_wavefront_per_row_multipass_kernelILi256ELi8ELi32ELi64E21rocsparse_complex_numIfEEEv20rocsparse_direction_iiiiii21rocsparse_index_base_PKT3_PKiS9_S4_PS5_PiSB_
; %bb.0:
	s_clause 0x1
	s_load_b128 s[4:7], s[0:1], 0xc
	s_load_b64 s[14:15], s[0:1], 0x0
	s_bfe_u32 s2, ttmp6, 0x4000c
	s_and_b32 s3, ttmp6, 15
	s_add_co_i32 s2, s2, 1
	s_getreg_b32 s8, hwreg(HW_REG_IB_STS2, 6, 4)
	s_mul_i32 s2, ttmp9, s2
	v_dual_lshrrev_b32 v24, 6, v0 :: v_dual_mov_b32 v2, 0
	s_add_co_i32 s3, s3, s2
	s_cmp_eq_u32 s8, 0
	v_bfe_u32 v1, v0, 3, 3
	s_cselect_b32 s2, ttmp9, s3
	s_clause 0x1
	s_load_b32 s20, s[0:1], 0x1c
	s_load_b64 s[8:9], s[0:1], 0x28
	v_lshl_or_b32 v3, s2, 2, v24
	v_mov_b32_e32 v22, 0
	s_wait_kmcnt 0x0
	s_delay_alu instid0(VALU_DEP_2) | instskip(SKIP_1) | instid1(VALU_DEP_2)
	v_mad_u32 v4, v3, s6, v1
	v_cmp_gt_i32_e32 vcc_lo, s6, v1
	v_cmp_gt_i32_e64 s2, s15, v4
	s_and_b32 s2, vcc_lo, s2
	s_delay_alu instid0(SALU_CYCLE_1)
	s_and_saveexec_b32 s3, s2
	s_cbranch_execz .LBB148_2
; %bb.1:
	global_load_b32 v5, v4, s[8:9] scale_offset
	s_wait_loadcnt 0x0
	v_subrev_nc_u32_e32 v22, s20, v5
.LBB148_2:
	s_or_b32 exec_lo, exec_lo, s3
	v_mov_b32_e32 v25, 0
	s_and_saveexec_b32 s3, s2
	s_cbranch_execz .LBB148_4
; %bb.3:
	global_load_b32 v4, v4, s[8:9] offset:4 scale_offset
	s_wait_loadcnt 0x0
	v_subrev_nc_u32_e32 v25, s20, v4
.LBB148_4:
	s_or_b32 exec_lo, exec_lo, s3
	s_load_b32 s21, s[0:1], 0x38
	s_mov_b32 s3, exec_lo
	v_cmpx_gt_i32_e64 s4, v3
	s_cbranch_execz .LBB148_6
; %bb.5:
	s_load_b64 s[8:9], s[0:1], 0x48
	s_wait_kmcnt 0x0
	global_load_b32 v2, v3, s[8:9] scale_offset
	s_wait_loadcnt 0x0
	v_subrev_nc_u32_e32 v2, s21, v2
.LBB148_6:
	s_or_b32 exec_lo, exec_lo, s3
	s_cmp_lt_i32 s5, 1
	s_cbranch_scc1 .LBB148_41
; %bb.7:
	v_mbcnt_lo_u32_b32 v10, -1, 0
	v_lshlrev_b32_e32 v3, 8, v1
	s_clause 0x3
	s_load_b64 s[8:9], s[0:1], 0x50
	s_load_b64 s[2:3], s[0:1], 0x40
	;; [unrolled: 1-line block ×4, first 2 shown]
	v_and_b32_e32 v26, 7, v0
	v_mul_lo_u32 v6, s7, v1
	v_xor_b32_e32 v4, 4, v10
	v_lshl_or_b32 v27, v24, 11, v3
	s_cmp_lg_u32 s14, 0
	s_mov_b32 s15, 0
	s_cselect_b32 s4, -1, 0
	s_wait_xcnt 0x0
	v_cmp_gt_i32_e64 s0, 32, v4
	v_xor_b32_e32 v0, 2, v10
	s_mov_b32 s14, s6
	s_ashr_i32 s17, s7, 31
	s_mov_b32 s16, s7
	v_dual_cndmask_b32 v4, v10, v4, s0 :: v_dual_bitop2_b32 v3, 1, v10 bitop3:0x14
	v_cmp_gt_i32_e64 s0, 32, v0
	s_mul_u64 s[18:19], s[16:17], s[14:15]
	s_abs_i32 s16, s7
	v_lshlrev_b32_e32 v28, 2, v4
	s_cvt_f32_u32 s1, s16
	v_cndmask_b32_e64 v0, v10, v0, s0
	v_cmp_gt_i32_e64 s0, 32, v3
	v_lshl_or_b32 v31, v10, 2, 28
	v_mov_b64_e32 v[16:17], 0
	v_bfrev_b32_e32 v36, 0.5
	s_delay_alu instid0(VALU_DEP_4) | instskip(SKIP_2) | instid1(VALU_DEP_3)
	v_dual_lshlrev_b32 v29, 2, v0 :: v_dual_cndmask_b32 v3, v10, v3, s0
	v_dual_mov_b32 v1, 0 :: v_dual_lshlrev_b32 v0, 3, v1
	v_lshlrev_b32_e32 v8, 3, v26
	v_dual_ashrrev_i32 v7, 31, v6 :: v_dual_lshlrev_b32 v30, 2, v3
	v_dual_mov_b32 v38, 1 :: v_dual_bitop2_b32 v37, -8, v26 bitop3:0x54
	s_wait_kmcnt 0x0
	v_add_nc_u64_e32 v[4:5], s[2:3], v[0:1]
	v_dual_mov_b32 v9, v1 :: v_dual_bitop2_b32 v0, 32, v10 bitop3:0x54
	v_or_b32_e32 v32, v27, v8
	v_lshl_add_u64 v[6:7], v[6:7], 3, s[2:3]
	v_mov_b32_e32 v40, 0
	s_delay_alu instid0(VALU_DEP_4)
	v_cmp_gt_i32_e64 s0, 32, v0
	v_xor_b32_e32 v3, 16, v10
	s_mov_b32 s22, s15
	v_add_nc_u64_e32 v[6:7], v[6:7], v[8:9]
	v_mul_lo_u32 v8, v26, s6
	v_cndmask_b32_e64 v0, v10, v0, s0
	v_cmp_gt_i32_e64 s0, 32, v3
	v_xor_b32_e32 v11, 8, v10
	s_lshl_b32 s6, s6, 3
	v_dual_mov_b32 v13, v1 :: v_dual_lshlrev_b32 v33, 2, v0
	v_cndmask_b32_e64 v3, v10, v3, s0
	s_delay_alu instid0(VALU_DEP_3) | instskip(SKIP_1) | instid1(VALU_DEP_2)
	v_cmp_gt_i32_e64 s0, 32, v11
	v_dual_mov_b32 v15, v1 :: v_dual_bitop2_b32 v0, 8, v26 bitop3:0x54
	v_cndmask_b32_e64 v9, v10, v11, s0
	s_delay_alu instid0(VALU_DEP_4)
	v_lshlrev_b32_e32 v34, 2, v3
	v_rcp_iflag_f32_e32 v3, s1
	v_add_nc_u32_e32 v10, s6, v8
	v_cmp_gt_u32_e64 s0, s7, v26
	v_dual_lshlrev_b32 v35, 2, v9 :: v_dual_mov_b32 v9, v1
	v_cmp_gt_u32_e64 s1, s7, v0
	v_or_b32_e32 v0, 16, v26
	s_delay_alu instid0(TRANS32_DEP_1) | instskip(SKIP_2) | instid1(VALU_DEP_4)
	v_readfirstlane_b32 s3, v3
	v_dual_mov_b32 v11, v1 :: v_dual_add_nc_u32 v12, s6, v10
	v_or_b32_e32 v3, 24, v26
	v_cmp_gt_u32_e64 s2, s7, v0
	s_mul_f32 s14, s3, 0x4f7ffffe
	v_add_nc_u32_e32 v14, s6, v12
	s_and_b32 s6, s0, vcc_lo
	s_sub_co_i32 s0, 0, s16
	s_cvt_u32_f32 s14, s14
	v_cmp_gt_u32_e64 s3, s7, v3
	s_and_b32 s1, vcc_lo, s1
	s_and_b32 s2, vcc_lo, s2
	s_mul_i32 s0, s0, s14
	s_delay_alu instid0(SALU_CYCLE_1)
	s_mul_hi_u32 s0, s14, s0
	s_and_b32 s3, vcc_lo, s3
	s_add_co_i32 s14, s14, s0
	s_branch .LBB148_10
.LBB148_8:                              ;   in Loop: Header=BB148_10 Depth=1
	s_wait_xcnt 0x0
	s_or_b32 exec_lo, exec_lo, s23
	v_mov_b32_e32 v0, 1
.LBB148_9:                              ;   in Loop: Header=BB148_10 Depth=1
	s_or_b32 exec_lo, exec_lo, s0
	ds_bpermute_b32 v3, v33, v39
	s_wait_storecnt_dscnt 0x0
	v_dual_add_nc_u32 v2, v0, v2 :: v_dual_min_i32 v3, v3, v39
	ds_bpermute_b32 v18, v34, v3
	s_wait_dscnt 0x0
	v_min_i32_e32 v3, v18, v3
	ds_bpermute_b32 v18, v35, v3
	s_wait_dscnt 0x0
	v_min_i32_e32 v3, v18, v3
	;; [unrolled: 3-line block ×5, first 2 shown]
	ds_bpermute_b32 v40, v36, v3
	s_wait_dscnt 0x0
	v_cmp_le_i32_e32 vcc_lo, s5, v40
	s_or_b32 s22, vcc_lo, s22
	s_delay_alu instid0(SALU_CYCLE_1)
	s_and_not1_b32 exec_lo, exec_lo, s22
	s_cbranch_execz .LBB148_41
.LBB148_10:                             ; =>This Loop Header: Depth=1
                                        ;     Child Loop BB148_11 Depth 2
                                        ;     Child Loop BB148_15 Depth 2
	v_dual_mov_b32 v0, v32 :: v_dual_mov_b32 v3, v37
	s_mov_b32 s0, 0
	ds_store_b8 v24, v1 offset:8192
.LBB148_11:                             ;   Parent Loop BB148_10 Depth=1
                                        ; =>  This Inner Loop Header: Depth=2
	v_add_nc_u32_e32 v3, 8, v3
	ds_store_b64 v0, v[16:17]
	v_add_nc_u32_e32 v0, 64, v0
	v_cmp_lt_u32_e32 vcc_lo, 23, v3
	s_or_b32 s0, vcc_lo, s0
	s_delay_alu instid0(SALU_CYCLE_1)
	s_and_not1_b32 exec_lo, exec_lo, s0
	s_cbranch_execnz .LBB148_11
; %bb.12:                               ;   in Loop: Header=BB148_10 Depth=1
	s_or_b32 exec_lo, exec_lo, s0
	v_dual_mov_b32 v39, s5 :: v_dual_add_nc_u32 v18, v22, v26
	v_mov_b32_e32 v19, v25
	s_mov_b32 s23, exec_lo
	s_wait_dscnt 0x0
	s_delay_alu instid0(VALU_DEP_2)
	v_cmpx_lt_i32_e64 v18, v25
	s_cbranch_execz .LBB148_20
; %bb.13:                               ;   in Loop: Header=BB148_10 Depth=1
	v_mul_lo_u32 v3, v40, s7
	v_dual_ashrrev_i32 v19, 31, v18 :: v_dual_mov_b32 v39, s5
	s_mov_b32 s24, 0
	s_delay_alu instid0(VALU_DEP_1)
	v_lshl_add_u64 v[20:21], v[18:19], 2, s[12:13]
	v_lshl_add_u64 v[22:23], v[18:19], 3, s[10:11]
	v_mov_b32_e32 v19, v25
	s_branch .LBB148_15
.LBB148_14:                             ;   in Loop: Header=BB148_15 Depth=2
	s_wait_xcnt 0x0
	s_or_b32 exec_lo, exec_lo, s0
	v_add_nc_u32_e32 v18, 8, v18
	s_xor_b32 s25, vcc_lo, -1
	v_add_nc_u64_e32 v[20:21], 32, v[20:21]
	v_add_nc_u64_e32 v[22:23], 64, v[22:23]
	s_delay_alu instid0(VALU_DEP_3) | instskip(SKIP_1) | instid1(SALU_CYCLE_1)
	v_cmp_ge_i32_e64 s0, v18, v25
	s_or_b32 s0, s25, s0
	s_and_b32 s0, exec_lo, s0
	s_delay_alu instid0(SALU_CYCLE_1) | instskip(NEXT) | instid1(SALU_CYCLE_1)
	s_or_b32 s24, s0, s24
	s_and_not1_b32 exec_lo, exec_lo, s24
	s_cbranch_execz .LBB148_19
.LBB148_15:                             ;   Parent Loop BB148_10 Depth=1
                                        ; =>  This Inner Loop Header: Depth=2
	global_load_b32 v0, v[20:21], off
	s_wait_loadcnt 0x0
	v_subrev_nc_u32_e32 v41, s20, v0
	s_delay_alu instid0(VALU_DEP_1) | instskip(NEXT) | instid1(VALU_DEP_1)
	v_sub_nc_u32_e32 v0, 0, v41
	v_max_i32_e32 v0, v41, v0
	s_delay_alu instid0(VALU_DEP_1) | instskip(NEXT) | instid1(VALU_DEP_1)
	v_mul_u64_e32 v[42:43], s[14:15], v[0:1]
	v_mul_lo_u32 v42, v43, s16
	s_delay_alu instid0(VALU_DEP_1) | instskip(NEXT) | instid1(VALU_DEP_1)
	v_dual_sub_nc_u32 v0, v0, v42 :: v_dual_add_nc_u32 v42, 1, v43
	v_cmp_le_u32_e32 vcc_lo, s16, v0
	s_delay_alu instid0(VALU_DEP_2) | instskip(SKIP_1) | instid1(VALU_DEP_1)
	v_dual_cndmask_b32 v42, v43, v42 :: v_dual_ashrrev_i32 v43, 31, v41
	v_subrev_nc_u32_e32 v44, s16, v0
	v_dual_cndmask_b32 v0, v0, v44, vcc_lo :: v_dual_add_nc_u32 v44, 1, v42
	s_delay_alu instid0(VALU_DEP_1) | instskip(NEXT) | instid1(VALU_DEP_2)
	v_cmp_le_u32_e32 vcc_lo, s16, v0
	v_dual_cndmask_b32 v0, v42, v44, vcc_lo :: v_dual_bitop2_b32 v43, s17, v43 bitop3:0x14
	s_delay_alu instid0(VALU_DEP_1) | instskip(NEXT) | instid1(VALU_DEP_1)
	v_xor_b32_e32 v0, v0, v43
	v_dual_sub_nc_u32 v42, v0, v43 :: v_dual_mov_b32 v0, v19
	s_delay_alu instid0(VALU_DEP_1) | instskip(SKIP_3) | instid1(SALU_CYCLE_1)
	v_cmp_ne_u32_e64 s0, v42, v40
	v_cmp_eq_u32_e32 vcc_lo, v42, v40
	s_wait_xcnt 0x0
	s_and_saveexec_b32 s25, s0
	s_xor_b32 s0, exec_lo, s25
; %bb.16:                               ;   in Loop: Header=BB148_15 Depth=2
	v_min_i32_e32 v39, v42, v39
                                        ; implicit-def: $vgpr41
                                        ; implicit-def: $vgpr0
; %bb.17:                               ;   in Loop: Header=BB148_15 Depth=2
	s_or_saveexec_b32 s0, s0
	v_mov_b32_e32 v19, v18
	s_xor_b32 exec_lo, exec_lo, s0
	s_cbranch_execz .LBB148_14
; %bb.18:                               ;   in Loop: Header=BB148_15 Depth=2
	global_load_b64 v[42:43], v[22:23], off
	v_sub_nc_u32_e32 v19, v41, v3
	s_delay_alu instid0(VALU_DEP_1)
	v_lshl_add_u32 v41, v19, 3, v27
	v_mov_b32_e32 v19, v0
	ds_store_b8 v24, v38 offset:8192
	s_wait_loadcnt 0x0
	ds_store_b64 v41, v[42:43]
	s_branch .LBB148_14
.LBB148_19:                             ;   in Loop: Header=BB148_10 Depth=1
	s_or_b32 exec_lo, exec_lo, s24
.LBB148_20:                             ;   in Loop: Header=BB148_10 Depth=1
	s_delay_alu instid0(SALU_CYCLE_1)
	s_or_b32 exec_lo, exec_lo, s23
	ds_bpermute_b32 v0, v28, v19
	s_wait_dscnt 0x0
	ds_load_u8 v18, v24 offset:8192
	v_min_i32_e32 v0, v0, v19
	ds_bpermute_b32 v3, v29, v0
	s_wait_dscnt 0x0
	v_min_i32_e32 v0, v3, v0
	ds_bpermute_b32 v3, v30, v0
	s_wait_dscnt 0x0
	v_min_i32_e32 v0, v3, v0
	ds_bpermute_b32 v22, v31, v0
	v_and_b32_e32 v0, 1, v18
	s_delay_alu instid0(VALU_DEP_1)
	v_cmp_eq_u32_e32 vcc_lo, 1, v0
	v_mov_b32_e32 v0, 0
	s_and_saveexec_b32 s0, vcc_lo
	s_cbranch_execz .LBB148_9
; %bb.21:                               ;   in Loop: Header=BB148_10 Depth=1
	v_dual_ashrrev_i32 v3, 31, v2 :: v_dual_add_nc_u32 v0, s21, v40
	s_delay_alu instid0(VALU_DEP_1) | instskip(SKIP_2) | instid1(VALU_DEP_1)
	v_mul_u64_e32 v[18:19], s[18:19], v[2:3]
	global_store_b32 v2, v0, s[8:9] scale_offset
	v_lshlrev_b64_e32 v[18:19], 3, v[18:19]
	v_add_nc_u64_e32 v[20:21], v[4:5], v[18:19]
	v_add_nc_u64_e32 v[18:19], v[6:7], v[18:19]
	s_wait_xcnt 0x0
	s_and_saveexec_b32 s23, s6
	s_cbranch_execz .LBB148_25
; %bb.22:                               ;   in Loop: Header=BB148_10 Depth=1
	s_and_b32 vcc_lo, exec_lo, s4
	s_cbranch_vccz .LBB148_36
; %bb.23:                               ;   in Loop: Header=BB148_10 Depth=1
	ds_load_b64 v[40:41], v32
	v_lshl_add_u64 v[42:43], v[8:9], 3, v[20:21]
	s_wait_dscnt 0x0
	global_store_b64 v[42:43], v[40:41], off
	s_cbranch_execnz .LBB148_25
.LBB148_24:                             ;   in Loop: Header=BB148_10 Depth=1
	s_wait_xcnt 0x0
	ds_load_b64 v[40:41], v32
	s_wait_dscnt 0x0
	global_store_b64 v[18:19], v[40:41], off
.LBB148_25:                             ;   in Loop: Header=BB148_10 Depth=1
	s_wait_xcnt 0x0
	s_or_b32 exec_lo, exec_lo, s23
	s_and_saveexec_b32 s23, s1
	s_cbranch_execz .LBB148_29
; %bb.26:                               ;   in Loop: Header=BB148_10 Depth=1
	s_and_not1_b32 vcc_lo, exec_lo, s4
	s_cbranch_vccnz .LBB148_37
; %bb.27:                               ;   in Loop: Header=BB148_10 Depth=1
	ds_load_b64 v[40:41], v32 offset:64
	v_lshl_add_u64 v[42:43], v[10:11], 3, v[20:21]
	s_wait_dscnt 0x0
	global_store_b64 v[42:43], v[40:41], off
	s_cbranch_execnz .LBB148_29
.LBB148_28:                             ;   in Loop: Header=BB148_10 Depth=1
	s_wait_xcnt 0x0
	ds_load_b64 v[40:41], v32 offset:64
	s_wait_dscnt 0x0
	global_store_b64 v[18:19], v[40:41], off offset:64
.LBB148_29:                             ;   in Loop: Header=BB148_10 Depth=1
	s_wait_xcnt 0x0
	s_or_b32 exec_lo, exec_lo, s23
	s_and_saveexec_b32 s23, s2
	s_cbranch_execz .LBB148_33
; %bb.30:                               ;   in Loop: Header=BB148_10 Depth=1
	s_and_not1_b32 vcc_lo, exec_lo, s4
	s_cbranch_vccnz .LBB148_38
; %bb.31:                               ;   in Loop: Header=BB148_10 Depth=1
	ds_load_b64 v[40:41], v32 offset:128
	v_lshl_add_u64 v[42:43], v[12:13], 3, v[20:21]
	s_wait_dscnt 0x0
	global_store_b64 v[42:43], v[40:41], off
	s_cbranch_execnz .LBB148_33
.LBB148_32:                             ;   in Loop: Header=BB148_10 Depth=1
	s_wait_xcnt 0x0
	ds_load_b64 v[40:41], v32 offset:128
	s_wait_dscnt 0x0
	global_store_b64 v[18:19], v[40:41], off offset:128
.LBB148_33:                             ;   in Loop: Header=BB148_10 Depth=1
	s_wait_xcnt 0x0
	s_or_b32 exec_lo, exec_lo, s23
	s_and_saveexec_b32 s23, s3
	s_cbranch_execz .LBB148_8
; %bb.34:                               ;   in Loop: Header=BB148_10 Depth=1
	s_and_not1_b32 vcc_lo, exec_lo, s4
	s_cbranch_vccnz .LBB148_39
; %bb.35:                               ;   in Loop: Header=BB148_10 Depth=1
	ds_load_b64 v[40:41], v32 offset:192
	v_lshl_add_u64 v[20:21], v[14:15], 3, v[20:21]
	s_wait_dscnt 0x0
	global_store_b64 v[20:21], v[40:41], off
	s_cbranch_execnz .LBB148_8
	s_branch .LBB148_40
.LBB148_36:                             ;   in Loop: Header=BB148_10 Depth=1
	s_branch .LBB148_24
.LBB148_37:                             ;   in Loop: Header=BB148_10 Depth=1
	s_branch .LBB148_28
.LBB148_38:                             ;   in Loop: Header=BB148_10 Depth=1
	s_branch .LBB148_32
.LBB148_39:                             ;   in Loop: Header=BB148_10 Depth=1
.LBB148_40:                             ;   in Loop: Header=BB148_10 Depth=1
	s_wait_xcnt 0x0
	ds_load_b64 v[20:21], v32 offset:192
	s_wait_dscnt 0x0
	global_store_b64 v[18:19], v[20:21], off offset:192
	s_branch .LBB148_8
.LBB148_41:
	s_endpgm
	.section	.rodata,"a",@progbits
	.p2align	6, 0x0
	.amdhsa_kernel _ZN9rocsparseL44csr2gebsr_wavefront_per_row_multipass_kernelILi256ELi8ELi32ELi64E21rocsparse_complex_numIfEEEv20rocsparse_direction_iiiiii21rocsparse_index_base_PKT3_PKiS9_S4_PS5_PiSB_
		.amdhsa_group_segment_fixed_size 8196
		.amdhsa_private_segment_fixed_size 0
		.amdhsa_kernarg_size 88
		.amdhsa_user_sgpr_count 2
		.amdhsa_user_sgpr_dispatch_ptr 0
		.amdhsa_user_sgpr_queue_ptr 0
		.amdhsa_user_sgpr_kernarg_segment_ptr 1
		.amdhsa_user_sgpr_dispatch_id 0
		.amdhsa_user_sgpr_kernarg_preload_length 0
		.amdhsa_user_sgpr_kernarg_preload_offset 0
		.amdhsa_user_sgpr_private_segment_size 0
		.amdhsa_wavefront_size32 1
		.amdhsa_uses_dynamic_stack 0
		.amdhsa_enable_private_segment 0
		.amdhsa_system_sgpr_workgroup_id_x 1
		.amdhsa_system_sgpr_workgroup_id_y 0
		.amdhsa_system_sgpr_workgroup_id_z 0
		.amdhsa_system_sgpr_workgroup_info 0
		.amdhsa_system_vgpr_workitem_id 0
		.amdhsa_next_free_vgpr 45
		.amdhsa_next_free_sgpr 26
		.amdhsa_named_barrier_count 0
		.amdhsa_reserve_vcc 1
		.amdhsa_float_round_mode_32 0
		.amdhsa_float_round_mode_16_64 0
		.amdhsa_float_denorm_mode_32 3
		.amdhsa_float_denorm_mode_16_64 3
		.amdhsa_fp16_overflow 0
		.amdhsa_memory_ordered 1
		.amdhsa_forward_progress 1
		.amdhsa_inst_pref_size 15
		.amdhsa_round_robin_scheduling 0
		.amdhsa_exception_fp_ieee_invalid_op 0
		.amdhsa_exception_fp_denorm_src 0
		.amdhsa_exception_fp_ieee_div_zero 0
		.amdhsa_exception_fp_ieee_overflow 0
		.amdhsa_exception_fp_ieee_underflow 0
		.amdhsa_exception_fp_ieee_inexact 0
		.amdhsa_exception_int_div_zero 0
	.end_amdhsa_kernel
	.section	.text._ZN9rocsparseL44csr2gebsr_wavefront_per_row_multipass_kernelILi256ELi8ELi32ELi64E21rocsparse_complex_numIfEEEv20rocsparse_direction_iiiiii21rocsparse_index_base_PKT3_PKiS9_S4_PS5_PiSB_,"axG",@progbits,_ZN9rocsparseL44csr2gebsr_wavefront_per_row_multipass_kernelILi256ELi8ELi32ELi64E21rocsparse_complex_numIfEEEv20rocsparse_direction_iiiiii21rocsparse_index_base_PKT3_PKiS9_S4_PS5_PiSB_,comdat
.Lfunc_end148:
	.size	_ZN9rocsparseL44csr2gebsr_wavefront_per_row_multipass_kernelILi256ELi8ELi32ELi64E21rocsparse_complex_numIfEEEv20rocsparse_direction_iiiiii21rocsparse_index_base_PKT3_PKiS9_S4_PS5_PiSB_, .Lfunc_end148-_ZN9rocsparseL44csr2gebsr_wavefront_per_row_multipass_kernelILi256ELi8ELi32ELi64E21rocsparse_complex_numIfEEEv20rocsparse_direction_iiiiii21rocsparse_index_base_PKT3_PKiS9_S4_PS5_PiSB_
                                        ; -- End function
	.set _ZN9rocsparseL44csr2gebsr_wavefront_per_row_multipass_kernelILi256ELi8ELi32ELi64E21rocsparse_complex_numIfEEEv20rocsparse_direction_iiiiii21rocsparse_index_base_PKT3_PKiS9_S4_PS5_PiSB_.num_vgpr, 45
	.set _ZN9rocsparseL44csr2gebsr_wavefront_per_row_multipass_kernelILi256ELi8ELi32ELi64E21rocsparse_complex_numIfEEEv20rocsparse_direction_iiiiii21rocsparse_index_base_PKT3_PKiS9_S4_PS5_PiSB_.num_agpr, 0
	.set _ZN9rocsparseL44csr2gebsr_wavefront_per_row_multipass_kernelILi256ELi8ELi32ELi64E21rocsparse_complex_numIfEEEv20rocsparse_direction_iiiiii21rocsparse_index_base_PKT3_PKiS9_S4_PS5_PiSB_.numbered_sgpr, 26
	.set _ZN9rocsparseL44csr2gebsr_wavefront_per_row_multipass_kernelILi256ELi8ELi32ELi64E21rocsparse_complex_numIfEEEv20rocsparse_direction_iiiiii21rocsparse_index_base_PKT3_PKiS9_S4_PS5_PiSB_.num_named_barrier, 0
	.set _ZN9rocsparseL44csr2gebsr_wavefront_per_row_multipass_kernelILi256ELi8ELi32ELi64E21rocsparse_complex_numIfEEEv20rocsparse_direction_iiiiii21rocsparse_index_base_PKT3_PKiS9_S4_PS5_PiSB_.private_seg_size, 0
	.set _ZN9rocsparseL44csr2gebsr_wavefront_per_row_multipass_kernelILi256ELi8ELi32ELi64E21rocsparse_complex_numIfEEEv20rocsparse_direction_iiiiii21rocsparse_index_base_PKT3_PKiS9_S4_PS5_PiSB_.uses_vcc, 1
	.set _ZN9rocsparseL44csr2gebsr_wavefront_per_row_multipass_kernelILi256ELi8ELi32ELi64E21rocsparse_complex_numIfEEEv20rocsparse_direction_iiiiii21rocsparse_index_base_PKT3_PKiS9_S4_PS5_PiSB_.uses_flat_scratch, 0
	.set _ZN9rocsparseL44csr2gebsr_wavefront_per_row_multipass_kernelILi256ELi8ELi32ELi64E21rocsparse_complex_numIfEEEv20rocsparse_direction_iiiiii21rocsparse_index_base_PKT3_PKiS9_S4_PS5_PiSB_.has_dyn_sized_stack, 0
	.set _ZN9rocsparseL44csr2gebsr_wavefront_per_row_multipass_kernelILi256ELi8ELi32ELi64E21rocsparse_complex_numIfEEEv20rocsparse_direction_iiiiii21rocsparse_index_base_PKT3_PKiS9_S4_PS5_PiSB_.has_recursion, 0
	.set _ZN9rocsparseL44csr2gebsr_wavefront_per_row_multipass_kernelILi256ELi8ELi32ELi64E21rocsparse_complex_numIfEEEv20rocsparse_direction_iiiiii21rocsparse_index_base_PKT3_PKiS9_S4_PS5_PiSB_.has_indirect_call, 0
	.section	.AMDGPU.csdata,"",@progbits
; Kernel info:
; codeLenInByte = 1912
; TotalNumSgprs: 28
; NumVgprs: 45
; ScratchSize: 0
; MemoryBound: 0
; FloatMode: 240
; IeeeMode: 1
; LDSByteSize: 8196 bytes/workgroup (compile time only)
; SGPRBlocks: 0
; VGPRBlocks: 2
; NumSGPRsForWavesPerEU: 28
; NumVGPRsForWavesPerEU: 45
; NamedBarCnt: 0
; Occupancy: 16
; WaveLimiterHint : 0
; COMPUTE_PGM_RSRC2:SCRATCH_EN: 0
; COMPUTE_PGM_RSRC2:USER_SGPR: 2
; COMPUTE_PGM_RSRC2:TRAP_HANDLER: 0
; COMPUTE_PGM_RSRC2:TGID_X_EN: 1
; COMPUTE_PGM_RSRC2:TGID_Y_EN: 0
; COMPUTE_PGM_RSRC2:TGID_Z_EN: 0
; COMPUTE_PGM_RSRC2:TIDIG_COMP_CNT: 0
	.section	.text._ZN9rocsparseL44csr2gebsr_wavefront_per_row_multipass_kernelILi256ELi8ELi32ELi32E21rocsparse_complex_numIfEEEv20rocsparse_direction_iiiiii21rocsparse_index_base_PKT3_PKiS9_S4_PS5_PiSB_,"axG",@progbits,_ZN9rocsparseL44csr2gebsr_wavefront_per_row_multipass_kernelILi256ELi8ELi32ELi32E21rocsparse_complex_numIfEEEv20rocsparse_direction_iiiiii21rocsparse_index_base_PKT3_PKiS9_S4_PS5_PiSB_,comdat
	.globl	_ZN9rocsparseL44csr2gebsr_wavefront_per_row_multipass_kernelILi256ELi8ELi32ELi32E21rocsparse_complex_numIfEEEv20rocsparse_direction_iiiiii21rocsparse_index_base_PKT3_PKiS9_S4_PS5_PiSB_ ; -- Begin function _ZN9rocsparseL44csr2gebsr_wavefront_per_row_multipass_kernelILi256ELi8ELi32ELi32E21rocsparse_complex_numIfEEEv20rocsparse_direction_iiiiii21rocsparse_index_base_PKT3_PKiS9_S4_PS5_PiSB_
	.p2align	8
	.type	_ZN9rocsparseL44csr2gebsr_wavefront_per_row_multipass_kernelILi256ELi8ELi32ELi32E21rocsparse_complex_numIfEEEv20rocsparse_direction_iiiiii21rocsparse_index_base_PKT3_PKiS9_S4_PS5_PiSB_,@function
_ZN9rocsparseL44csr2gebsr_wavefront_per_row_multipass_kernelILi256ELi8ELi32ELi32E21rocsparse_complex_numIfEEEv20rocsparse_direction_iiiiii21rocsparse_index_base_PKT3_PKiS9_S4_PS5_PiSB_: ; @_ZN9rocsparseL44csr2gebsr_wavefront_per_row_multipass_kernelILi256ELi8ELi32ELi32E21rocsparse_complex_numIfEEEv20rocsparse_direction_iiiiii21rocsparse_index_base_PKT3_PKiS9_S4_PS5_PiSB_
; %bb.0:
	s_clause 0x1
	s_load_b128 s[8:11], s[0:1], 0xc
	s_load_b64 s[4:5], s[0:1], 0x0
	s_bfe_u32 s2, ttmp6, 0x4000c
	s_and_b32 s3, ttmp6, 15
	s_add_co_i32 s2, s2, 1
	s_getreg_b32 s6, hwreg(HW_REG_IB_STS2, 6, 4)
	s_mul_i32 s2, ttmp9, s2
	v_dual_lshrrev_b32 v32, 5, v0 :: v_dual_mov_b32 v2, 0
	s_add_co_i32 s3, s3, s2
	s_cmp_eq_u32 s6, 0
	v_bfe_u32 v3, v0, 2, 3
	s_cselect_b32 s2, ttmp9, s3
	s_clause 0x1
	s_load_b32 s24, s[0:1], 0x1c
	s_load_b64 s[6:7], s[0:1], 0x28
	v_lshl_or_b32 v1, s2, 3, v32
	v_mov_b32_e32 v30, 0
	s_wait_kmcnt 0x0
	s_delay_alu instid0(VALU_DEP_2) | instskip(SKIP_1) | instid1(VALU_DEP_2)
	v_mad_u32 v4, v1, s10, v3
	v_cmp_gt_i32_e32 vcc_lo, s10, v3
	v_cmp_gt_i32_e64 s2, s5, v4
	s_and_b32 s2, vcc_lo, s2
	s_delay_alu instid0(SALU_CYCLE_1)
	s_and_saveexec_b32 s3, s2
	s_cbranch_execz .LBB149_2
; %bb.1:
	global_load_b32 v5, v4, s[6:7] scale_offset
	s_wait_loadcnt 0x0
	v_subrev_nc_u32_e32 v30, s24, v5
.LBB149_2:
	s_or_b32 exec_lo, exec_lo, s3
	v_mov_b32_e32 v33, 0
	s_and_saveexec_b32 s3, s2
	s_cbranch_execz .LBB149_4
; %bb.3:
	global_load_b32 v4, v4, s[6:7] offset:4 scale_offset
	s_wait_loadcnt 0x0
	v_subrev_nc_u32_e32 v33, s24, v4
.LBB149_4:
	s_or_b32 exec_lo, exec_lo, s3
	s_load_b32 s25, s[0:1], 0x38
	s_mov_b32 s3, exec_lo
	v_cmpx_gt_i32_e64 s8, v1
	s_cbranch_execz .LBB149_6
; %bb.5:
	s_load_b64 s[6:7], s[0:1], 0x48
	s_wait_kmcnt 0x0
	global_load_b32 v1, v1, s[6:7] scale_offset
	s_wait_loadcnt 0x0
	v_subrev_nc_u32_e32 v2, s25, v1
.LBB149_6:
	s_or_b32 exec_lo, exec_lo, s3
	s_cmp_lt_i32 s9, 1
	s_cbranch_scc1 .LBB149_61
; %bb.7:
	v_mbcnt_lo_u32_b32 v6, -1, 0
	v_lshlrev_b32_e32 v1, 8, v3
	s_clause 0x3
	s_load_b64 s[12:13], s[0:1], 0x50
	s_load_b64 s[2:3], s[0:1], 0x40
	;; [unrolled: 1-line block ×4, first 2 shown]
	s_cmp_lg_u32 s4, 0
	s_mov_b32 s19, 0
	v_xor_b32_e32 v4, 2, v6
	v_lshl_or_b32 v35, v32, 11, v1
	s_cselect_b32 s8, -1, 0
	s_mov_b32 s18, s10
	s_ashr_i32 s21, s11, 31
	s_wait_xcnt 0x0
	v_cmp_gt_i32_e64 s0, 32, v4
	v_xor_b32_e32 v5, 1, v6
	v_and_b32_e32 v34, 3, v0
	s_mov_b32 s20, s11
	v_lshl_or_b32 v38, v6, 2, 12
	v_cndmask_b32_e64 v0, v6, v4, s0
	v_mul_lo_u32 v4, s11, v3
	v_cmp_gt_i32_e64 s0, 32, v5
	s_mul_u64 s[22:23], s[20:21], s[18:19]
	s_lshl_b32 s18, s10, 2
	v_mov_b64_e32 v[24:25], 0
	v_dual_mov_b32 v45, 1 :: v_dual_cndmask_b32 v1, v6, v5, s0
	v_dual_lshlrev_b32 v36, 2, v0 :: v_dual_lshlrev_b32 v8, 3, v34
	v_dual_lshlrev_b32 v0, 3, v3 :: v_dual_bitop2_b32 v3, 16, v6 bitop3:0x14
	s_delay_alu instid0(VALU_DEP_3) | instskip(NEXT) | instid1(VALU_DEP_3)
	v_dual_ashrrev_i32 v5, 31, v4 :: v_dual_lshlrev_b32 v37, 2, v1
	v_dual_mov_b32 v1, 0 :: v_dual_bitop2_b32 v39, v35, v8 bitop3:0x54
	s_delay_alu instid0(VALU_DEP_3) | instskip(SKIP_1) | instid1(VALU_DEP_3)
	v_cmp_gt_i32_e64 s0, 32, v3
	s_wait_kmcnt 0x0
	v_lshl_add_u64 v[10:11], v[4:5], 3, s[2:3]
	v_xor_b32_e32 v4, 8, v6
	v_dual_mov_b32 v9, v1 :: v_dual_bitop2_b32 v5, 4, v6 bitop3:0x14
	v_dual_cndmask_b32 v3, v6, v3, s0 :: v_dual_mov_b32 v19, v1
	s_delay_alu instid0(VALU_DEP_3) | instskip(SKIP_1) | instid1(VALU_DEP_4)
	v_cmp_gt_i32_e64 s0, 32, v4
	v_or_b32_e32 v44, -4, v34
	v_add_nc_u64_e32 v[8:9], v[10:11], v[8:9]
	v_mov_b32_e32 v47, 0
	v_mov_b32_e32 v43, 0x7c
	v_cndmask_b32_e64 v12, v6, v4, s0
	v_mul_lo_u32 v4, v34, s10
	v_cmp_gt_i32_e64 s0, 32, v5
	s_abs_i32 s10, s11
	v_mov_b32_e32 v13, v1
	s_cvt_f32_u32 s5, s10
	v_dual_mov_b32 v11, v1 :: v_dual_cndmask_b32 v5, v6, v5, s0
	v_add_nc_u64_e32 v[6:7], s[2:3], v[0:1]
	v_dual_lshlrev_b32 v40, 2, v3 :: v_dual_bitop2_b32 v0, 4, v34 bitop3:0x54
	v_lshlrev_b32_e32 v41, 2, v12
	v_add_nc_u32_e32 v10, s18, v4
	v_rcp_iflag_f32_e32 v22, s5
	s_delay_alu instid0(VALU_DEP_3)
	v_cmp_gt_u32_e64 s1, s11, v0
	v_dual_mov_b32 v5, v1 :: v_dual_lshlrev_b32 v42, 2, v5
	v_or_b32_e32 v3, 8, v34
	v_add_nc_u32_e32 v12, s18, v10
	v_or_b32_e32 v0, 12, v34
	v_cmp_gt_u32_e64 s0, s11, v34
	v_readfirstlane_b32 s26, v22
	v_cmp_gt_u32_e64 s2, s11, v3
	v_dual_mov_b32 v15, v1 :: v_dual_add_nc_u32 v14, s18, v12
	v_or_b32_e32 v3, 16, v34
	v_cmp_gt_u32_e64 s3, s11, v0
	v_dual_mov_b32 v17, v1 :: v_dual_bitop2_b32 v0, 20, v34 bitop3:0x54
	s_delay_alu instid0(VALU_DEP_4) | instskip(SKIP_3) | instid1(VALU_DEP_2)
	v_add_nc_u32_e32 v16, s18, v14
	s_and_b32 s20, s0, vcc_lo
	s_mul_f32 s0, s26, 0x4f7ffffe
	v_cmp_gt_u32_e64 s4, s11, v3
	v_dual_add_nc_u32 v18, s18, v16 :: v_dual_bitop2_b32 v3, 24, v34 bitop3:0x54
	v_cmp_gt_u32_e64 s5, s11, v0
	v_or_b32_e32 v0, 28, v34
	s_cvt_u32_f32 s0, s0
	v_dual_mov_b32 v21, v1 :: v_dual_add_nc_u32 v20, s18, v18
	v_cmp_gt_u32_e64 s6, s11, v3
	s_delay_alu instid0(VALU_DEP_3)
	v_cmp_gt_u32_e64 s7, s11, v0
	v_mov_b32_e32 v23, v1
	s_and_b32 s1, vcc_lo, s1
	v_add_nc_u32_e32 v22, s18, v20
	s_sub_co_i32 s18, 0, s10
	s_and_b32 s2, vcc_lo, s2
	s_mul_i32 s18, s18, s0
	s_and_b32 s3, vcc_lo, s3
	s_mul_hi_u32 s18, s0, s18
	s_and_b32 s4, vcc_lo, s4
	s_and_b32 s5, vcc_lo, s5
	;; [unrolled: 1-line block ×4, first 2 shown]
	s_add_co_i32 s18, s0, s18
	s_mov_b32 s26, s19
	s_branch .LBB149_10
.LBB149_8:                              ;   in Loop: Header=BB149_10 Depth=1
	s_wait_xcnt 0x0
	s_or_b32 exec_lo, exec_lo, s27
	v_mov_b32_e32 v0, 1
.LBB149_9:                              ;   in Loop: Header=BB149_10 Depth=1
	s_or_b32 exec_lo, exec_lo, s0
	ds_bpermute_b32 v3, v40, v46
	s_wait_storecnt_dscnt 0x0
	v_add_nc_u32_e32 v2, v0, v2
	v_min_i32_e32 v3, v3, v46
	ds_bpermute_b32 v26, v41, v3
	s_wait_dscnt 0x0
	v_min_i32_e32 v3, v26, v3
	ds_bpermute_b32 v26, v42, v3
	s_wait_dscnt 0x0
	;; [unrolled: 3-line block ×5, first 2 shown]
	v_cmp_le_i32_e32 vcc_lo, s9, v47
	s_or_b32 s26, vcc_lo, s26
	s_delay_alu instid0(SALU_CYCLE_1)
	s_and_not1_b32 exec_lo, exec_lo, s26
	s_cbranch_execz .LBB149_61
.LBB149_10:                             ; =>This Loop Header: Depth=1
                                        ;     Child Loop BB149_11 Depth 2
                                        ;     Child Loop BB149_15 Depth 2
	v_dual_mov_b32 v0, v39 :: v_dual_mov_b32 v3, v44
	s_mov_b32 s0, 0
	ds_store_b8 v32, v1 offset:16384
.LBB149_11:                             ;   Parent Loop BB149_10 Depth=1
                                        ; =>  This Inner Loop Header: Depth=2
	v_add_nc_u32_e32 v3, 4, v3
	ds_store_b64 v0, v[24:25]
	v_add_nc_u32_e32 v0, 32, v0
	v_cmp_lt_u32_e32 vcc_lo, 27, v3
	s_or_b32 s0, vcc_lo, s0
	s_delay_alu instid0(SALU_CYCLE_1)
	s_and_not1_b32 exec_lo, exec_lo, s0
	s_cbranch_execnz .LBB149_11
; %bb.12:                               ;   in Loop: Header=BB149_10 Depth=1
	s_or_b32 exec_lo, exec_lo, s0
	v_dual_add_nc_u32 v26, v30, v34 :: v_dual_mov_b32 v46, s9
	v_mov_b32_e32 v27, v33
	s_mov_b32 s27, exec_lo
	s_wait_dscnt 0x0
	s_delay_alu instid0(VALU_DEP_2)
	v_cmpx_lt_i32_e64 v26, v33
	s_cbranch_execz .LBB149_20
; %bb.13:                               ;   in Loop: Header=BB149_10 Depth=1
	v_mul_lo_u32 v3, v47, s11
	v_dual_mov_b32 v46, s9 :: v_dual_ashrrev_i32 v27, 31, v26
	s_mov_b32 s28, 0
	s_delay_alu instid0(VALU_DEP_1)
	v_lshl_add_u64 v[28:29], v[26:27], 2, s[16:17]
	v_lshl_add_u64 v[30:31], v[26:27], 3, s[14:15]
	v_mov_b32_e32 v27, v33
	s_branch .LBB149_15
.LBB149_14:                             ;   in Loop: Header=BB149_15 Depth=2
	s_wait_xcnt 0x0
	s_or_b32 exec_lo, exec_lo, s0
	v_add_nc_u32_e32 v26, 4, v26
	s_xor_b32 s29, vcc_lo, -1
	v_add_nc_u64_e32 v[28:29], 16, v[28:29]
	v_add_nc_u64_e32 v[30:31], 32, v[30:31]
	s_delay_alu instid0(VALU_DEP_3) | instskip(SKIP_1) | instid1(SALU_CYCLE_1)
	v_cmp_ge_i32_e64 s0, v26, v33
	s_or_b32 s0, s29, s0
	s_and_b32 s0, exec_lo, s0
	s_delay_alu instid0(SALU_CYCLE_1) | instskip(NEXT) | instid1(SALU_CYCLE_1)
	s_or_b32 s28, s0, s28
	s_and_not1_b32 exec_lo, exec_lo, s28
	s_cbranch_execz .LBB149_19
.LBB149_15:                             ;   Parent Loop BB149_10 Depth=1
                                        ; =>  This Inner Loop Header: Depth=2
	global_load_b32 v0, v[28:29], off
	s_wait_loadcnt 0x0
	v_subrev_nc_u32_e32 v48, s24, v0
	s_delay_alu instid0(VALU_DEP_1) | instskip(NEXT) | instid1(VALU_DEP_1)
	v_sub_nc_u32_e32 v0, 0, v48
	v_max_i32_e32 v0, v48, v0
	s_delay_alu instid0(VALU_DEP_1) | instskip(NEXT) | instid1(VALU_DEP_1)
	v_mul_u64_e32 v[50:51], s[18:19], v[0:1]
	v_mul_lo_u32 v49, v51, s10
	s_delay_alu instid0(VALU_DEP_1) | instskip(NEXT) | instid1(VALU_DEP_1)
	v_dual_sub_nc_u32 v0, v0, v49 :: v_dual_add_nc_u32 v49, 1, v51
	v_cmp_le_u32_e32 vcc_lo, s10, v0
	s_delay_alu instid0(VALU_DEP_2) | instskip(SKIP_1) | instid1(VALU_DEP_1)
	v_dual_cndmask_b32 v49, v51, v49, vcc_lo :: v_dual_ashrrev_i32 v51, 31, v48
	v_subrev_nc_u32_e32 v50, s10, v0
	v_dual_cndmask_b32 v0, v0, v50, vcc_lo :: v_dual_add_nc_u32 v50, 1, v49
	s_delay_alu instid0(VALU_DEP_1) | instskip(NEXT) | instid1(VALU_DEP_2)
	v_cmp_le_u32_e32 vcc_lo, s10, v0
	v_dual_cndmask_b32 v0, v49, v50, vcc_lo :: v_dual_bitop2_b32 v51, s21, v51 bitop3:0x14
	s_delay_alu instid0(VALU_DEP_1) | instskip(NEXT) | instid1(VALU_DEP_1)
	v_xor_b32_e32 v0, v0, v51
	v_dual_mov_b32 v0, v27 :: v_dual_sub_nc_u32 v49, v0, v51
	s_delay_alu instid0(VALU_DEP_1) | instskip(SKIP_3) | instid1(SALU_CYCLE_1)
	v_cmp_ne_u32_e64 s0, v49, v47
	v_cmp_eq_u32_e32 vcc_lo, v49, v47
	s_wait_xcnt 0x0
	s_and_saveexec_b32 s29, s0
	s_xor_b32 s0, exec_lo, s29
; %bb.16:                               ;   in Loop: Header=BB149_15 Depth=2
	v_min_i32_e32 v46, v49, v46
                                        ; implicit-def: $vgpr48
                                        ; implicit-def: $vgpr0
; %bb.17:                               ;   in Loop: Header=BB149_15 Depth=2
	s_or_saveexec_b32 s0, s0
	v_mov_b32_e32 v27, v26
	s_xor_b32 exec_lo, exec_lo, s0
	s_cbranch_execz .LBB149_14
; %bb.18:                               ;   in Loop: Header=BB149_15 Depth=2
	global_load_b64 v[50:51], v[30:31], off
	v_sub_nc_u32_e32 v27, v48, v3
	s_delay_alu instid0(VALU_DEP_1)
	v_lshl_add_u32 v48, v27, 3, v35
	v_mov_b32_e32 v27, v0
	ds_store_b8 v32, v45 offset:16384
	s_wait_loadcnt 0x0
	ds_store_b64 v48, v[50:51]
	s_branch .LBB149_14
.LBB149_19:                             ;   in Loop: Header=BB149_10 Depth=1
	s_or_b32 exec_lo, exec_lo, s28
.LBB149_20:                             ;   in Loop: Header=BB149_10 Depth=1
	s_delay_alu instid0(SALU_CYCLE_1)
	s_or_b32 exec_lo, exec_lo, s27
	ds_bpermute_b32 v0, v36, v27
	s_wait_dscnt 0x0
	ds_load_u8 v26, v32 offset:16384
	v_min_i32_e32 v0, v0, v27
	ds_bpermute_b32 v3, v37, v0
	s_wait_dscnt 0x0
	v_min_i32_e32 v0, v3, v0
	ds_bpermute_b32 v30, v38, v0
	v_and_b32_e32 v0, 1, v26
	s_delay_alu instid0(VALU_DEP_1)
	v_cmp_eq_u32_e32 vcc_lo, 1, v0
	v_mov_b32_e32 v0, 0
	s_and_saveexec_b32 s0, vcc_lo
	s_cbranch_execz .LBB149_9
; %bb.21:                               ;   in Loop: Header=BB149_10 Depth=1
	v_dual_ashrrev_i32 v3, 31, v2 :: v_dual_add_nc_u32 v0, s25, v47
	s_delay_alu instid0(VALU_DEP_1) | instskip(SKIP_2) | instid1(VALU_DEP_1)
	v_mul_u64_e32 v[26:27], s[22:23], v[2:3]
	global_store_b32 v2, v0, s[12:13] scale_offset
	v_lshlrev_b64_e32 v[26:27], 3, v[26:27]
	v_add_nc_u64_e32 v[28:29], v[6:7], v[26:27]
	v_add_nc_u64_e32 v[26:27], v[8:9], v[26:27]
	s_wait_xcnt 0x0
	s_and_saveexec_b32 s27, s20
	s_cbranch_execz .LBB149_25
; %bb.22:                               ;   in Loop: Header=BB149_10 Depth=1
	s_and_b32 vcc_lo, exec_lo, s8
	s_cbranch_vccz .LBB149_52
; %bb.23:                               ;   in Loop: Header=BB149_10 Depth=1
	ds_load_b64 v[48:49], v39
	v_lshl_add_u64 v[50:51], v[4:5], 3, v[28:29]
	s_wait_dscnt 0x0
	global_store_b64 v[50:51], v[48:49], off
	s_cbranch_execnz .LBB149_25
.LBB149_24:                             ;   in Loop: Header=BB149_10 Depth=1
	s_wait_xcnt 0x0
	ds_load_b64 v[48:49], v39
	s_wait_dscnt 0x0
	global_store_b64 v[26:27], v[48:49], off
.LBB149_25:                             ;   in Loop: Header=BB149_10 Depth=1
	s_wait_xcnt 0x0
	s_or_b32 exec_lo, exec_lo, s27
	s_and_saveexec_b32 s27, s1
	s_cbranch_execz .LBB149_29
; %bb.26:                               ;   in Loop: Header=BB149_10 Depth=1
	s_and_not1_b32 vcc_lo, exec_lo, s8
	s_cbranch_vccnz .LBB149_53
; %bb.27:                               ;   in Loop: Header=BB149_10 Depth=1
	ds_load_b64 v[48:49], v39 offset:32
	v_lshl_add_u64 v[50:51], v[10:11], 3, v[28:29]
	s_wait_dscnt 0x0
	global_store_b64 v[50:51], v[48:49], off
	s_cbranch_execnz .LBB149_29
.LBB149_28:                             ;   in Loop: Header=BB149_10 Depth=1
	s_wait_xcnt 0x0
	ds_load_b64 v[48:49], v39 offset:32
	s_wait_dscnt 0x0
	global_store_b64 v[26:27], v[48:49], off offset:32
.LBB149_29:                             ;   in Loop: Header=BB149_10 Depth=1
	s_wait_xcnt 0x0
	s_or_b32 exec_lo, exec_lo, s27
	s_and_saveexec_b32 s27, s2
	s_cbranch_execz .LBB149_33
; %bb.30:                               ;   in Loop: Header=BB149_10 Depth=1
	s_and_not1_b32 vcc_lo, exec_lo, s8
	s_cbranch_vccnz .LBB149_54
; %bb.31:                               ;   in Loop: Header=BB149_10 Depth=1
	ds_load_b64 v[48:49], v39 offset:64
	v_lshl_add_u64 v[50:51], v[12:13], 3, v[28:29]
	s_wait_dscnt 0x0
	global_store_b64 v[50:51], v[48:49], off
	s_cbranch_execnz .LBB149_33
.LBB149_32:                             ;   in Loop: Header=BB149_10 Depth=1
	s_wait_xcnt 0x0
	ds_load_b64 v[48:49], v39 offset:64
	s_wait_dscnt 0x0
	global_store_b64 v[26:27], v[48:49], off offset:64
.LBB149_33:                             ;   in Loop: Header=BB149_10 Depth=1
	s_wait_xcnt 0x0
	s_or_b32 exec_lo, exec_lo, s27
	s_and_saveexec_b32 s27, s3
	s_cbranch_execz .LBB149_37
; %bb.34:                               ;   in Loop: Header=BB149_10 Depth=1
	s_and_not1_b32 vcc_lo, exec_lo, s8
	s_cbranch_vccnz .LBB149_55
; %bb.35:                               ;   in Loop: Header=BB149_10 Depth=1
	ds_load_b64 v[48:49], v39 offset:96
	v_lshl_add_u64 v[50:51], v[14:15], 3, v[28:29]
	s_wait_dscnt 0x0
	global_store_b64 v[50:51], v[48:49], off
	s_cbranch_execnz .LBB149_37
.LBB149_36:                             ;   in Loop: Header=BB149_10 Depth=1
	s_wait_xcnt 0x0
	ds_load_b64 v[48:49], v39 offset:96
	s_wait_dscnt 0x0
	global_store_b64 v[26:27], v[48:49], off offset:96
.LBB149_37:                             ;   in Loop: Header=BB149_10 Depth=1
	s_wait_xcnt 0x0
	s_or_b32 exec_lo, exec_lo, s27
	s_and_saveexec_b32 s27, s4
	s_cbranch_execz .LBB149_41
; %bb.38:                               ;   in Loop: Header=BB149_10 Depth=1
	s_and_not1_b32 vcc_lo, exec_lo, s8
	s_cbranch_vccnz .LBB149_56
; %bb.39:                               ;   in Loop: Header=BB149_10 Depth=1
	ds_load_b64 v[48:49], v39 offset:128
	v_lshl_add_u64 v[50:51], v[16:17], 3, v[28:29]
	s_wait_dscnt 0x0
	global_store_b64 v[50:51], v[48:49], off
	s_cbranch_execnz .LBB149_41
.LBB149_40:                             ;   in Loop: Header=BB149_10 Depth=1
	s_wait_xcnt 0x0
	ds_load_b64 v[48:49], v39 offset:128
	s_wait_dscnt 0x0
	global_store_b64 v[26:27], v[48:49], off offset:128
.LBB149_41:                             ;   in Loop: Header=BB149_10 Depth=1
	s_wait_xcnt 0x0
	s_or_b32 exec_lo, exec_lo, s27
	s_and_saveexec_b32 s27, s5
	s_cbranch_execz .LBB149_45
; %bb.42:                               ;   in Loop: Header=BB149_10 Depth=1
	s_and_not1_b32 vcc_lo, exec_lo, s8
	s_cbranch_vccnz .LBB149_57
; %bb.43:                               ;   in Loop: Header=BB149_10 Depth=1
	ds_load_b64 v[48:49], v39 offset:160
	v_lshl_add_u64 v[50:51], v[18:19], 3, v[28:29]
	s_wait_dscnt 0x0
	global_store_b64 v[50:51], v[48:49], off
	s_cbranch_execnz .LBB149_45
.LBB149_44:                             ;   in Loop: Header=BB149_10 Depth=1
	s_wait_xcnt 0x0
	ds_load_b64 v[48:49], v39 offset:160
	s_wait_dscnt 0x0
	global_store_b64 v[26:27], v[48:49], off offset:160
.LBB149_45:                             ;   in Loop: Header=BB149_10 Depth=1
	s_wait_xcnt 0x0
	s_or_b32 exec_lo, exec_lo, s27
	s_and_saveexec_b32 s27, s6
	s_cbranch_execz .LBB149_49
; %bb.46:                               ;   in Loop: Header=BB149_10 Depth=1
	s_and_not1_b32 vcc_lo, exec_lo, s8
	s_cbranch_vccnz .LBB149_58
; %bb.47:                               ;   in Loop: Header=BB149_10 Depth=1
	ds_load_b64 v[48:49], v39 offset:192
	v_lshl_add_u64 v[50:51], v[20:21], 3, v[28:29]
	s_wait_dscnt 0x0
	global_store_b64 v[50:51], v[48:49], off
	s_cbranch_execnz .LBB149_49
.LBB149_48:                             ;   in Loop: Header=BB149_10 Depth=1
	s_wait_xcnt 0x0
	ds_load_b64 v[48:49], v39 offset:192
	s_wait_dscnt 0x0
	global_store_b64 v[26:27], v[48:49], off offset:192
.LBB149_49:                             ;   in Loop: Header=BB149_10 Depth=1
	s_wait_xcnt 0x0
	s_or_b32 exec_lo, exec_lo, s27
	s_and_saveexec_b32 s27, s7
	s_cbranch_execz .LBB149_8
; %bb.50:                               ;   in Loop: Header=BB149_10 Depth=1
	s_and_not1_b32 vcc_lo, exec_lo, s8
	s_cbranch_vccnz .LBB149_59
; %bb.51:                               ;   in Loop: Header=BB149_10 Depth=1
	ds_load_b64 v[48:49], v39 offset:224
	v_lshl_add_u64 v[28:29], v[22:23], 3, v[28:29]
	s_wait_dscnt 0x0
	global_store_b64 v[28:29], v[48:49], off
	s_cbranch_execnz .LBB149_8
	s_branch .LBB149_60
.LBB149_52:                             ;   in Loop: Header=BB149_10 Depth=1
	s_branch .LBB149_24
.LBB149_53:                             ;   in Loop: Header=BB149_10 Depth=1
	s_branch .LBB149_28
.LBB149_54:                             ;   in Loop: Header=BB149_10 Depth=1
	s_branch .LBB149_32
.LBB149_55:                             ;   in Loop: Header=BB149_10 Depth=1
	s_branch .LBB149_36
.LBB149_56:                             ;   in Loop: Header=BB149_10 Depth=1
	s_branch .LBB149_40
.LBB149_57:                             ;   in Loop: Header=BB149_10 Depth=1
	s_branch .LBB149_44
.LBB149_58:                             ;   in Loop: Header=BB149_10 Depth=1
	s_branch .LBB149_48
.LBB149_59:                             ;   in Loop: Header=BB149_10 Depth=1
.LBB149_60:                             ;   in Loop: Header=BB149_10 Depth=1
	s_wait_xcnt 0x0
	ds_load_b64 v[28:29], v39 offset:224
	s_wait_dscnt 0x0
	global_store_b64 v[26:27], v[28:29], off offset:224
	s_branch .LBB149_8
.LBB149_61:
	s_endpgm
	.section	.rodata,"a",@progbits
	.p2align	6, 0x0
	.amdhsa_kernel _ZN9rocsparseL44csr2gebsr_wavefront_per_row_multipass_kernelILi256ELi8ELi32ELi32E21rocsparse_complex_numIfEEEv20rocsparse_direction_iiiiii21rocsparse_index_base_PKT3_PKiS9_S4_PS5_PiSB_
		.amdhsa_group_segment_fixed_size 16392
		.amdhsa_private_segment_fixed_size 0
		.amdhsa_kernarg_size 88
		.amdhsa_user_sgpr_count 2
		.amdhsa_user_sgpr_dispatch_ptr 0
		.amdhsa_user_sgpr_queue_ptr 0
		.amdhsa_user_sgpr_kernarg_segment_ptr 1
		.amdhsa_user_sgpr_dispatch_id 0
		.amdhsa_user_sgpr_kernarg_preload_length 0
		.amdhsa_user_sgpr_kernarg_preload_offset 0
		.amdhsa_user_sgpr_private_segment_size 0
		.amdhsa_wavefront_size32 1
		.amdhsa_uses_dynamic_stack 0
		.amdhsa_enable_private_segment 0
		.amdhsa_system_sgpr_workgroup_id_x 1
		.amdhsa_system_sgpr_workgroup_id_y 0
		.amdhsa_system_sgpr_workgroup_id_z 0
		.amdhsa_system_sgpr_workgroup_info 0
		.amdhsa_system_vgpr_workitem_id 0
		.amdhsa_next_free_vgpr 52
		.amdhsa_next_free_sgpr 30
		.amdhsa_named_barrier_count 0
		.amdhsa_reserve_vcc 1
		.amdhsa_float_round_mode_32 0
		.amdhsa_float_round_mode_16_64 0
		.amdhsa_float_denorm_mode_32 3
		.amdhsa_float_denorm_mode_16_64 3
		.amdhsa_fp16_overflow 0
		.amdhsa_memory_ordered 1
		.amdhsa_forward_progress 1
		.amdhsa_inst_pref_size 19
		.amdhsa_round_robin_scheduling 0
		.amdhsa_exception_fp_ieee_invalid_op 0
		.amdhsa_exception_fp_denorm_src 0
		.amdhsa_exception_fp_ieee_div_zero 0
		.amdhsa_exception_fp_ieee_overflow 0
		.amdhsa_exception_fp_ieee_underflow 0
		.amdhsa_exception_fp_ieee_inexact 0
		.amdhsa_exception_int_div_zero 0
	.end_amdhsa_kernel
	.section	.text._ZN9rocsparseL44csr2gebsr_wavefront_per_row_multipass_kernelILi256ELi8ELi32ELi32E21rocsparse_complex_numIfEEEv20rocsparse_direction_iiiiii21rocsparse_index_base_PKT3_PKiS9_S4_PS5_PiSB_,"axG",@progbits,_ZN9rocsparseL44csr2gebsr_wavefront_per_row_multipass_kernelILi256ELi8ELi32ELi32E21rocsparse_complex_numIfEEEv20rocsparse_direction_iiiiii21rocsparse_index_base_PKT3_PKiS9_S4_PS5_PiSB_,comdat
.Lfunc_end149:
	.size	_ZN9rocsparseL44csr2gebsr_wavefront_per_row_multipass_kernelILi256ELi8ELi32ELi32E21rocsparse_complex_numIfEEEv20rocsparse_direction_iiiiii21rocsparse_index_base_PKT3_PKiS9_S4_PS5_PiSB_, .Lfunc_end149-_ZN9rocsparseL44csr2gebsr_wavefront_per_row_multipass_kernelILi256ELi8ELi32ELi32E21rocsparse_complex_numIfEEEv20rocsparse_direction_iiiiii21rocsparse_index_base_PKT3_PKiS9_S4_PS5_PiSB_
                                        ; -- End function
	.set _ZN9rocsparseL44csr2gebsr_wavefront_per_row_multipass_kernelILi256ELi8ELi32ELi32E21rocsparse_complex_numIfEEEv20rocsparse_direction_iiiiii21rocsparse_index_base_PKT3_PKiS9_S4_PS5_PiSB_.num_vgpr, 52
	.set _ZN9rocsparseL44csr2gebsr_wavefront_per_row_multipass_kernelILi256ELi8ELi32ELi32E21rocsparse_complex_numIfEEEv20rocsparse_direction_iiiiii21rocsparse_index_base_PKT3_PKiS9_S4_PS5_PiSB_.num_agpr, 0
	.set _ZN9rocsparseL44csr2gebsr_wavefront_per_row_multipass_kernelILi256ELi8ELi32ELi32E21rocsparse_complex_numIfEEEv20rocsparse_direction_iiiiii21rocsparse_index_base_PKT3_PKiS9_S4_PS5_PiSB_.numbered_sgpr, 30
	.set _ZN9rocsparseL44csr2gebsr_wavefront_per_row_multipass_kernelILi256ELi8ELi32ELi32E21rocsparse_complex_numIfEEEv20rocsparse_direction_iiiiii21rocsparse_index_base_PKT3_PKiS9_S4_PS5_PiSB_.num_named_barrier, 0
	.set _ZN9rocsparseL44csr2gebsr_wavefront_per_row_multipass_kernelILi256ELi8ELi32ELi32E21rocsparse_complex_numIfEEEv20rocsparse_direction_iiiiii21rocsparse_index_base_PKT3_PKiS9_S4_PS5_PiSB_.private_seg_size, 0
	.set _ZN9rocsparseL44csr2gebsr_wavefront_per_row_multipass_kernelILi256ELi8ELi32ELi32E21rocsparse_complex_numIfEEEv20rocsparse_direction_iiiiii21rocsparse_index_base_PKT3_PKiS9_S4_PS5_PiSB_.uses_vcc, 1
	.set _ZN9rocsparseL44csr2gebsr_wavefront_per_row_multipass_kernelILi256ELi8ELi32ELi32E21rocsparse_complex_numIfEEEv20rocsparse_direction_iiiiii21rocsparse_index_base_PKT3_PKiS9_S4_PS5_PiSB_.uses_flat_scratch, 0
	.set _ZN9rocsparseL44csr2gebsr_wavefront_per_row_multipass_kernelILi256ELi8ELi32ELi32E21rocsparse_complex_numIfEEEv20rocsparse_direction_iiiiii21rocsparse_index_base_PKT3_PKiS9_S4_PS5_PiSB_.has_dyn_sized_stack, 0
	.set _ZN9rocsparseL44csr2gebsr_wavefront_per_row_multipass_kernelILi256ELi8ELi32ELi32E21rocsparse_complex_numIfEEEv20rocsparse_direction_iiiiii21rocsparse_index_base_PKT3_PKiS9_S4_PS5_PiSB_.has_recursion, 0
	.set _ZN9rocsparseL44csr2gebsr_wavefront_per_row_multipass_kernelILi256ELi8ELi32ELi32E21rocsparse_complex_numIfEEEv20rocsparse_direction_iiiiii21rocsparse_index_base_PKT3_PKiS9_S4_PS5_PiSB_.has_indirect_call, 0
	.section	.AMDGPU.csdata,"",@progbits
; Kernel info:
; codeLenInByte = 2328
; TotalNumSgprs: 32
; NumVgprs: 52
; ScratchSize: 0
; MemoryBound: 0
; FloatMode: 240
; IeeeMode: 1
; LDSByteSize: 16392 bytes/workgroup (compile time only)
; SGPRBlocks: 0
; VGPRBlocks: 3
; NumSGPRsForWavesPerEU: 32
; NumVGPRsForWavesPerEU: 52
; NamedBarCnt: 0
; Occupancy: 16
; WaveLimiterHint : 0
; COMPUTE_PGM_RSRC2:SCRATCH_EN: 0
; COMPUTE_PGM_RSRC2:USER_SGPR: 2
; COMPUTE_PGM_RSRC2:TRAP_HANDLER: 0
; COMPUTE_PGM_RSRC2:TGID_X_EN: 1
; COMPUTE_PGM_RSRC2:TGID_Y_EN: 0
; COMPUTE_PGM_RSRC2:TGID_Z_EN: 0
; COMPUTE_PGM_RSRC2:TIDIG_COMP_CNT: 0
	.section	.text._ZN9rocsparseL44csr2gebsr_wavefront_per_row_multipass_kernelILi256ELi8ELi64ELi64E21rocsparse_complex_numIfEEEv20rocsparse_direction_iiiiii21rocsparse_index_base_PKT3_PKiS9_S4_PS5_PiSB_,"axG",@progbits,_ZN9rocsparseL44csr2gebsr_wavefront_per_row_multipass_kernelILi256ELi8ELi64ELi64E21rocsparse_complex_numIfEEEv20rocsparse_direction_iiiiii21rocsparse_index_base_PKT3_PKiS9_S4_PS5_PiSB_,comdat
	.globl	_ZN9rocsparseL44csr2gebsr_wavefront_per_row_multipass_kernelILi256ELi8ELi64ELi64E21rocsparse_complex_numIfEEEv20rocsparse_direction_iiiiii21rocsparse_index_base_PKT3_PKiS9_S4_PS5_PiSB_ ; -- Begin function _ZN9rocsparseL44csr2gebsr_wavefront_per_row_multipass_kernelILi256ELi8ELi64ELi64E21rocsparse_complex_numIfEEEv20rocsparse_direction_iiiiii21rocsparse_index_base_PKT3_PKiS9_S4_PS5_PiSB_
	.p2align	8
	.type	_ZN9rocsparseL44csr2gebsr_wavefront_per_row_multipass_kernelILi256ELi8ELi64ELi64E21rocsparse_complex_numIfEEEv20rocsparse_direction_iiiiii21rocsparse_index_base_PKT3_PKiS9_S4_PS5_PiSB_,@function
_ZN9rocsparseL44csr2gebsr_wavefront_per_row_multipass_kernelILi256ELi8ELi64ELi64E21rocsparse_complex_numIfEEEv20rocsparse_direction_iiiiii21rocsparse_index_base_PKT3_PKiS9_S4_PS5_PiSB_: ; @_ZN9rocsparseL44csr2gebsr_wavefront_per_row_multipass_kernelILi256ELi8ELi64ELi64E21rocsparse_complex_numIfEEEv20rocsparse_direction_iiiiii21rocsparse_index_base_PKT3_PKiS9_S4_PS5_PiSB_
; %bb.0:
	s_clause 0x1
	s_load_b128 s[8:11], s[0:1], 0xc
	s_load_b64 s[4:5], s[0:1], 0x0
	s_bfe_u32 s2, ttmp6, 0x4000c
	s_and_b32 s3, ttmp6, 15
	s_add_co_i32 s2, s2, 1
	s_getreg_b32 s6, hwreg(HW_REG_IB_STS2, 6, 4)
	s_mul_i32 s2, ttmp9, s2
	v_dual_lshrrev_b32 v32, 6, v0 :: v_dual_mov_b32 v2, 0
	s_add_co_i32 s3, s3, s2
	s_cmp_eq_u32 s6, 0
	v_bfe_u32 v3, v0, 3, 3
	s_cselect_b32 s2, ttmp9, s3
	s_clause 0x1
	s_load_b32 s24, s[0:1], 0x1c
	s_load_b64 s[6:7], s[0:1], 0x28
	v_lshl_or_b32 v1, s2, 2, v32
	v_mov_b32_e32 v30, 0
	s_wait_kmcnt 0x0
	s_delay_alu instid0(VALU_DEP_2) | instskip(SKIP_1) | instid1(VALU_DEP_2)
	v_mad_u32 v4, v1, s10, v3
	v_cmp_gt_i32_e32 vcc_lo, s10, v3
	v_cmp_gt_i32_e64 s2, s5, v4
	s_and_b32 s2, vcc_lo, s2
	s_delay_alu instid0(SALU_CYCLE_1)
	s_and_saveexec_b32 s3, s2
	s_cbranch_execz .LBB150_2
; %bb.1:
	global_load_b32 v5, v4, s[6:7] scale_offset
	s_wait_loadcnt 0x0
	v_subrev_nc_u32_e32 v30, s24, v5
.LBB150_2:
	s_or_b32 exec_lo, exec_lo, s3
	v_mov_b32_e32 v33, 0
	s_and_saveexec_b32 s3, s2
	s_cbranch_execz .LBB150_4
; %bb.3:
	global_load_b32 v4, v4, s[6:7] offset:4 scale_offset
	s_wait_loadcnt 0x0
	v_subrev_nc_u32_e32 v33, s24, v4
.LBB150_4:
	s_or_b32 exec_lo, exec_lo, s3
	s_load_b32 s25, s[0:1], 0x38
	s_mov_b32 s3, exec_lo
	v_cmpx_gt_i32_e64 s8, v1
	s_cbranch_execz .LBB150_6
; %bb.5:
	s_load_b64 s[6:7], s[0:1], 0x48
	s_wait_kmcnt 0x0
	global_load_b32 v1, v1, s[6:7] scale_offset
	s_wait_loadcnt 0x0
	v_subrev_nc_u32_e32 v2, s25, v1
.LBB150_6:
	s_or_b32 exec_lo, exec_lo, s3
	s_cmp_lt_i32 s9, 1
	s_cbranch_scc1 .LBB150_61
; %bb.7:
	v_dual_lshlrev_b32 v1, 9, v3 :: v_dual_bitop2_b32 v34, 7, v0 bitop3:0x40
	v_mbcnt_lo_u32_b32 v6, -1, 0
	s_clause 0x3
	s_load_b64 s[12:13], s[0:1], 0x50
	s_load_b64 s[2:3], s[0:1], 0x40
	s_load_b64 s[14:15], s[0:1], 0x20
	s_load_b64 s[16:17], s[0:1], 0x30
	s_cmp_lg_u32 s4, 0
	v_lshl_or_b32 v35, v32, 12, v1
	s_mov_b32 s19, 0
	v_xor_b32_e32 v1, 2, v6
	v_xor_b32_e32 v0, 4, v6
	s_cselect_b32 s8, -1, 0
	s_mov_b32 s18, s10
	s_ashr_i32 s21, s11, 31
	s_mov_b32 s20, s11
	s_wait_xcnt 0x0
	v_cmp_gt_i32_e64 s0, 32, v0
	s_mul_u64 s[22:23], s[20:21], s[18:19]
	s_lshl_b32 s18, s10, 3
	v_lshl_or_b32 v39, v6, 2, 28
	v_mov_b64_e32 v[24:25], 0
	v_dual_cndmask_b32 v0, v6, v0, s0 :: v_dual_bitop2_b32 v4, 1, v6 bitop3:0x14
	v_cmp_gt_i32_e64 s0, 32, v1
	v_bfrev_b32_e32 v44, 0.5
	v_dual_mov_b32 v46, 1 :: v_dual_bitop2_b32 v45, -8, v34 bitop3:0x54
	s_delay_alu instid0(VALU_DEP_3) | instskip(SKIP_2) | instid1(VALU_DEP_2)
	v_dual_lshlrev_b32 v36, 2, v0 :: v_dual_cndmask_b32 v1, v6, v1, s0
	v_cmp_gt_i32_e64 s0, 32, v4
	v_dual_mov_b32 v48, 0 :: v_dual_lshlrev_b32 v0, 3, v3
	v_dual_lshlrev_b32 v37, 2, v1 :: v_dual_cndmask_b32 v5, v6, v4, s0
	v_mul_lo_u32 v4, s11, v3
	v_dual_mov_b32 v1, 0 :: v_dual_lshlrev_b32 v8, 3, v34
	s_delay_alu instid0(VALU_DEP_3) | instskip(NEXT) | instid1(VALU_DEP_2)
	v_dual_lshlrev_b32 v38, 2, v5 :: v_dual_bitop2_b32 v3, 32, v6 bitop3:0x54
	v_dual_mov_b32 v9, v1 :: v_dual_bitop2_b32 v40, v35, v8 bitop3:0x54
	v_mov_b32_e32 v19, v1
	s_delay_alu instid0(VALU_DEP_3) | instskip(SKIP_2) | instid1(VALU_DEP_3)
	v_cmp_gt_i32_e64 s0, 32, v3
	v_dual_mov_b32 v13, v1 :: v_dual_ashrrev_i32 v5, 31, v4
	v_dual_mov_b32 v17, v1 :: v_dual_mov_b32 v21, v1
	v_dual_cndmask_b32 v3, v6, v3, s0 :: v_dual_mov_b32 v23, v1
	s_wait_kmcnt 0x0
	s_delay_alu instid0(VALU_DEP_3) | instskip(NEXT) | instid1(VALU_DEP_2)
	v_lshl_add_u64 v[10:11], v[4:5], 3, s[2:3]
	v_dual_lshlrev_b32 v41, 2, v3 :: v_dual_bitop2_b32 v4, 16, v6 bitop3:0x14
	v_or_b32_e32 v3, 16, v34
	s_delay_alu instid0(VALU_DEP_3) | instskip(NEXT) | instid1(VALU_DEP_3)
	v_add_nc_u64_e32 v[8:9], v[10:11], v[8:9]
	v_cmp_gt_i32_e64 s0, 32, v4
	v_dual_mov_b32 v11, v1 :: v_dual_bitop2_b32 v5, 8, v6 bitop3:0x14
	s_delay_alu instid0(VALU_DEP_2) | instskip(SKIP_1) | instid1(VALU_DEP_3)
	v_cndmask_b32_e64 v12, v6, v4, s0
	v_mul_lo_u32 v4, v34, s10
	v_cmp_gt_i32_e64 s0, 32, v5
	s_abs_i32 s10, s11
	s_delay_alu instid0(SALU_CYCLE_1) | instskip(SKIP_4) | instid1(VALU_DEP_3)
	s_cvt_f32_u32 s5, s10
	v_cndmask_b32_e64 v5, v6, v5, s0
	v_add_nc_u64_e32 v[6:7], s[2:3], v[0:1]
	v_dual_lshlrev_b32 v42, 2, v12 :: v_dual_bitop2_b32 v0, 8, v34 bitop3:0x54
	v_rcp_iflag_f32_e32 v22, s5
	v_dual_add_nc_u32 v10, s18, v4 :: v_dual_lshlrev_b32 v43, 2, v5
	s_delay_alu instid0(VALU_DEP_2) | instskip(SKIP_2) | instid1(VALU_DEP_4)
	v_cmp_gt_u32_e64 s1, s11, v0
	v_mov_b32_e32 v5, v1
	v_cmp_gt_u32_e64 s0, s11, v34
	v_add_nc_u32_e32 v12, s18, v10
	v_or_b32_e32 v0, 24, v34
	v_readfirstlane_b32 s26, v22
	v_cmp_gt_u32_e64 s2, s11, v3
	s_delay_alu instid0(VALU_DEP_4)
	v_dual_add_nc_u32 v14, s18, v12 :: v_dual_bitop2_b32 v3, 32, v34 bitop3:0x54
	v_mov_b32_e32 v15, v1
	v_cmp_gt_u32_e64 s3, s11, v0
	v_or_b32_e32 v0, 40, v34
	s_and_b32 s20, s0, vcc_lo
	v_add_nc_u32_e32 v16, s18, v14
	s_mul_f32 s0, s26, 0x4f7ffffe
	v_cmp_gt_u32_e64 s4, s11, v3
	v_or_b32_e32 v3, 48, v34
	v_cmp_gt_u32_e64 s5, s11, v0
	v_dual_add_nc_u32 v18, s18, v16 :: v_dual_bitop2_b32 v0, 56, v34 bitop3:0x54
	s_cvt_u32_f32 s0, s0
	v_cmp_gt_u32_e64 s6, s11, v3
	s_and_b32 s1, vcc_lo, s1
	v_add_nc_u32_e32 v20, s18, v18
	v_cmp_gt_u32_e64 s7, s11, v0
	s_and_b32 s2, vcc_lo, s2
	s_and_b32 s3, vcc_lo, s3
	;; [unrolled: 1-line block ×3, first 2 shown]
	v_add_nc_u32_e32 v22, s18, v20
	s_sub_co_i32 s18, 0, s10
	s_and_b32 s5, vcc_lo, s5
	s_mul_i32 s18, s18, s0
	s_and_b32 s6, vcc_lo, s6
	s_mul_hi_u32 s18, s0, s18
	s_and_b32 s7, vcc_lo, s7
	s_add_co_i32 s18, s0, s18
	s_mov_b32 s26, s19
	s_branch .LBB150_10
.LBB150_8:                              ;   in Loop: Header=BB150_10 Depth=1
	s_wait_xcnt 0x0
	s_or_b32 exec_lo, exec_lo, s27
	v_mov_b32_e32 v0, 1
.LBB150_9:                              ;   in Loop: Header=BB150_10 Depth=1
	s_or_b32 exec_lo, exec_lo, s0
	ds_bpermute_b32 v3, v41, v47
	s_wait_storecnt_dscnt 0x0
	v_dual_add_nc_u32 v2, v0, v2 :: v_dual_min_i32 v3, v3, v47
	ds_bpermute_b32 v26, v42, v3
	s_wait_dscnt 0x0
	v_min_i32_e32 v3, v26, v3
	ds_bpermute_b32 v26, v43, v3
	s_wait_dscnt 0x0
	v_min_i32_e32 v3, v26, v3
	;; [unrolled: 3-line block ×5, first 2 shown]
	ds_bpermute_b32 v48, v44, v3
	s_wait_dscnt 0x0
	v_cmp_le_i32_e32 vcc_lo, s9, v48
	s_or_b32 s26, vcc_lo, s26
	s_delay_alu instid0(SALU_CYCLE_1)
	s_and_not1_b32 exec_lo, exec_lo, s26
	s_cbranch_execz .LBB150_61
.LBB150_10:                             ; =>This Loop Header: Depth=1
                                        ;     Child Loop BB150_11 Depth 2
                                        ;     Child Loop BB150_15 Depth 2
	v_dual_mov_b32 v0, v40 :: v_dual_mov_b32 v3, v45
	s_mov_b32 s0, 0
	ds_store_b8 v32, v1 offset:16384
.LBB150_11:                             ;   Parent Loop BB150_10 Depth=1
                                        ; =>  This Inner Loop Header: Depth=2
	v_add_nc_u32_e32 v3, 8, v3
	ds_store_b64 v0, v[24:25]
	v_add_nc_u32_e32 v0, 64, v0
	v_cmp_lt_u32_e32 vcc_lo, 55, v3
	s_or_b32 s0, vcc_lo, s0
	s_delay_alu instid0(SALU_CYCLE_1)
	s_and_not1_b32 exec_lo, exec_lo, s0
	s_cbranch_execnz .LBB150_11
; %bb.12:                               ;   in Loop: Header=BB150_10 Depth=1
	s_or_b32 exec_lo, exec_lo, s0
	v_dual_mov_b32 v47, s9 :: v_dual_add_nc_u32 v26, v30, v34
	v_mov_b32_e32 v27, v33
	s_mov_b32 s27, exec_lo
	s_wait_dscnt 0x0
	s_delay_alu instid0(VALU_DEP_2)
	v_cmpx_lt_i32_e64 v26, v33
	s_cbranch_execz .LBB150_20
; %bb.13:                               ;   in Loop: Header=BB150_10 Depth=1
	v_mul_lo_u32 v3, v48, s11
	v_dual_ashrrev_i32 v27, 31, v26 :: v_dual_mov_b32 v47, s9
	s_mov_b32 s28, 0
	s_delay_alu instid0(VALU_DEP_1)
	v_lshl_add_u64 v[28:29], v[26:27], 2, s[16:17]
	v_lshl_add_u64 v[30:31], v[26:27], 3, s[14:15]
	v_mov_b32_e32 v27, v33
	s_branch .LBB150_15
.LBB150_14:                             ;   in Loop: Header=BB150_15 Depth=2
	s_wait_xcnt 0x0
	s_or_b32 exec_lo, exec_lo, s0
	v_add_nc_u32_e32 v26, 8, v26
	s_xor_b32 s29, vcc_lo, -1
	v_add_nc_u64_e32 v[28:29], 32, v[28:29]
	v_add_nc_u64_e32 v[30:31], 64, v[30:31]
	s_delay_alu instid0(VALU_DEP_3) | instskip(SKIP_1) | instid1(SALU_CYCLE_1)
	v_cmp_ge_i32_e64 s0, v26, v33
	s_or_b32 s0, s29, s0
	s_and_b32 s0, exec_lo, s0
	s_delay_alu instid0(SALU_CYCLE_1) | instskip(NEXT) | instid1(SALU_CYCLE_1)
	s_or_b32 s28, s0, s28
	s_and_not1_b32 exec_lo, exec_lo, s28
	s_cbranch_execz .LBB150_19
.LBB150_15:                             ;   Parent Loop BB150_10 Depth=1
                                        ; =>  This Inner Loop Header: Depth=2
	global_load_b32 v0, v[28:29], off
	s_wait_loadcnt 0x0
	v_subrev_nc_u32_e32 v49, s24, v0
	s_delay_alu instid0(VALU_DEP_1) | instskip(NEXT) | instid1(VALU_DEP_1)
	v_sub_nc_u32_e32 v0, 0, v49
	v_max_i32_e32 v0, v49, v0
	s_delay_alu instid0(VALU_DEP_1) | instskip(NEXT) | instid1(VALU_DEP_1)
	v_mul_u64_e32 v[50:51], s[18:19], v[0:1]
	v_mul_lo_u32 v50, v51, s10
	s_delay_alu instid0(VALU_DEP_1) | instskip(NEXT) | instid1(VALU_DEP_1)
	v_dual_sub_nc_u32 v0, v0, v50 :: v_dual_add_nc_u32 v50, 1, v51
	v_cmp_le_u32_e32 vcc_lo, s10, v0
	s_delay_alu instid0(VALU_DEP_2) | instskip(SKIP_1) | instid1(VALU_DEP_1)
	v_dual_cndmask_b32 v50, v51, v50 :: v_dual_ashrrev_i32 v51, 31, v49
	v_subrev_nc_u32_e32 v52, s10, v0
	v_dual_cndmask_b32 v0, v0, v52, vcc_lo :: v_dual_add_nc_u32 v52, 1, v50
	s_delay_alu instid0(VALU_DEP_1) | instskip(NEXT) | instid1(VALU_DEP_2)
	v_cmp_le_u32_e32 vcc_lo, s10, v0
	v_dual_cndmask_b32 v0, v50, v52, vcc_lo :: v_dual_bitop2_b32 v51, s21, v51 bitop3:0x14
	s_delay_alu instid0(VALU_DEP_1) | instskip(NEXT) | instid1(VALU_DEP_1)
	v_xor_b32_e32 v0, v0, v51
	v_dual_sub_nc_u32 v50, v0, v51 :: v_dual_mov_b32 v0, v27
	s_delay_alu instid0(VALU_DEP_1) | instskip(SKIP_3) | instid1(SALU_CYCLE_1)
	v_cmp_ne_u32_e64 s0, v50, v48
	v_cmp_eq_u32_e32 vcc_lo, v50, v48
	s_wait_xcnt 0x0
	s_and_saveexec_b32 s29, s0
	s_xor_b32 s0, exec_lo, s29
; %bb.16:                               ;   in Loop: Header=BB150_15 Depth=2
	v_min_i32_e32 v47, v50, v47
                                        ; implicit-def: $vgpr49
                                        ; implicit-def: $vgpr0
; %bb.17:                               ;   in Loop: Header=BB150_15 Depth=2
	s_or_saveexec_b32 s0, s0
	v_mov_b32_e32 v27, v26
	s_xor_b32 exec_lo, exec_lo, s0
	s_cbranch_execz .LBB150_14
; %bb.18:                               ;   in Loop: Header=BB150_15 Depth=2
	global_load_b64 v[50:51], v[30:31], off
	v_sub_nc_u32_e32 v27, v49, v3
	s_delay_alu instid0(VALU_DEP_1)
	v_lshl_add_u32 v49, v27, 3, v35
	v_mov_b32_e32 v27, v0
	ds_store_b8 v32, v46 offset:16384
	s_wait_loadcnt 0x0
	ds_store_b64 v49, v[50:51]
	s_branch .LBB150_14
.LBB150_19:                             ;   in Loop: Header=BB150_10 Depth=1
	s_or_b32 exec_lo, exec_lo, s28
.LBB150_20:                             ;   in Loop: Header=BB150_10 Depth=1
	s_delay_alu instid0(SALU_CYCLE_1)
	s_or_b32 exec_lo, exec_lo, s27
	ds_bpermute_b32 v0, v36, v27
	s_wait_dscnt 0x0
	ds_load_u8 v26, v32 offset:16384
	v_min_i32_e32 v0, v0, v27
	ds_bpermute_b32 v3, v37, v0
	s_wait_dscnt 0x0
	v_min_i32_e32 v0, v3, v0
	ds_bpermute_b32 v3, v38, v0
	s_wait_dscnt 0x0
	v_min_i32_e32 v0, v3, v0
	ds_bpermute_b32 v30, v39, v0
	v_and_b32_e32 v0, 1, v26
	s_delay_alu instid0(VALU_DEP_1)
	v_cmp_eq_u32_e32 vcc_lo, 1, v0
	v_mov_b32_e32 v0, 0
	s_and_saveexec_b32 s0, vcc_lo
	s_cbranch_execz .LBB150_9
; %bb.21:                               ;   in Loop: Header=BB150_10 Depth=1
	v_dual_ashrrev_i32 v3, 31, v2 :: v_dual_add_nc_u32 v0, s25, v48
	s_delay_alu instid0(VALU_DEP_1) | instskip(SKIP_2) | instid1(VALU_DEP_1)
	v_mul_u64_e32 v[26:27], s[22:23], v[2:3]
	global_store_b32 v2, v0, s[12:13] scale_offset
	v_lshlrev_b64_e32 v[26:27], 3, v[26:27]
	v_add_nc_u64_e32 v[28:29], v[6:7], v[26:27]
	v_add_nc_u64_e32 v[26:27], v[8:9], v[26:27]
	s_wait_xcnt 0x0
	s_and_saveexec_b32 s27, s20
	s_cbranch_execz .LBB150_25
; %bb.22:                               ;   in Loop: Header=BB150_10 Depth=1
	s_and_b32 vcc_lo, exec_lo, s8
	s_cbranch_vccz .LBB150_52
; %bb.23:                               ;   in Loop: Header=BB150_10 Depth=1
	ds_load_b64 v[48:49], v40
	v_lshl_add_u64 v[50:51], v[4:5], 3, v[28:29]
	s_wait_dscnt 0x0
	global_store_b64 v[50:51], v[48:49], off
	s_cbranch_execnz .LBB150_25
.LBB150_24:                             ;   in Loop: Header=BB150_10 Depth=1
	s_wait_xcnt 0x0
	ds_load_b64 v[48:49], v40
	s_wait_dscnt 0x0
	global_store_b64 v[26:27], v[48:49], off
.LBB150_25:                             ;   in Loop: Header=BB150_10 Depth=1
	s_wait_xcnt 0x0
	s_or_b32 exec_lo, exec_lo, s27
	s_and_saveexec_b32 s27, s1
	s_cbranch_execz .LBB150_29
; %bb.26:                               ;   in Loop: Header=BB150_10 Depth=1
	s_and_not1_b32 vcc_lo, exec_lo, s8
	s_cbranch_vccnz .LBB150_53
; %bb.27:                               ;   in Loop: Header=BB150_10 Depth=1
	ds_load_b64 v[48:49], v40 offset:64
	v_lshl_add_u64 v[50:51], v[10:11], 3, v[28:29]
	s_wait_dscnt 0x0
	global_store_b64 v[50:51], v[48:49], off
	s_cbranch_execnz .LBB150_29
.LBB150_28:                             ;   in Loop: Header=BB150_10 Depth=1
	s_wait_xcnt 0x0
	ds_load_b64 v[48:49], v40 offset:64
	s_wait_dscnt 0x0
	global_store_b64 v[26:27], v[48:49], off offset:64
.LBB150_29:                             ;   in Loop: Header=BB150_10 Depth=1
	s_wait_xcnt 0x0
	s_or_b32 exec_lo, exec_lo, s27
	s_and_saveexec_b32 s27, s2
	s_cbranch_execz .LBB150_33
; %bb.30:                               ;   in Loop: Header=BB150_10 Depth=1
	s_and_not1_b32 vcc_lo, exec_lo, s8
	s_cbranch_vccnz .LBB150_54
; %bb.31:                               ;   in Loop: Header=BB150_10 Depth=1
	ds_load_b64 v[48:49], v40 offset:128
	v_lshl_add_u64 v[50:51], v[12:13], 3, v[28:29]
	s_wait_dscnt 0x0
	global_store_b64 v[50:51], v[48:49], off
	s_cbranch_execnz .LBB150_33
.LBB150_32:                             ;   in Loop: Header=BB150_10 Depth=1
	s_wait_xcnt 0x0
	ds_load_b64 v[48:49], v40 offset:128
	s_wait_dscnt 0x0
	global_store_b64 v[26:27], v[48:49], off offset:128
.LBB150_33:                             ;   in Loop: Header=BB150_10 Depth=1
	s_wait_xcnt 0x0
	s_or_b32 exec_lo, exec_lo, s27
	s_and_saveexec_b32 s27, s3
	s_cbranch_execz .LBB150_37
; %bb.34:                               ;   in Loop: Header=BB150_10 Depth=1
	s_and_not1_b32 vcc_lo, exec_lo, s8
	s_cbranch_vccnz .LBB150_55
; %bb.35:                               ;   in Loop: Header=BB150_10 Depth=1
	ds_load_b64 v[48:49], v40 offset:192
	v_lshl_add_u64 v[50:51], v[14:15], 3, v[28:29]
	s_wait_dscnt 0x0
	global_store_b64 v[50:51], v[48:49], off
	s_cbranch_execnz .LBB150_37
.LBB150_36:                             ;   in Loop: Header=BB150_10 Depth=1
	s_wait_xcnt 0x0
	ds_load_b64 v[48:49], v40 offset:192
	s_wait_dscnt 0x0
	global_store_b64 v[26:27], v[48:49], off offset:192
.LBB150_37:                             ;   in Loop: Header=BB150_10 Depth=1
	s_wait_xcnt 0x0
	s_or_b32 exec_lo, exec_lo, s27
	s_and_saveexec_b32 s27, s4
	s_cbranch_execz .LBB150_41
; %bb.38:                               ;   in Loop: Header=BB150_10 Depth=1
	s_and_not1_b32 vcc_lo, exec_lo, s8
	s_cbranch_vccnz .LBB150_56
; %bb.39:                               ;   in Loop: Header=BB150_10 Depth=1
	ds_load_b64 v[48:49], v40 offset:256
	v_lshl_add_u64 v[50:51], v[16:17], 3, v[28:29]
	s_wait_dscnt 0x0
	global_store_b64 v[50:51], v[48:49], off
	s_cbranch_execnz .LBB150_41
.LBB150_40:                             ;   in Loop: Header=BB150_10 Depth=1
	s_wait_xcnt 0x0
	ds_load_b64 v[48:49], v40 offset:256
	s_wait_dscnt 0x0
	global_store_b64 v[26:27], v[48:49], off offset:256
.LBB150_41:                             ;   in Loop: Header=BB150_10 Depth=1
	s_wait_xcnt 0x0
	s_or_b32 exec_lo, exec_lo, s27
	s_and_saveexec_b32 s27, s5
	s_cbranch_execz .LBB150_45
; %bb.42:                               ;   in Loop: Header=BB150_10 Depth=1
	s_and_not1_b32 vcc_lo, exec_lo, s8
	s_cbranch_vccnz .LBB150_57
; %bb.43:                               ;   in Loop: Header=BB150_10 Depth=1
	ds_load_b64 v[48:49], v40 offset:320
	v_lshl_add_u64 v[50:51], v[18:19], 3, v[28:29]
	s_wait_dscnt 0x0
	global_store_b64 v[50:51], v[48:49], off
	s_cbranch_execnz .LBB150_45
.LBB150_44:                             ;   in Loop: Header=BB150_10 Depth=1
	s_wait_xcnt 0x0
	ds_load_b64 v[48:49], v40 offset:320
	s_wait_dscnt 0x0
	global_store_b64 v[26:27], v[48:49], off offset:320
.LBB150_45:                             ;   in Loop: Header=BB150_10 Depth=1
	s_wait_xcnt 0x0
	s_or_b32 exec_lo, exec_lo, s27
	s_and_saveexec_b32 s27, s6
	s_cbranch_execz .LBB150_49
; %bb.46:                               ;   in Loop: Header=BB150_10 Depth=1
	s_and_not1_b32 vcc_lo, exec_lo, s8
	s_cbranch_vccnz .LBB150_58
; %bb.47:                               ;   in Loop: Header=BB150_10 Depth=1
	ds_load_b64 v[48:49], v40 offset:384
	v_lshl_add_u64 v[50:51], v[20:21], 3, v[28:29]
	s_wait_dscnt 0x0
	global_store_b64 v[50:51], v[48:49], off
	s_cbranch_execnz .LBB150_49
.LBB150_48:                             ;   in Loop: Header=BB150_10 Depth=1
	s_wait_xcnt 0x0
	ds_load_b64 v[48:49], v40 offset:384
	s_wait_dscnt 0x0
	global_store_b64 v[26:27], v[48:49], off offset:384
.LBB150_49:                             ;   in Loop: Header=BB150_10 Depth=1
	s_wait_xcnt 0x0
	s_or_b32 exec_lo, exec_lo, s27
	s_and_saveexec_b32 s27, s7
	s_cbranch_execz .LBB150_8
; %bb.50:                               ;   in Loop: Header=BB150_10 Depth=1
	s_and_not1_b32 vcc_lo, exec_lo, s8
	s_cbranch_vccnz .LBB150_59
; %bb.51:                               ;   in Loop: Header=BB150_10 Depth=1
	ds_load_b64 v[48:49], v40 offset:448
	v_lshl_add_u64 v[28:29], v[22:23], 3, v[28:29]
	s_wait_dscnt 0x0
	global_store_b64 v[28:29], v[48:49], off
	s_cbranch_execnz .LBB150_8
	s_branch .LBB150_60
.LBB150_52:                             ;   in Loop: Header=BB150_10 Depth=1
	s_branch .LBB150_24
.LBB150_53:                             ;   in Loop: Header=BB150_10 Depth=1
	s_branch .LBB150_28
.LBB150_54:                             ;   in Loop: Header=BB150_10 Depth=1
	s_branch .LBB150_32
.LBB150_55:                             ;   in Loop: Header=BB150_10 Depth=1
	s_branch .LBB150_36
.LBB150_56:                             ;   in Loop: Header=BB150_10 Depth=1
	s_branch .LBB150_40
.LBB150_57:                             ;   in Loop: Header=BB150_10 Depth=1
	s_branch .LBB150_44
.LBB150_58:                             ;   in Loop: Header=BB150_10 Depth=1
	s_branch .LBB150_48
.LBB150_59:                             ;   in Loop: Header=BB150_10 Depth=1
.LBB150_60:                             ;   in Loop: Header=BB150_10 Depth=1
	s_wait_xcnt 0x0
	ds_load_b64 v[28:29], v40 offset:448
	s_wait_dscnt 0x0
	global_store_b64 v[26:27], v[28:29], off offset:448
	s_branch .LBB150_8
.LBB150_61:
	s_endpgm
	.section	.rodata,"a",@progbits
	.p2align	6, 0x0
	.amdhsa_kernel _ZN9rocsparseL44csr2gebsr_wavefront_per_row_multipass_kernelILi256ELi8ELi64ELi64E21rocsparse_complex_numIfEEEv20rocsparse_direction_iiiiii21rocsparse_index_base_PKT3_PKiS9_S4_PS5_PiSB_
		.amdhsa_group_segment_fixed_size 16388
		.amdhsa_private_segment_fixed_size 0
		.amdhsa_kernarg_size 88
		.amdhsa_user_sgpr_count 2
		.amdhsa_user_sgpr_dispatch_ptr 0
		.amdhsa_user_sgpr_queue_ptr 0
		.amdhsa_user_sgpr_kernarg_segment_ptr 1
		.amdhsa_user_sgpr_dispatch_id 0
		.amdhsa_user_sgpr_kernarg_preload_length 0
		.amdhsa_user_sgpr_kernarg_preload_offset 0
		.amdhsa_user_sgpr_private_segment_size 0
		.amdhsa_wavefront_size32 1
		.amdhsa_uses_dynamic_stack 0
		.amdhsa_enable_private_segment 0
		.amdhsa_system_sgpr_workgroup_id_x 1
		.amdhsa_system_sgpr_workgroup_id_y 0
		.amdhsa_system_sgpr_workgroup_id_z 0
		.amdhsa_system_sgpr_workgroup_info 0
		.amdhsa_system_vgpr_workitem_id 0
		.amdhsa_next_free_vgpr 53
		.amdhsa_next_free_sgpr 30
		.amdhsa_named_barrier_count 0
		.amdhsa_reserve_vcc 1
		.amdhsa_float_round_mode_32 0
		.amdhsa_float_round_mode_16_64 0
		.amdhsa_float_denorm_mode_32 3
		.amdhsa_float_denorm_mode_16_64 3
		.amdhsa_fp16_overflow 0
		.amdhsa_memory_ordered 1
		.amdhsa_forward_progress 1
		.amdhsa_inst_pref_size 19
		.amdhsa_round_robin_scheduling 0
		.amdhsa_exception_fp_ieee_invalid_op 0
		.amdhsa_exception_fp_denorm_src 0
		.amdhsa_exception_fp_ieee_div_zero 0
		.amdhsa_exception_fp_ieee_overflow 0
		.amdhsa_exception_fp_ieee_underflow 0
		.amdhsa_exception_fp_ieee_inexact 0
		.amdhsa_exception_int_div_zero 0
	.end_amdhsa_kernel
	.section	.text._ZN9rocsparseL44csr2gebsr_wavefront_per_row_multipass_kernelILi256ELi8ELi64ELi64E21rocsparse_complex_numIfEEEv20rocsparse_direction_iiiiii21rocsparse_index_base_PKT3_PKiS9_S4_PS5_PiSB_,"axG",@progbits,_ZN9rocsparseL44csr2gebsr_wavefront_per_row_multipass_kernelILi256ELi8ELi64ELi64E21rocsparse_complex_numIfEEEv20rocsparse_direction_iiiiii21rocsparse_index_base_PKT3_PKiS9_S4_PS5_PiSB_,comdat
.Lfunc_end150:
	.size	_ZN9rocsparseL44csr2gebsr_wavefront_per_row_multipass_kernelILi256ELi8ELi64ELi64E21rocsparse_complex_numIfEEEv20rocsparse_direction_iiiiii21rocsparse_index_base_PKT3_PKiS9_S4_PS5_PiSB_, .Lfunc_end150-_ZN9rocsparseL44csr2gebsr_wavefront_per_row_multipass_kernelILi256ELi8ELi64ELi64E21rocsparse_complex_numIfEEEv20rocsparse_direction_iiiiii21rocsparse_index_base_PKT3_PKiS9_S4_PS5_PiSB_
                                        ; -- End function
	.set _ZN9rocsparseL44csr2gebsr_wavefront_per_row_multipass_kernelILi256ELi8ELi64ELi64E21rocsparse_complex_numIfEEEv20rocsparse_direction_iiiiii21rocsparse_index_base_PKT3_PKiS9_S4_PS5_PiSB_.num_vgpr, 53
	.set _ZN9rocsparseL44csr2gebsr_wavefront_per_row_multipass_kernelILi256ELi8ELi64ELi64E21rocsparse_complex_numIfEEEv20rocsparse_direction_iiiiii21rocsparse_index_base_PKT3_PKiS9_S4_PS5_PiSB_.num_agpr, 0
	.set _ZN9rocsparseL44csr2gebsr_wavefront_per_row_multipass_kernelILi256ELi8ELi64ELi64E21rocsparse_complex_numIfEEEv20rocsparse_direction_iiiiii21rocsparse_index_base_PKT3_PKiS9_S4_PS5_PiSB_.numbered_sgpr, 30
	.set _ZN9rocsparseL44csr2gebsr_wavefront_per_row_multipass_kernelILi256ELi8ELi64ELi64E21rocsparse_complex_numIfEEEv20rocsparse_direction_iiiiii21rocsparse_index_base_PKT3_PKiS9_S4_PS5_PiSB_.num_named_barrier, 0
	.set _ZN9rocsparseL44csr2gebsr_wavefront_per_row_multipass_kernelILi256ELi8ELi64ELi64E21rocsparse_complex_numIfEEEv20rocsparse_direction_iiiiii21rocsparse_index_base_PKT3_PKiS9_S4_PS5_PiSB_.private_seg_size, 0
	.set _ZN9rocsparseL44csr2gebsr_wavefront_per_row_multipass_kernelILi256ELi8ELi64ELi64E21rocsparse_complex_numIfEEEv20rocsparse_direction_iiiiii21rocsparse_index_base_PKT3_PKiS9_S4_PS5_PiSB_.uses_vcc, 1
	.set _ZN9rocsparseL44csr2gebsr_wavefront_per_row_multipass_kernelILi256ELi8ELi64ELi64E21rocsparse_complex_numIfEEEv20rocsparse_direction_iiiiii21rocsparse_index_base_PKT3_PKiS9_S4_PS5_PiSB_.uses_flat_scratch, 0
	.set _ZN9rocsparseL44csr2gebsr_wavefront_per_row_multipass_kernelILi256ELi8ELi64ELi64E21rocsparse_complex_numIfEEEv20rocsparse_direction_iiiiii21rocsparse_index_base_PKT3_PKiS9_S4_PS5_PiSB_.has_dyn_sized_stack, 0
	.set _ZN9rocsparseL44csr2gebsr_wavefront_per_row_multipass_kernelILi256ELi8ELi64ELi64E21rocsparse_complex_numIfEEEv20rocsparse_direction_iiiiii21rocsparse_index_base_PKT3_PKiS9_S4_PS5_PiSB_.has_recursion, 0
	.set _ZN9rocsparseL44csr2gebsr_wavefront_per_row_multipass_kernelILi256ELi8ELi64ELi64E21rocsparse_complex_numIfEEEv20rocsparse_direction_iiiiii21rocsparse_index_base_PKT3_PKiS9_S4_PS5_PiSB_.has_indirect_call, 0
	.section	.AMDGPU.csdata,"",@progbits
; Kernel info:
; codeLenInByte = 2416
; TotalNumSgprs: 32
; NumVgprs: 53
; ScratchSize: 0
; MemoryBound: 0
; FloatMode: 240
; IeeeMode: 1
; LDSByteSize: 16388 bytes/workgroup (compile time only)
; SGPRBlocks: 0
; VGPRBlocks: 3
; NumSGPRsForWavesPerEU: 32
; NumVGPRsForWavesPerEU: 53
; NamedBarCnt: 0
; Occupancy: 16
; WaveLimiterHint : 0
; COMPUTE_PGM_RSRC2:SCRATCH_EN: 0
; COMPUTE_PGM_RSRC2:USER_SGPR: 2
; COMPUTE_PGM_RSRC2:TRAP_HANDLER: 0
; COMPUTE_PGM_RSRC2:TGID_X_EN: 1
; COMPUTE_PGM_RSRC2:TGID_Y_EN: 0
; COMPUTE_PGM_RSRC2:TGID_Z_EN: 0
; COMPUTE_PGM_RSRC2:TIDIG_COMP_CNT: 0
	.section	.text._ZN9rocsparseL44csr2gebsr_wavefront_per_row_multipass_kernelILi128ELi8ELi64ELi32E21rocsparse_complex_numIfEEEv20rocsparse_direction_iiiiii21rocsparse_index_base_PKT3_PKiS9_S4_PS5_PiSB_,"axG",@progbits,_ZN9rocsparseL44csr2gebsr_wavefront_per_row_multipass_kernelILi128ELi8ELi64ELi32E21rocsparse_complex_numIfEEEv20rocsparse_direction_iiiiii21rocsparse_index_base_PKT3_PKiS9_S4_PS5_PiSB_,comdat
	.globl	_ZN9rocsparseL44csr2gebsr_wavefront_per_row_multipass_kernelILi128ELi8ELi64ELi32E21rocsparse_complex_numIfEEEv20rocsparse_direction_iiiiii21rocsparse_index_base_PKT3_PKiS9_S4_PS5_PiSB_ ; -- Begin function _ZN9rocsparseL44csr2gebsr_wavefront_per_row_multipass_kernelILi128ELi8ELi64ELi32E21rocsparse_complex_numIfEEEv20rocsparse_direction_iiiiii21rocsparse_index_base_PKT3_PKiS9_S4_PS5_PiSB_
	.p2align	8
	.type	_ZN9rocsparseL44csr2gebsr_wavefront_per_row_multipass_kernelILi128ELi8ELi64ELi32E21rocsparse_complex_numIfEEEv20rocsparse_direction_iiiiii21rocsparse_index_base_PKT3_PKiS9_S4_PS5_PiSB_,@function
_ZN9rocsparseL44csr2gebsr_wavefront_per_row_multipass_kernelILi128ELi8ELi64ELi32E21rocsparse_complex_numIfEEEv20rocsparse_direction_iiiiii21rocsparse_index_base_PKT3_PKiS9_S4_PS5_PiSB_: ; @_ZN9rocsparseL44csr2gebsr_wavefront_per_row_multipass_kernelILi128ELi8ELi64ELi32E21rocsparse_complex_numIfEEEv20rocsparse_direction_iiiiii21rocsparse_index_base_PKT3_PKiS9_S4_PS5_PiSB_
; %bb.0:
	s_clause 0x1
	s_load_b128 s[16:19], s[0:1], 0xc
	s_load_b64 s[4:5], s[0:1], 0x0
	s_bfe_u32 s2, ttmp6, 0x4000c
	s_and_b32 s3, ttmp6, 15
	s_add_co_i32 s2, s2, 1
	s_getreg_b32 s6, hwreg(HW_REG_IB_STS2, 6, 4)
	s_mul_i32 s2, ttmp9, s2
	v_dual_lshrrev_b32 v46, 5, v0 :: v_dual_mov_b32 v2, 0
	s_add_co_i32 s3, s3, s2
	s_cmp_eq_u32 s6, 0
	v_bfe_u32 v1, v0, 2, 3
	s_cselect_b32 s2, ttmp9, s3
	s_clause 0x1
	s_load_b32 s33, s[0:1], 0x1c
	s_load_b64 s[6:7], s[0:1], 0x28
	v_lshl_or_b32 v3, s2, 2, v46
	v_mov_b32_e32 v44, 0
	s_wait_kmcnt 0x0
	s_delay_alu instid0(VALU_DEP_2) | instskip(SKIP_1) | instid1(VALU_DEP_2)
	v_mad_u32 v4, v3, s18, v1
	v_cmp_gt_i32_e32 vcc_lo, s18, v1
	v_cmp_gt_i32_e64 s2, s5, v4
	s_and_b32 s2, vcc_lo, s2
	s_delay_alu instid0(SALU_CYCLE_1)
	s_and_saveexec_b32 s3, s2
	s_cbranch_execz .LBB151_2
; %bb.1:
	global_load_b32 v5, v4, s[6:7] scale_offset
	s_wait_loadcnt 0x0
	v_subrev_nc_u32_e32 v44, s33, v5
.LBB151_2:
	s_or_b32 exec_lo, exec_lo, s3
	v_mov_b32_e32 v47, 0
	s_and_saveexec_b32 s3, s2
	s_cbranch_execz .LBB151_4
; %bb.3:
	global_load_b32 v4, v4, s[6:7] offset:4 scale_offset
	s_wait_loadcnt 0x0
	v_subrev_nc_u32_e32 v47, s33, v4
.LBB151_4:
	s_or_b32 exec_lo, exec_lo, s3
	s_load_b32 s34, s[0:1], 0x38
	s_mov_b32 s3, exec_lo
	v_cmpx_gt_i32_e64 s16, v3
	s_cbranch_execz .LBB151_6
; %bb.5:
	s_load_b64 s[6:7], s[0:1], 0x48
	s_wait_kmcnt 0x0
	global_load_b32 v2, v3, s[6:7] scale_offset
	s_wait_loadcnt 0x0
	v_subrev_nc_u32_e32 v2, s34, v2
.LBB151_6:
	s_or_b32 exec_lo, exec_lo, s3
	s_cmp_lt_i32 s17, 1
	s_cbranch_scc1 .LBB151_101
; %bb.7:
	v_mbcnt_lo_u32_b32 v3, -1, 0
	s_clause 0x3
	s_load_b64 s[20:21], s[0:1], 0x50
	s_load_b64 s[2:3], s[0:1], 0x40
	;; [unrolled: 1-line block ×4, first 2 shown]
	v_and_b32_e32 v48, 3, v0
	v_mul_lo_u32 v8, s19, v1
	s_cmp_lg_u32 s4, 0
	v_dual_lshlrev_b32 v0, 9, v1 :: v_dual_bitop2_b32 v4, 2, v3 bitop3:0x14
	s_mov_b32 s27, 0
	s_cselect_b32 s16, -1, 0
	s_mov_b32 s26, s18
	s_wait_xcnt 0x0
	v_cmp_gt_i32_e64 s0, 32, v4
	v_xor_b32_e32 v5, 1, v3
	v_lshl_or_b32 v49, v46, 12, v0
	s_ashr_i32 s29, s19, 31
	s_mov_b32 s28, s19
	v_cndmask_b32_e64 v4, v3, v4, s0
	v_cmp_gt_i32_e64 s0, 32, v5
	s_mul_u64 s[30:31], s[28:29], s[26:27]
	s_lshl_b32 s26, s18, 2
	v_lshl_or_b32 v52, v3, 2, 12
	v_lshlrev_b32_e32 v0, 3, v1
	v_dual_cndmask_b32 v5, v3, v5, s0 :: v_dual_lshlrev_b32 v12, 3, v48
	v_dual_mov_b32 v1, 0 :: v_dual_ashrrev_i32 v9, 31, v8
	s_delay_alu instid0(VALU_DEP_2) | instskip(SKIP_2) | instid1(VALU_DEP_3)
	v_dual_lshlrev_b32 v50, 2, v4 :: v_dual_lshlrev_b32 v51, 2, v5
	v_mul_lo_u32 v4, v48, s18
	s_wait_kmcnt 0x0
	v_add_nc_u64_e32 v[6:7], s[2:3], v[0:1]
	v_dual_mov_b32 v13, v1 :: v_dual_bitop2_b32 v0, 16, v3 bitop3:0x14
	v_xor_b32_e32 v5, 8, v3
	v_lshl_add_u64 v[14:15], v[8:9], 3, s[2:3]
	v_mov_b32_e32 v21, v1
	s_abs_i32 s18, s19
	v_cmp_gt_i32_e64 s0, 32, v0
	v_xor_b32_e32 v9, 4, v3
	s_cvt_f32_u32 s28, s18
	v_dual_mov_b32 v25, v1 :: v_dual_add_nc_u32 v8, s26, v4
	v_cndmask_b32_e64 v0, v3, v0, s0
	v_cmp_gt_i32_e64 s0, 32, v5
	v_or_b32_e32 v53, v49, v12
	v_add_nc_u64_e32 v[12:13], v[14:15], v[12:13]
	v_dual_mov_b32 v15, v1 :: v_dual_mov_b32 v39, v1
	s_delay_alu instid0(VALU_DEP_4) | instskip(SKIP_4) | instid1(VALU_DEP_2)
	v_dual_mov_b32 v58, 0 :: v_dual_cndmask_b32 v5, v3, v5, s0
	v_cmp_gt_i32_e64 s0, 32, v9
	v_dual_mov_b32 v11, v1 :: v_dual_add_nc_u32 v10, s26, v8
	s_mov_b32 s35, s27
	v_dual_mov_b32 v19, v1 :: v_dual_cndmask_b32 v3, v3, v9, s0
	v_dual_lshlrev_b32 v54, 2, v0 :: v_dual_add_nc_u32 v14, s26, v10
	v_dual_lshlrev_b32 v55, 2, v5 :: v_dual_bitop2_b32 v0, 4, v48 bitop3:0x54
	s_delay_alu instid0(VALU_DEP_3) | instskip(NEXT) | instid1(VALU_DEP_3)
	v_dual_mov_b32 v5, v1 :: v_dual_lshlrev_b32 v56, 2, v3
	v_dual_add_nc_u32 v16, s26, v14 :: v_dual_bitop2_b32 v3, 8, v48 bitop3:0x54
	v_mov_b32_e32 v9, v1
	s_delay_alu instid0(VALU_DEP_4) | instskip(SKIP_1) | instid1(VALU_DEP_4)
	v_cmp_gt_u32_e64 s1, s19, v0
	v_or_b32_e32 v0, 12, v48
	v_cmp_gt_u32_e64 s2, s19, v3
	v_add_nc_u32_e32 v18, s26, v16
	v_dual_mov_b32 v17, v1 :: v_dual_bitop2_b32 v3, 16, v48 bitop3:0x54
	s_delay_alu instid0(VALU_DEP_4) | instskip(NEXT) | instid1(VALU_DEP_3)
	v_cmp_gt_u32_e64 s3, s19, v0
	v_dual_add_nc_u32 v20, s26, v18 :: v_dual_bitop2_b32 v0, 20, v48 bitop3:0x54
	s_delay_alu instid0(VALU_DEP_3) | instskip(SKIP_2) | instid1(VALU_DEP_4)
	v_cmp_gt_u32_e64 s4, s19, v3
	v_or_b32_e32 v3, 24, v48
	v_cmp_gt_u32_e64 s0, s19, v48
	v_cmp_gt_u32_e64 s5, s19, v0
	v_add_nc_u32_e32 v22, s26, v20
	v_dual_mov_b32 v23, v1 :: v_dual_bitop2_b32 v0, 28, v48 bitop3:0x54
	v_cmp_gt_u32_e64 s6, s19, v3
	s_delay_alu instid0(VALU_DEP_3) | instskip(NEXT) | instid1(VALU_DEP_3)
	v_dual_mov_b32 v29, v1 :: v_dual_add_nc_u32 v24, s26, v22
	v_cmp_gt_u32_e64 s7, s19, v0
	v_or_b32_e32 v3, 32, v48
	s_and_b32 s1, vcc_lo, s1
	v_dual_mov_b32 v31, v1 :: v_dual_add_nc_u32 v26, s26, v24
	v_or_b32_e32 v0, 36, v48
	s_delay_alu instid0(VALU_DEP_3) | instskip(SKIP_1) | instid1(VALU_DEP_4)
	v_cmp_gt_u32_e64 s8, s19, v3
	v_dual_mov_b32 v35, v1 :: v_dual_bitop2_b32 v3, 40, v48 bitop3:0x54
	v_add_nc_u32_e32 v28, s26, v26
	s_delay_alu instid0(VALU_DEP_4) | instskip(SKIP_1) | instid1(VALU_DEP_4)
	v_cmp_gt_u32_e64 s9, s19, v0
	v_dual_mov_b32 v27, v1 :: v_dual_bitop2_b32 v0, 44, v48 bitop3:0x54
	v_cmp_gt_u32_e64 s10, s19, v3
	s_delay_alu instid0(VALU_DEP_4) | instskip(SKIP_1) | instid1(VALU_DEP_4)
	v_add_nc_u32_e32 v30, s26, v28
	v_or_b32_e32 v3, 48, v48
	v_cmp_gt_u32_e64 s11, s19, v0
	v_dual_mov_b32 v33, v1 :: v_dual_bitop2_b32 v0, 52, v48 bitop3:0x54
	s_delay_alu instid0(VALU_DEP_4) | instskip(NEXT) | instid1(VALU_DEP_4)
	v_add_nc_u32_e32 v32, s26, v30
	v_cmp_gt_u32_e64 s12, s19, v3
	v_or_b32_e32 v3, 60, v48
	s_delay_alu instid0(VALU_DEP_4)
	v_cmp_gt_u32_e64 s13, s19, v0
	v_or_b32_e32 v0, 56, v48
	v_add_nc_u32_e32 v34, s26, v32
	s_and_b32 s2, vcc_lo, s2
	v_cmp_gt_u32_e64 s15, s19, v3
	s_and_b32 s3, vcc_lo, s3
	v_cmp_gt_u32_e64 s14, s19, v0
	v_rcp_iflag_f32_e32 v0, s28
	s_and_b32 s28, s0, vcc_lo
	v_dual_mov_b32 v37, v1 :: v_dual_add_nc_u32 v36, s26, v34
	s_and_b32 s4, vcc_lo, s4
	s_and_b32 s5, vcc_lo, s5
	;; [unrolled: 1-line block ×3, first 2 shown]
	s_delay_alu instid0(TRANS32_DEP_1)
	v_readfirstlane_b32 s0, v0
	v_add_nc_u32_e32 v38, s26, v36
	s_sub_co_i32 s26, 0, s18
	s_and_b32 s7, vcc_lo, s7
	s_and_b32 s8, vcc_lo, s8
	s_mul_f32 s0, s0, 0x4f7ffffe
	s_and_b32 s9, vcc_lo, s9
	s_and_b32 s10, vcc_lo, s10
	;; [unrolled: 1-line block ×3, first 2 shown]
	s_cvt_u32_f32 s0, s0
	s_and_b32 s12, vcc_lo, s12
	s_and_b32 s13, vcc_lo, s13
	;; [unrolled: 1-line block ×3, first 2 shown]
	s_mul_i32 s26, s26, s0
	s_and_b32 s15, vcc_lo, s15
	s_mul_hi_u32 s26, s0, s26
	s_delay_alu instid0(SALU_CYCLE_1)
	s_add_co_i32 s26, s0, s26
	s_branch .LBB151_10
.LBB151_8:                              ;   in Loop: Header=BB151_10 Depth=1
	s_wait_xcnt 0x0
	s_or_b32 exec_lo, exec_lo, s36
	v_mov_b32_e32 v0, 1
.LBB151_9:                              ;   in Loop: Header=BB151_10 Depth=1
	s_or_b32 exec_lo, exec_lo, s0
	ds_bpermute_b32 v3, v54, v57
	v_add_nc_u32_e32 v2, v0, v2
	s_wait_storecnt_dscnt 0x0
	v_min_i32_e32 v3, v3, v57
	ds_bpermute_b32 v40, v55, v3
	s_wait_dscnt 0x0
	v_min_i32_e32 v3, v40, v3
	ds_bpermute_b32 v40, v56, v3
	s_wait_dscnt 0x0
	;; [unrolled: 3-line block ×4, first 2 shown]
	v_dual_mov_b32 v40, 0x7c :: v_dual_min_i32 v3, v40, v3
	ds_bpermute_b32 v58, v40, v3
	s_wait_dscnt 0x0
	v_cmp_le_i32_e32 vcc_lo, s17, v58
	s_or_b32 s35, vcc_lo, s35
	s_delay_alu instid0(SALU_CYCLE_1)
	s_and_not1_b32 exec_lo, exec_lo, s35
	s_cbranch_execz .LBB151_101
.LBB151_10:                             ; =>This Loop Header: Depth=1
                                        ;     Child Loop BB151_11 Depth 2
                                        ;     Child Loop BB151_15 Depth 2
	v_dual_mov_b32 v0, v53 :: v_dual_bitop2_b32 v3, -4, v48 bitop3:0x54
	s_mov_b32 s0, 0
	ds_store_b8 v46, v1 offset:16384
.LBB151_11:                             ;   Parent Loop BB151_10 Depth=1
                                        ; =>  This Inner Loop Header: Depth=2
	v_mov_b64_e32 v[40:41], 0
	v_add_nc_u32_e32 v3, 4, v3
	ds_store_b64 v0, v[40:41]
	v_add_nc_u32_e32 v0, 32, v0
	v_cmp_lt_u32_e32 vcc_lo, 59, v3
	s_or_b32 s0, vcc_lo, s0
	s_delay_alu instid0(SALU_CYCLE_1)
	s_and_not1_b32 exec_lo, exec_lo, s0
	s_cbranch_execnz .LBB151_11
; %bb.12:                               ;   in Loop: Header=BB151_10 Depth=1
	s_or_b32 exec_lo, exec_lo, s0
	v_dual_mov_b32 v57, s17 :: v_dual_add_nc_u32 v40, v44, v48
	v_mov_b32_e32 v3, v47
	s_mov_b32 s36, exec_lo
	s_wait_dscnt 0x0
	s_delay_alu instid0(VALU_DEP_2)
	v_cmpx_lt_i32_e64 v40, v47
	s_cbranch_execz .LBB151_20
; %bb.13:                               ;   in Loop: Header=BB151_10 Depth=1
	v_dual_ashrrev_i32 v41, 31, v40 :: v_dual_mov_b32 v57, s17
	v_mov_b32_e32 v3, v47
	s_mov_b32 s37, 0
	s_delay_alu instid0(VALU_DEP_2)
	v_lshl_add_u64 v[42:43], v[40:41], 2, s[24:25]
	v_lshl_add_u64 v[44:45], v[40:41], 3, s[22:23]
	s_branch .LBB151_15
.LBB151_14:                             ;   in Loop: Header=BB151_15 Depth=2
	s_wait_xcnt 0x0
	s_or_b32 exec_lo, exec_lo, s0
	v_add_nc_u32_e32 v40, 4, v40
	s_xor_b32 s38, vcc_lo, -1
	v_add_nc_u64_e32 v[42:43], 16, v[42:43]
	v_add_nc_u64_e32 v[44:45], 32, v[44:45]
	s_delay_alu instid0(VALU_DEP_3) | instskip(SKIP_1) | instid1(SALU_CYCLE_1)
	v_cmp_ge_i32_e64 s0, v40, v47
	s_or_b32 s0, s38, s0
	s_and_b32 s0, exec_lo, s0
	s_delay_alu instid0(SALU_CYCLE_1) | instskip(NEXT) | instid1(SALU_CYCLE_1)
	s_or_b32 s37, s0, s37
	s_and_not1_b32 exec_lo, exec_lo, s37
	s_cbranch_execz .LBB151_19
.LBB151_15:                             ;   Parent Loop BB151_10 Depth=1
                                        ; =>  This Inner Loop Header: Depth=2
	global_load_b32 v0, v[42:43], off
	s_wait_loadcnt 0x0
	v_subrev_nc_u32_e32 v41, s33, v0
	s_delay_alu instid0(VALU_DEP_1) | instskip(NEXT) | instid1(VALU_DEP_1)
	v_sub_nc_u32_e32 v0, 0, v41
	v_max_i32_e32 v0, v41, v0
	s_delay_alu instid0(VALU_DEP_1) | instskip(NEXT) | instid1(VALU_DEP_1)
	v_mul_u64_e32 v[60:61], s[26:27], v[0:1]
	v_mul_lo_u32 v59, v61, s18
	s_delay_alu instid0(VALU_DEP_1) | instskip(NEXT) | instid1(VALU_DEP_1)
	v_dual_sub_nc_u32 v0, v0, v59 :: v_dual_add_nc_u32 v59, 1, v61
	v_cmp_le_u32_e32 vcc_lo, s18, v0
	s_delay_alu instid0(VALU_DEP_2) | instskip(SKIP_1) | instid1(VALU_DEP_1)
	v_dual_cndmask_b32 v59, v61, v59, vcc_lo :: v_dual_ashrrev_i32 v61, 31, v41
	v_subrev_nc_u32_e32 v60, s18, v0
	v_dual_cndmask_b32 v0, v0, v60, vcc_lo :: v_dual_add_nc_u32 v60, 1, v59
	s_delay_alu instid0(VALU_DEP_1) | instskip(NEXT) | instid1(VALU_DEP_2)
	v_cmp_le_u32_e32 vcc_lo, s18, v0
	v_dual_cndmask_b32 v0, v59, v60, vcc_lo :: v_dual_bitop2_b32 v61, s29, v61 bitop3:0x14
	s_delay_alu instid0(VALU_DEP_1) | instskip(NEXT) | instid1(VALU_DEP_1)
	v_xor_b32_e32 v0, v0, v61
	v_dual_mov_b32 v0, v3 :: v_dual_sub_nc_u32 v59, v0, v61
	s_delay_alu instid0(VALU_DEP_1) | instskip(SKIP_3) | instid1(SALU_CYCLE_1)
	v_cmp_ne_u32_e64 s0, v59, v58
	v_cmp_eq_u32_e32 vcc_lo, v59, v58
	s_wait_xcnt 0x0
	s_and_saveexec_b32 s38, s0
	s_xor_b32 s0, exec_lo, s38
; %bb.16:                               ;   in Loop: Header=BB151_15 Depth=2
	v_min_i32_e32 v57, v59, v57
                                        ; implicit-def: $vgpr41
                                        ; implicit-def: $vgpr0
; %bb.17:                               ;   in Loop: Header=BB151_15 Depth=2
	s_or_saveexec_b32 s0, s0
	v_mov_b32_e32 v3, v40
	s_xor_b32 exec_lo, exec_lo, s0
	s_cbranch_execz .LBB151_14
; %bb.18:                               ;   in Loop: Header=BB151_15 Depth=2
	global_load_b64 v[60:61], v[44:45], off
	v_mul_lo_u32 v3, v58, s19
	s_delay_alu instid0(VALU_DEP_1) | instskip(NEXT) | instid1(VALU_DEP_1)
	v_dual_sub_nc_u32 v3, v41, v3 :: v_dual_mov_b32 v41, 1
	v_lshl_add_u32 v59, v3, 3, v49
	v_mov_b32_e32 v3, v0
	ds_store_b8 v46, v41 offset:16384
	s_wait_loadcnt 0x0
	ds_store_b64 v59, v[60:61]
	s_branch .LBB151_14
.LBB151_19:                             ;   in Loop: Header=BB151_10 Depth=1
	s_or_b32 exec_lo, exec_lo, s37
.LBB151_20:                             ;   in Loop: Header=BB151_10 Depth=1
	s_delay_alu instid0(SALU_CYCLE_1)
	s_or_b32 exec_lo, exec_lo, s36
	ds_bpermute_b32 v0, v50, v3
	s_wait_dscnt 0x0
	ds_load_u8 v40, v46 offset:16384
	v_min_i32_e32 v0, v0, v3
	ds_bpermute_b32 v3, v51, v0
	s_wait_dscnt 0x0
	v_min_i32_e32 v0, v3, v0
	ds_bpermute_b32 v44, v52, v0
	v_and_b32_e32 v0, 1, v40
	s_delay_alu instid0(VALU_DEP_1)
	v_cmp_eq_u32_e32 vcc_lo, 1, v0
	v_mov_b32_e32 v0, 0
	s_and_saveexec_b32 s0, vcc_lo
	s_cbranch_execz .LBB151_9
; %bb.21:                               ;   in Loop: Header=BB151_10 Depth=1
	v_ashrrev_i32_e32 v3, 31, v2
	v_add_nc_u32_e32 v0, s34, v58
	s_delay_alu instid0(VALU_DEP_2) | instskip(SKIP_2) | instid1(VALU_DEP_1)
	v_mul_u64_e32 v[40:41], s[30:31], v[2:3]
	global_store_b32 v2, v0, s[20:21] scale_offset
	v_lshlrev_b64_e32 v[40:41], 3, v[40:41]
	v_add_nc_u64_e32 v[42:43], v[6:7], v[40:41]
	v_add_nc_u64_e32 v[40:41], v[12:13], v[40:41]
	s_wait_xcnt 0x0
	s_and_saveexec_b32 s36, s28
	s_cbranch_execz .LBB151_25
; %bb.22:                               ;   in Loop: Header=BB151_10 Depth=1
	s_and_b32 vcc_lo, exec_lo, s16
	s_cbranch_vccz .LBB151_84
; %bb.23:                               ;   in Loop: Header=BB151_10 Depth=1
	ds_load_b64 v[58:59], v53
	v_lshl_add_u64 v[60:61], v[4:5], 3, v[42:43]
	s_wait_dscnt 0x0
	global_store_b64 v[60:61], v[58:59], off
	s_cbranch_execnz .LBB151_25
.LBB151_24:                             ;   in Loop: Header=BB151_10 Depth=1
	s_wait_xcnt 0x0
	ds_load_b64 v[58:59], v53
	s_wait_dscnt 0x0
	global_store_b64 v[40:41], v[58:59], off
.LBB151_25:                             ;   in Loop: Header=BB151_10 Depth=1
	s_wait_xcnt 0x0
	s_or_b32 exec_lo, exec_lo, s36
	s_and_saveexec_b32 s36, s1
	s_cbranch_execz .LBB151_29
; %bb.26:                               ;   in Loop: Header=BB151_10 Depth=1
	s_and_not1_b32 vcc_lo, exec_lo, s16
	s_cbranch_vccnz .LBB151_85
; %bb.27:                               ;   in Loop: Header=BB151_10 Depth=1
	ds_load_b64 v[58:59], v53 offset:32
	v_lshl_add_u64 v[60:61], v[8:9], 3, v[42:43]
	s_wait_dscnt 0x0
	global_store_b64 v[60:61], v[58:59], off
	s_cbranch_execnz .LBB151_29
.LBB151_28:                             ;   in Loop: Header=BB151_10 Depth=1
	s_wait_xcnt 0x0
	ds_load_b64 v[58:59], v53 offset:32
	s_wait_dscnt 0x0
	global_store_b64 v[40:41], v[58:59], off offset:32
.LBB151_29:                             ;   in Loop: Header=BB151_10 Depth=1
	s_wait_xcnt 0x0
	s_or_b32 exec_lo, exec_lo, s36
	s_and_saveexec_b32 s36, s2
	s_cbranch_execz .LBB151_33
; %bb.30:                               ;   in Loop: Header=BB151_10 Depth=1
	s_and_not1_b32 vcc_lo, exec_lo, s16
	s_cbranch_vccnz .LBB151_86
; %bb.31:                               ;   in Loop: Header=BB151_10 Depth=1
	ds_load_b64 v[58:59], v53 offset:64
	v_lshl_add_u64 v[60:61], v[10:11], 3, v[42:43]
	s_wait_dscnt 0x0
	global_store_b64 v[60:61], v[58:59], off
	s_cbranch_execnz .LBB151_33
.LBB151_32:                             ;   in Loop: Header=BB151_10 Depth=1
	s_wait_xcnt 0x0
	ds_load_b64 v[58:59], v53 offset:64
	s_wait_dscnt 0x0
	global_store_b64 v[40:41], v[58:59], off offset:64
.LBB151_33:                             ;   in Loop: Header=BB151_10 Depth=1
	s_wait_xcnt 0x0
	s_or_b32 exec_lo, exec_lo, s36
	s_and_saveexec_b32 s36, s3
	s_cbranch_execz .LBB151_37
; %bb.34:                               ;   in Loop: Header=BB151_10 Depth=1
	s_and_not1_b32 vcc_lo, exec_lo, s16
	s_cbranch_vccnz .LBB151_87
; %bb.35:                               ;   in Loop: Header=BB151_10 Depth=1
	ds_load_b64 v[58:59], v53 offset:96
	v_lshl_add_u64 v[60:61], v[14:15], 3, v[42:43]
	s_wait_dscnt 0x0
	global_store_b64 v[60:61], v[58:59], off
	s_cbranch_execnz .LBB151_37
.LBB151_36:                             ;   in Loop: Header=BB151_10 Depth=1
	s_wait_xcnt 0x0
	ds_load_b64 v[58:59], v53 offset:96
	s_wait_dscnt 0x0
	global_store_b64 v[40:41], v[58:59], off offset:96
.LBB151_37:                             ;   in Loop: Header=BB151_10 Depth=1
	s_wait_xcnt 0x0
	s_or_b32 exec_lo, exec_lo, s36
	s_and_saveexec_b32 s36, s4
	s_cbranch_execz .LBB151_41
; %bb.38:                               ;   in Loop: Header=BB151_10 Depth=1
	s_and_not1_b32 vcc_lo, exec_lo, s16
	s_cbranch_vccnz .LBB151_88
; %bb.39:                               ;   in Loop: Header=BB151_10 Depth=1
	ds_load_b64 v[58:59], v53 offset:128
	v_lshl_add_u64 v[60:61], v[16:17], 3, v[42:43]
	s_wait_dscnt 0x0
	global_store_b64 v[60:61], v[58:59], off
	s_cbranch_execnz .LBB151_41
.LBB151_40:                             ;   in Loop: Header=BB151_10 Depth=1
	s_wait_xcnt 0x0
	ds_load_b64 v[58:59], v53 offset:128
	s_wait_dscnt 0x0
	global_store_b64 v[40:41], v[58:59], off offset:128
.LBB151_41:                             ;   in Loop: Header=BB151_10 Depth=1
	s_wait_xcnt 0x0
	s_or_b32 exec_lo, exec_lo, s36
	s_and_saveexec_b32 s36, s5
	s_cbranch_execz .LBB151_45
; %bb.42:                               ;   in Loop: Header=BB151_10 Depth=1
	s_and_not1_b32 vcc_lo, exec_lo, s16
	s_cbranch_vccnz .LBB151_89
; %bb.43:                               ;   in Loop: Header=BB151_10 Depth=1
	ds_load_b64 v[58:59], v53 offset:160
	v_lshl_add_u64 v[60:61], v[18:19], 3, v[42:43]
	s_wait_dscnt 0x0
	global_store_b64 v[60:61], v[58:59], off
	s_cbranch_execnz .LBB151_45
.LBB151_44:                             ;   in Loop: Header=BB151_10 Depth=1
	s_wait_xcnt 0x0
	ds_load_b64 v[58:59], v53 offset:160
	s_wait_dscnt 0x0
	global_store_b64 v[40:41], v[58:59], off offset:160
.LBB151_45:                             ;   in Loop: Header=BB151_10 Depth=1
	s_wait_xcnt 0x0
	s_or_b32 exec_lo, exec_lo, s36
	s_and_saveexec_b32 s36, s6
	s_cbranch_execz .LBB151_49
; %bb.46:                               ;   in Loop: Header=BB151_10 Depth=1
	s_and_not1_b32 vcc_lo, exec_lo, s16
	s_cbranch_vccnz .LBB151_90
; %bb.47:                               ;   in Loop: Header=BB151_10 Depth=1
	ds_load_b64 v[58:59], v53 offset:192
	v_lshl_add_u64 v[60:61], v[20:21], 3, v[42:43]
	s_wait_dscnt 0x0
	global_store_b64 v[60:61], v[58:59], off
	s_cbranch_execnz .LBB151_49
.LBB151_48:                             ;   in Loop: Header=BB151_10 Depth=1
	s_wait_xcnt 0x0
	ds_load_b64 v[58:59], v53 offset:192
	s_wait_dscnt 0x0
	global_store_b64 v[40:41], v[58:59], off offset:192
.LBB151_49:                             ;   in Loop: Header=BB151_10 Depth=1
	s_wait_xcnt 0x0
	s_or_b32 exec_lo, exec_lo, s36
	s_and_saveexec_b32 s36, s7
	s_cbranch_execz .LBB151_53
; %bb.50:                               ;   in Loop: Header=BB151_10 Depth=1
	s_and_not1_b32 vcc_lo, exec_lo, s16
	s_cbranch_vccnz .LBB151_91
; %bb.51:                               ;   in Loop: Header=BB151_10 Depth=1
	ds_load_b64 v[58:59], v53 offset:224
	v_lshl_add_u64 v[60:61], v[22:23], 3, v[42:43]
	s_wait_dscnt 0x0
	global_store_b64 v[60:61], v[58:59], off
	s_cbranch_execnz .LBB151_53
.LBB151_52:                             ;   in Loop: Header=BB151_10 Depth=1
	s_wait_xcnt 0x0
	ds_load_b64 v[58:59], v53 offset:224
	s_wait_dscnt 0x0
	global_store_b64 v[40:41], v[58:59], off offset:224
.LBB151_53:                             ;   in Loop: Header=BB151_10 Depth=1
	s_wait_xcnt 0x0
	s_or_b32 exec_lo, exec_lo, s36
	s_and_saveexec_b32 s36, s8
	s_cbranch_execz .LBB151_57
; %bb.54:                               ;   in Loop: Header=BB151_10 Depth=1
	s_and_not1_b32 vcc_lo, exec_lo, s16
	s_cbranch_vccnz .LBB151_92
; %bb.55:                               ;   in Loop: Header=BB151_10 Depth=1
	ds_load_b64 v[58:59], v53 offset:256
	v_lshl_add_u64 v[60:61], v[24:25], 3, v[42:43]
	s_wait_dscnt 0x0
	global_store_b64 v[60:61], v[58:59], off
	s_cbranch_execnz .LBB151_57
.LBB151_56:                             ;   in Loop: Header=BB151_10 Depth=1
	s_wait_xcnt 0x0
	ds_load_b64 v[58:59], v53 offset:256
	s_wait_dscnt 0x0
	global_store_b64 v[40:41], v[58:59], off offset:256
.LBB151_57:                             ;   in Loop: Header=BB151_10 Depth=1
	s_wait_xcnt 0x0
	s_or_b32 exec_lo, exec_lo, s36
	s_and_saveexec_b32 s36, s9
	s_cbranch_execz .LBB151_61
; %bb.58:                               ;   in Loop: Header=BB151_10 Depth=1
	s_and_not1_b32 vcc_lo, exec_lo, s16
	s_cbranch_vccnz .LBB151_93
; %bb.59:                               ;   in Loop: Header=BB151_10 Depth=1
	ds_load_b64 v[58:59], v53 offset:288
	v_lshl_add_u64 v[60:61], v[26:27], 3, v[42:43]
	s_wait_dscnt 0x0
	global_store_b64 v[60:61], v[58:59], off
	s_cbranch_execnz .LBB151_61
.LBB151_60:                             ;   in Loop: Header=BB151_10 Depth=1
	s_wait_xcnt 0x0
	ds_load_b64 v[58:59], v53 offset:288
	s_wait_dscnt 0x0
	global_store_b64 v[40:41], v[58:59], off offset:288
.LBB151_61:                             ;   in Loop: Header=BB151_10 Depth=1
	s_wait_xcnt 0x0
	s_or_b32 exec_lo, exec_lo, s36
	s_and_saveexec_b32 s36, s10
	s_cbranch_execz .LBB151_65
; %bb.62:                               ;   in Loop: Header=BB151_10 Depth=1
	s_and_not1_b32 vcc_lo, exec_lo, s16
	s_cbranch_vccnz .LBB151_94
; %bb.63:                               ;   in Loop: Header=BB151_10 Depth=1
	ds_load_b64 v[58:59], v53 offset:320
	v_lshl_add_u64 v[60:61], v[28:29], 3, v[42:43]
	s_wait_dscnt 0x0
	global_store_b64 v[60:61], v[58:59], off
	s_cbranch_execnz .LBB151_65
.LBB151_64:                             ;   in Loop: Header=BB151_10 Depth=1
	s_wait_xcnt 0x0
	ds_load_b64 v[58:59], v53 offset:320
	s_wait_dscnt 0x0
	global_store_b64 v[40:41], v[58:59], off offset:320
.LBB151_65:                             ;   in Loop: Header=BB151_10 Depth=1
	s_wait_xcnt 0x0
	s_or_b32 exec_lo, exec_lo, s36
	s_and_saveexec_b32 s36, s11
	s_cbranch_execz .LBB151_69
; %bb.66:                               ;   in Loop: Header=BB151_10 Depth=1
	s_and_not1_b32 vcc_lo, exec_lo, s16
	s_cbranch_vccnz .LBB151_95
; %bb.67:                               ;   in Loop: Header=BB151_10 Depth=1
	ds_load_b64 v[58:59], v53 offset:352
	v_lshl_add_u64 v[60:61], v[30:31], 3, v[42:43]
	s_wait_dscnt 0x0
	global_store_b64 v[60:61], v[58:59], off
	s_cbranch_execnz .LBB151_69
.LBB151_68:                             ;   in Loop: Header=BB151_10 Depth=1
	s_wait_xcnt 0x0
	ds_load_b64 v[58:59], v53 offset:352
	s_wait_dscnt 0x0
	global_store_b64 v[40:41], v[58:59], off offset:352
.LBB151_69:                             ;   in Loop: Header=BB151_10 Depth=1
	s_wait_xcnt 0x0
	s_or_b32 exec_lo, exec_lo, s36
	s_and_saveexec_b32 s36, s12
	s_cbranch_execz .LBB151_73
; %bb.70:                               ;   in Loop: Header=BB151_10 Depth=1
	s_and_not1_b32 vcc_lo, exec_lo, s16
	s_cbranch_vccnz .LBB151_96
; %bb.71:                               ;   in Loop: Header=BB151_10 Depth=1
	ds_load_b64 v[58:59], v53 offset:384
	v_lshl_add_u64 v[60:61], v[32:33], 3, v[42:43]
	s_wait_dscnt 0x0
	global_store_b64 v[60:61], v[58:59], off
	s_cbranch_execnz .LBB151_73
.LBB151_72:                             ;   in Loop: Header=BB151_10 Depth=1
	s_wait_xcnt 0x0
	ds_load_b64 v[58:59], v53 offset:384
	s_wait_dscnt 0x0
	global_store_b64 v[40:41], v[58:59], off offset:384
.LBB151_73:                             ;   in Loop: Header=BB151_10 Depth=1
	s_wait_xcnt 0x0
	s_or_b32 exec_lo, exec_lo, s36
	s_and_saveexec_b32 s36, s13
	s_cbranch_execz .LBB151_77
; %bb.74:                               ;   in Loop: Header=BB151_10 Depth=1
	s_and_not1_b32 vcc_lo, exec_lo, s16
	s_cbranch_vccnz .LBB151_97
; %bb.75:                               ;   in Loop: Header=BB151_10 Depth=1
	ds_load_b64 v[58:59], v53 offset:416
	v_lshl_add_u64 v[60:61], v[34:35], 3, v[42:43]
	s_wait_dscnt 0x0
	global_store_b64 v[60:61], v[58:59], off
	s_cbranch_execnz .LBB151_77
.LBB151_76:                             ;   in Loop: Header=BB151_10 Depth=1
	s_wait_xcnt 0x0
	ds_load_b64 v[58:59], v53 offset:416
	s_wait_dscnt 0x0
	global_store_b64 v[40:41], v[58:59], off offset:416
.LBB151_77:                             ;   in Loop: Header=BB151_10 Depth=1
	s_wait_xcnt 0x0
	s_or_b32 exec_lo, exec_lo, s36
	s_and_saveexec_b32 s36, s14
	s_cbranch_execz .LBB151_81
; %bb.78:                               ;   in Loop: Header=BB151_10 Depth=1
	s_and_not1_b32 vcc_lo, exec_lo, s16
	s_cbranch_vccnz .LBB151_98
; %bb.79:                               ;   in Loop: Header=BB151_10 Depth=1
	ds_load_b64 v[58:59], v53 offset:448
	v_lshl_add_u64 v[60:61], v[36:37], 3, v[42:43]
	s_wait_dscnt 0x0
	global_store_b64 v[60:61], v[58:59], off
	s_cbranch_execnz .LBB151_81
.LBB151_80:                             ;   in Loop: Header=BB151_10 Depth=1
	s_wait_xcnt 0x0
	ds_load_b64 v[58:59], v53 offset:448
	s_wait_dscnt 0x0
	global_store_b64 v[40:41], v[58:59], off offset:448
.LBB151_81:                             ;   in Loop: Header=BB151_10 Depth=1
	s_wait_xcnt 0x0
	s_or_b32 exec_lo, exec_lo, s36
	s_and_saveexec_b32 s36, s15
	s_cbranch_execz .LBB151_8
; %bb.82:                               ;   in Loop: Header=BB151_10 Depth=1
	s_and_not1_b32 vcc_lo, exec_lo, s16
	s_cbranch_vccnz .LBB151_99
; %bb.83:                               ;   in Loop: Header=BB151_10 Depth=1
	ds_load_b64 v[58:59], v53 offset:480
	v_lshl_add_u64 v[42:43], v[38:39], 3, v[42:43]
	s_wait_dscnt 0x0
	global_store_b64 v[42:43], v[58:59], off
	s_cbranch_execnz .LBB151_8
	s_branch .LBB151_100
.LBB151_84:                             ;   in Loop: Header=BB151_10 Depth=1
	s_branch .LBB151_24
.LBB151_85:                             ;   in Loop: Header=BB151_10 Depth=1
	s_branch .LBB151_28
.LBB151_86:                             ;   in Loop: Header=BB151_10 Depth=1
	s_branch .LBB151_32
.LBB151_87:                             ;   in Loop: Header=BB151_10 Depth=1
	s_branch .LBB151_36
.LBB151_88:                             ;   in Loop: Header=BB151_10 Depth=1
	s_branch .LBB151_40
.LBB151_89:                             ;   in Loop: Header=BB151_10 Depth=1
	s_branch .LBB151_44
.LBB151_90:                             ;   in Loop: Header=BB151_10 Depth=1
	s_branch .LBB151_48
.LBB151_91:                             ;   in Loop: Header=BB151_10 Depth=1
	s_branch .LBB151_52
.LBB151_92:                             ;   in Loop: Header=BB151_10 Depth=1
	s_branch .LBB151_56
.LBB151_93:                             ;   in Loop: Header=BB151_10 Depth=1
	s_branch .LBB151_60
.LBB151_94:                             ;   in Loop: Header=BB151_10 Depth=1
	s_branch .LBB151_64
.LBB151_95:                             ;   in Loop: Header=BB151_10 Depth=1
	s_branch .LBB151_68
.LBB151_96:                             ;   in Loop: Header=BB151_10 Depth=1
	s_branch .LBB151_72
.LBB151_97:                             ;   in Loop: Header=BB151_10 Depth=1
	s_branch .LBB151_76
.LBB151_98:                             ;   in Loop: Header=BB151_10 Depth=1
	s_branch .LBB151_80
.LBB151_99:                             ;   in Loop: Header=BB151_10 Depth=1
.LBB151_100:                            ;   in Loop: Header=BB151_10 Depth=1
	s_wait_xcnt 0x0
	ds_load_b64 v[42:43], v53 offset:480
	s_wait_dscnt 0x0
	global_store_b64 v[40:41], v[42:43], off offset:480
	s_branch .LBB151_8
.LBB151_101:
	s_endpgm
	.section	.rodata,"a",@progbits
	.p2align	6, 0x0
	.amdhsa_kernel _ZN9rocsparseL44csr2gebsr_wavefront_per_row_multipass_kernelILi128ELi8ELi64ELi32E21rocsparse_complex_numIfEEEv20rocsparse_direction_iiiiii21rocsparse_index_base_PKT3_PKiS9_S4_PS5_PiSB_
		.amdhsa_group_segment_fixed_size 16388
		.amdhsa_private_segment_fixed_size 0
		.amdhsa_kernarg_size 88
		.amdhsa_user_sgpr_count 2
		.amdhsa_user_sgpr_dispatch_ptr 0
		.amdhsa_user_sgpr_queue_ptr 0
		.amdhsa_user_sgpr_kernarg_segment_ptr 1
		.amdhsa_user_sgpr_dispatch_id 0
		.amdhsa_user_sgpr_kernarg_preload_length 0
		.amdhsa_user_sgpr_kernarg_preload_offset 0
		.amdhsa_user_sgpr_private_segment_size 0
		.amdhsa_wavefront_size32 1
		.amdhsa_uses_dynamic_stack 0
		.amdhsa_enable_private_segment 0
		.amdhsa_system_sgpr_workgroup_id_x 1
		.amdhsa_system_sgpr_workgroup_id_y 0
		.amdhsa_system_sgpr_workgroup_id_z 0
		.amdhsa_system_sgpr_workgroup_info 0
		.amdhsa_system_vgpr_workitem_id 0
		.amdhsa_next_free_vgpr 62
		.amdhsa_next_free_sgpr 39
		.amdhsa_named_barrier_count 0
		.amdhsa_reserve_vcc 1
		.amdhsa_float_round_mode_32 0
		.amdhsa_float_round_mode_16_64 0
		.amdhsa_float_denorm_mode_32 3
		.amdhsa_float_denorm_mode_16_64 3
		.amdhsa_fp16_overflow 0
		.amdhsa_memory_ordered 1
		.amdhsa_forward_progress 1
		.amdhsa_inst_pref_size 26
		.amdhsa_round_robin_scheduling 0
		.amdhsa_exception_fp_ieee_invalid_op 0
		.amdhsa_exception_fp_denorm_src 0
		.amdhsa_exception_fp_ieee_div_zero 0
		.amdhsa_exception_fp_ieee_overflow 0
		.amdhsa_exception_fp_ieee_underflow 0
		.amdhsa_exception_fp_ieee_inexact 0
		.amdhsa_exception_int_div_zero 0
	.end_amdhsa_kernel
	.section	.text._ZN9rocsparseL44csr2gebsr_wavefront_per_row_multipass_kernelILi128ELi8ELi64ELi32E21rocsparse_complex_numIfEEEv20rocsparse_direction_iiiiii21rocsparse_index_base_PKT3_PKiS9_S4_PS5_PiSB_,"axG",@progbits,_ZN9rocsparseL44csr2gebsr_wavefront_per_row_multipass_kernelILi128ELi8ELi64ELi32E21rocsparse_complex_numIfEEEv20rocsparse_direction_iiiiii21rocsparse_index_base_PKT3_PKiS9_S4_PS5_PiSB_,comdat
.Lfunc_end151:
	.size	_ZN9rocsparseL44csr2gebsr_wavefront_per_row_multipass_kernelILi128ELi8ELi64ELi32E21rocsparse_complex_numIfEEEv20rocsparse_direction_iiiiii21rocsparse_index_base_PKT3_PKiS9_S4_PS5_PiSB_, .Lfunc_end151-_ZN9rocsparseL44csr2gebsr_wavefront_per_row_multipass_kernelILi128ELi8ELi64ELi32E21rocsparse_complex_numIfEEEv20rocsparse_direction_iiiiii21rocsparse_index_base_PKT3_PKiS9_S4_PS5_PiSB_
                                        ; -- End function
	.set _ZN9rocsparseL44csr2gebsr_wavefront_per_row_multipass_kernelILi128ELi8ELi64ELi32E21rocsparse_complex_numIfEEEv20rocsparse_direction_iiiiii21rocsparse_index_base_PKT3_PKiS9_S4_PS5_PiSB_.num_vgpr, 62
	.set _ZN9rocsparseL44csr2gebsr_wavefront_per_row_multipass_kernelILi128ELi8ELi64ELi32E21rocsparse_complex_numIfEEEv20rocsparse_direction_iiiiii21rocsparse_index_base_PKT3_PKiS9_S4_PS5_PiSB_.num_agpr, 0
	.set _ZN9rocsparseL44csr2gebsr_wavefront_per_row_multipass_kernelILi128ELi8ELi64ELi32E21rocsparse_complex_numIfEEEv20rocsparse_direction_iiiiii21rocsparse_index_base_PKT3_PKiS9_S4_PS5_PiSB_.numbered_sgpr, 39
	.set _ZN9rocsparseL44csr2gebsr_wavefront_per_row_multipass_kernelILi128ELi8ELi64ELi32E21rocsparse_complex_numIfEEEv20rocsparse_direction_iiiiii21rocsparse_index_base_PKT3_PKiS9_S4_PS5_PiSB_.num_named_barrier, 0
	.set _ZN9rocsparseL44csr2gebsr_wavefront_per_row_multipass_kernelILi128ELi8ELi64ELi32E21rocsparse_complex_numIfEEEv20rocsparse_direction_iiiiii21rocsparse_index_base_PKT3_PKiS9_S4_PS5_PiSB_.private_seg_size, 0
	.set _ZN9rocsparseL44csr2gebsr_wavefront_per_row_multipass_kernelILi128ELi8ELi64ELi32E21rocsparse_complex_numIfEEEv20rocsparse_direction_iiiiii21rocsparse_index_base_PKT3_PKiS9_S4_PS5_PiSB_.uses_vcc, 1
	.set _ZN9rocsparseL44csr2gebsr_wavefront_per_row_multipass_kernelILi128ELi8ELi64ELi32E21rocsparse_complex_numIfEEEv20rocsparse_direction_iiiiii21rocsparse_index_base_PKT3_PKiS9_S4_PS5_PiSB_.uses_flat_scratch, 0
	.set _ZN9rocsparseL44csr2gebsr_wavefront_per_row_multipass_kernelILi128ELi8ELi64ELi32E21rocsparse_complex_numIfEEEv20rocsparse_direction_iiiiii21rocsparse_index_base_PKT3_PKiS9_S4_PS5_PiSB_.has_dyn_sized_stack, 0
	.set _ZN9rocsparseL44csr2gebsr_wavefront_per_row_multipass_kernelILi128ELi8ELi64ELi32E21rocsparse_complex_numIfEEEv20rocsparse_direction_iiiiii21rocsparse_index_base_PKT3_PKiS9_S4_PS5_PiSB_.has_recursion, 0
	.set _ZN9rocsparseL44csr2gebsr_wavefront_per_row_multipass_kernelILi128ELi8ELi64ELi32E21rocsparse_complex_numIfEEEv20rocsparse_direction_iiiiii21rocsparse_index_base_PKT3_PKiS9_S4_PS5_PiSB_.has_indirect_call, 0
	.section	.AMDGPU.csdata,"",@progbits
; Kernel info:
; codeLenInByte = 3312
; TotalNumSgprs: 41
; NumVgprs: 62
; ScratchSize: 0
; MemoryBound: 0
; FloatMode: 240
; IeeeMode: 1
; LDSByteSize: 16388 bytes/workgroup (compile time only)
; SGPRBlocks: 0
; VGPRBlocks: 3
; NumSGPRsForWavesPerEU: 41
; NumVGPRsForWavesPerEU: 62
; NamedBarCnt: 0
; Occupancy: 16
; WaveLimiterHint : 0
; COMPUTE_PGM_RSRC2:SCRATCH_EN: 0
; COMPUTE_PGM_RSRC2:USER_SGPR: 2
; COMPUTE_PGM_RSRC2:TRAP_HANDLER: 0
; COMPUTE_PGM_RSRC2:TGID_X_EN: 1
; COMPUTE_PGM_RSRC2:TGID_Y_EN: 0
; COMPUTE_PGM_RSRC2:TGID_Z_EN: 0
; COMPUTE_PGM_RSRC2:TIDIG_COMP_CNT: 0
	.section	.text._ZN9rocsparseL44csr2gebsr_wavefront_per_row_multipass_kernelILi256ELi16ELi2ELi32E21rocsparse_complex_numIfEEEv20rocsparse_direction_iiiiii21rocsparse_index_base_PKT3_PKiS9_S4_PS5_PiSB_,"axG",@progbits,_ZN9rocsparseL44csr2gebsr_wavefront_per_row_multipass_kernelILi256ELi16ELi2ELi32E21rocsparse_complex_numIfEEEv20rocsparse_direction_iiiiii21rocsparse_index_base_PKT3_PKiS9_S4_PS5_PiSB_,comdat
	.globl	_ZN9rocsparseL44csr2gebsr_wavefront_per_row_multipass_kernelILi256ELi16ELi2ELi32E21rocsparse_complex_numIfEEEv20rocsparse_direction_iiiiii21rocsparse_index_base_PKT3_PKiS9_S4_PS5_PiSB_ ; -- Begin function _ZN9rocsparseL44csr2gebsr_wavefront_per_row_multipass_kernelILi256ELi16ELi2ELi32E21rocsparse_complex_numIfEEEv20rocsparse_direction_iiiiii21rocsparse_index_base_PKT3_PKiS9_S4_PS5_PiSB_
	.p2align	8
	.type	_ZN9rocsparseL44csr2gebsr_wavefront_per_row_multipass_kernelILi256ELi16ELi2ELi32E21rocsparse_complex_numIfEEEv20rocsparse_direction_iiiiii21rocsparse_index_base_PKT3_PKiS9_S4_PS5_PiSB_,@function
_ZN9rocsparseL44csr2gebsr_wavefront_per_row_multipass_kernelILi256ELi16ELi2ELi32E21rocsparse_complex_numIfEEEv20rocsparse_direction_iiiiii21rocsparse_index_base_PKT3_PKiS9_S4_PS5_PiSB_: ; @_ZN9rocsparseL44csr2gebsr_wavefront_per_row_multipass_kernelILi256ELi16ELi2ELi32E21rocsparse_complex_numIfEEEv20rocsparse_direction_iiiiii21rocsparse_index_base_PKT3_PKiS9_S4_PS5_PiSB_
; %bb.0:
	s_clause 0x1
	s_load_b128 s[4:7], s[0:1], 0xc
	s_load_b64 s[12:13], s[0:1], 0x0
	s_bfe_u32 s2, ttmp6, 0x4000c
	s_and_b32 s3, ttmp6, 15
	s_add_co_i32 s2, s2, 1
	s_getreg_b32 s8, hwreg(HW_REG_IB_STS2, 6, 4)
	s_mul_i32 s2, ttmp9, s2
	v_dual_lshrrev_b32 v18, 5, v0 :: v_dual_mov_b32 v2, 0
	s_add_co_i32 s3, s3, s2
	s_cmp_eq_u32 s8, 0
	v_bfe_u32 v3, v0, 1, 4
	s_cselect_b32 s2, ttmp9, s3
	s_clause 0x1
	s_load_b32 s16, s[0:1], 0x1c
	s_load_b64 s[8:9], s[0:1], 0x28
	v_lshl_or_b32 v1, s2, 3, v18
	v_mov_b32_e32 v8, 0
	s_wait_kmcnt 0x0
	s_delay_alu instid0(VALU_DEP_2) | instskip(SKIP_1) | instid1(VALU_DEP_2)
	v_mad_u32 v4, v1, s6, v3
	v_cmp_gt_i32_e32 vcc_lo, s6, v3
	v_cmp_gt_i32_e64 s2, s13, v4
	s_and_b32 s2, vcc_lo, s2
	s_delay_alu instid0(SALU_CYCLE_1)
	s_and_saveexec_b32 s3, s2
	s_cbranch_execz .LBB152_2
; %bb.1:
	global_load_b32 v5, v4, s[8:9] scale_offset
	s_wait_loadcnt 0x0
	v_subrev_nc_u32_e32 v8, s16, v5
.LBB152_2:
	s_or_b32 exec_lo, exec_lo, s3
	v_mov_b32_e32 v19, 0
	s_and_saveexec_b32 s3, s2
	s_cbranch_execz .LBB152_4
; %bb.3:
	global_load_b32 v4, v4, s[8:9] offset:4 scale_offset
	s_wait_loadcnt 0x0
	v_subrev_nc_u32_e32 v19, s16, v4
.LBB152_4:
	s_or_b32 exec_lo, exec_lo, s3
	s_load_b32 s17, s[0:1], 0x38
	s_mov_b32 s3, exec_lo
	v_cmpx_gt_i32_e64 s4, v1
	s_cbranch_execz .LBB152_6
; %bb.5:
	s_load_b64 s[8:9], s[0:1], 0x48
	s_wait_kmcnt 0x0
	global_load_b32 v1, v1, s[8:9] scale_offset
	s_wait_loadcnt 0x0
	v_subrev_nc_u32_e32 v2, s17, v1
.LBB152_6:
	s_or_b32 exec_lo, exec_lo, s3
	s_cmp_lt_i32 s5, 1
	s_cbranch_scc1 .LBB152_24
; %bb.7:
	v_mbcnt_lo_u32_b32 v9, -1, 0
	s_clause 0x3
	s_load_b64 s[2:3], s[0:1], 0x50
	s_load_b64 s[14:15], s[0:1], 0x40
	;; [unrolled: 1-line block ×4, first 2 shown]
	v_and_b32_e32 v5, 0xe0, v0
	v_mul_lo_u32 v10, s7, v3
	v_dual_mov_b32 v28, 0x7c :: v_dual_mov_b32 v29, 1
	v_dual_lshlrev_b32 v6, 4, v3 :: v_dual_bitop2_b32 v1, 1, v9 bitop3:0x14
	v_lshl_or_b32 v22, v9, 2, 4
	s_mov_b32 s13, 0
	s_wait_xcnt 0x0
	s_delay_alu instid0(VALU_DEP_2) | instskip(SKIP_2) | instid1(VALU_DEP_3)
	v_cmp_gt_i32_e64 s0, 32, v1
	v_and_b32_e32 v4, 1, v0
	v_lshl_or_b32 v20, v5, 3, v6
	v_dual_ashrrev_i32 v11, 31, v10 :: v_dual_cndmask_b32 v1, v9, v1, s0
	s_delay_alu instid0(VALU_DEP_3)
	v_mul_lo_u32 v0, s6, v4
	v_lshlrev_b32_e32 v12, 3, v4
	v_cmp_gt_u32_e64 s0, s7, v4
	s_wait_kmcnt 0x0
	v_lshl_add_u64 v[10:11], v[10:11], 3, s[14:15]
	v_dual_lshlrev_b32 v21, 2, v1 :: v_dual_mov_b32 v1, 0
	v_or_b32_e32 v23, v20, v12
	s_and_b32 s4, vcc_lo, s0
	s_cmp_lg_u32 s12, 0
	s_mov_b32 s12, s6
	v_mov_b32_e32 v13, v1
	v_lshl_add_u64 v[6:7], v[0:1], 3, s[14:15]
	v_lshlrev_b32_e32 v0, 3, v3
	s_cselect_b32 s18, -1, 0
	s_abs_i32 s6, s7
	s_ashr_i32 s1, s7, 31
	s_cvt_f32_u32 s14, s6
	v_add_nc_u64_e32 v[6:7], v[6:7], v[0:1]
	v_xor_b32_e32 v0, 16, v9
	v_add_nc_u64_e32 v[10:11], v[10:11], v[12:13]
	v_rcp_iflag_f32_e32 v3, s14
	s_mov_b32 s0, s7
	v_xor_b32_e32 v12, 8, v9
	v_cmp_gt_i32_e32 vcc_lo, 32, v0
	s_delay_alu instid0(TRANS32_DEP_1) | instskip(SKIP_4) | instid1(VALU_DEP_3)
	v_readfirstlane_b32 s14, v3
	v_cndmask_b32_e32 v0, v9, v0, vcc_lo
	v_mov_b32_e32 v5, v1
	v_cmp_gt_i32_e32 vcc_lo, 32, v12
	s_mul_f32 s14, s14, 0x4f7ffffe
	v_dual_lshlrev_b32 v24, 2, v0 :: v_dual_bitop2_b32 v0, 4, v9 bitop3:0x14
	v_cndmask_b32_e32 v3, v9, v12, vcc_lo
	s_delay_alu instid0(SALU_CYCLE_1) | instskip(SKIP_1) | instid1(VALU_DEP_2)
	s_cvt_u32_f32 s19, s14
	s_sub_co_i32 s14, 0, s6
	v_cmp_gt_i32_e32 vcc_lo, 32, v0
	v_xor_b32_e32 v13, 2, v9
	s_mul_i32 s14, s14, s19
	v_dual_lshlrev_b32 v25, 2, v3 :: v_dual_mov_b32 v3, 0
	v_cndmask_b32_e32 v0, v9, v0, vcc_lo
	s_delay_alu instid0(VALU_DEP_3)
	v_cmp_gt_i32_e32 vcc_lo, 32, v13
	s_mul_hi_u32 s20, s19, s14
	s_mul_u64 s[14:15], s[0:1], s[12:13]
	s_add_co_i32 s12, s19, s20
	s_mov_b32 s19, s13
	v_cndmask_b32_e32 v9, v9, v13, vcc_lo
	v_mov_b64_e32 v[12:13], 0
	s_delay_alu instid0(VALU_DEP_2)
	v_dual_lshlrev_b32 v26, 2, v0 :: v_dual_lshlrev_b32 v27, 2, v9
	s_branch .LBB152_10
.LBB152_8:                              ;   in Loop: Header=BB152_10 Depth=1
	s_wait_xcnt 0x0
	s_or_b32 exec_lo, exec_lo, s20
	v_mov_b32_e32 v0, 1
.LBB152_9:                              ;   in Loop: Header=BB152_10 Depth=1
	s_or_b32 exec_lo, exec_lo, s0
	ds_bpermute_b32 v3, v24, v30
	s_wait_storecnt_dscnt 0x0
	v_add_nc_u32_e32 v2, v0, v2
	v_min_i32_e32 v3, v3, v30
	ds_bpermute_b32 v9, v25, v3
	s_wait_dscnt 0x0
	v_min_i32_e32 v3, v9, v3
	ds_bpermute_b32 v9, v26, v3
	s_wait_dscnt 0x0
	;; [unrolled: 3-line block ×5, first 2 shown]
	v_cmp_le_i32_e32 vcc_lo, s5, v3
	s_or_b32 s19, vcc_lo, s19
	s_delay_alu instid0(SALU_CYCLE_1)
	s_and_not1_b32 exec_lo, exec_lo, s19
	s_cbranch_execz .LBB152_24
.LBB152_10:                             ; =>This Loop Header: Depth=1
                                        ;     Child Loop BB152_13 Depth 2
	v_dual_add_nc_u32 v16, v8, v4 :: v_dual_mov_b32 v30, s5
	v_mov_b32_e32 v31, v19
	s_mov_b32 s20, exec_lo
	ds_store_b8 v18, v1 offset:2048
	ds_store_b64 v23, v[12:13]
	s_wait_dscnt 0x0
	v_cmpx_lt_i32_e64 v16, v19
	s_cbranch_execz .LBB152_18
; %bb.11:                               ;   in Loop: Header=BB152_10 Depth=1
	v_dual_mov_b32 v30, s5 :: v_dual_ashrrev_i32 v9, 31, v8
	v_mul_lo_u32 v17, v3, s7
	v_mov_b32_e32 v31, v19
	s_mov_b32 s21, 0
	s_delay_alu instid0(VALU_DEP_3) | instskip(NEXT) | instid1(VALU_DEP_1)
	v_add_nc_u64_e32 v[14:15], v[4:5], v[8:9]
	v_lshl_add_u64 v[8:9], v[14:15], 2, s[10:11]
	v_lshl_add_u64 v[14:15], v[14:15], 3, s[8:9]
	s_branch .LBB152_13
.LBB152_12:                             ;   in Loop: Header=BB152_13 Depth=2
	s_wait_xcnt 0x0
	s_or_b32 exec_lo, exec_lo, s0
	v_add_nc_u32_e32 v16, 2, v16
	s_xor_b32 s22, vcc_lo, -1
	v_add_nc_u64_e32 v[8:9], 8, v[8:9]
	v_add_nc_u64_e32 v[14:15], 16, v[14:15]
	s_delay_alu instid0(VALU_DEP_3) | instskip(SKIP_1) | instid1(SALU_CYCLE_1)
	v_cmp_ge_i32_e64 s0, v16, v19
	s_or_b32 s0, s22, s0
	s_and_b32 s0, exec_lo, s0
	s_delay_alu instid0(SALU_CYCLE_1) | instskip(NEXT) | instid1(SALU_CYCLE_1)
	s_or_b32 s21, s0, s21
	s_and_not1_b32 exec_lo, exec_lo, s21
	s_cbranch_execz .LBB152_17
.LBB152_13:                             ;   Parent Loop BB152_10 Depth=1
                                        ; =>  This Inner Loop Header: Depth=2
	global_load_b32 v0, v[8:9], off
	s_wait_loadcnt 0x0
	v_subrev_nc_u32_e32 v32, s16, v0
	s_delay_alu instid0(VALU_DEP_1) | instskip(NEXT) | instid1(VALU_DEP_1)
	v_sub_nc_u32_e32 v0, 0, v32
	v_max_i32_e32 v0, v32, v0
	s_delay_alu instid0(VALU_DEP_1) | instskip(NEXT) | instid1(VALU_DEP_1)
	v_mul_u64_e32 v[34:35], s[12:13], v[0:1]
	v_mul_lo_u32 v33, v35, s6
	s_delay_alu instid0(VALU_DEP_1) | instskip(NEXT) | instid1(VALU_DEP_1)
	v_dual_sub_nc_u32 v0, v0, v33 :: v_dual_add_nc_u32 v33, 1, v35
	v_cmp_le_u32_e32 vcc_lo, s6, v0
	s_delay_alu instid0(VALU_DEP_2) | instskip(SKIP_1) | instid1(VALU_DEP_1)
	v_dual_cndmask_b32 v33, v35, v33, vcc_lo :: v_dual_ashrrev_i32 v35, 31, v32
	v_subrev_nc_u32_e32 v34, s6, v0
	v_dual_cndmask_b32 v0, v0, v34, vcc_lo :: v_dual_add_nc_u32 v34, 1, v33
	s_delay_alu instid0(VALU_DEP_1) | instskip(NEXT) | instid1(VALU_DEP_2)
	v_cmp_le_u32_e32 vcc_lo, s6, v0
	v_dual_cndmask_b32 v0, v33, v34, vcc_lo :: v_dual_bitop2_b32 v35, s1, v35 bitop3:0x14
	s_delay_alu instid0(VALU_DEP_1) | instskip(NEXT) | instid1(VALU_DEP_1)
	v_xor_b32_e32 v0, v0, v35
	v_dual_mov_b32 v0, v31 :: v_dual_sub_nc_u32 v33, v0, v35
	s_delay_alu instid0(VALU_DEP_1) | instskip(SKIP_3) | instid1(SALU_CYCLE_1)
	v_cmp_ne_u32_e64 s0, v33, v3
	v_cmp_eq_u32_e32 vcc_lo, v33, v3
	s_wait_xcnt 0x0
	s_and_saveexec_b32 s22, s0
	s_xor_b32 s0, exec_lo, s22
; %bb.14:                               ;   in Loop: Header=BB152_13 Depth=2
	v_min_i32_e32 v30, v33, v30
                                        ; implicit-def: $vgpr32
                                        ; implicit-def: $vgpr0
; %bb.15:                               ;   in Loop: Header=BB152_13 Depth=2
	s_or_saveexec_b32 s0, s0
	v_mov_b32_e32 v31, v16
	s_xor_b32 exec_lo, exec_lo, s0
	s_cbranch_execz .LBB152_12
; %bb.16:                               ;   in Loop: Header=BB152_13 Depth=2
	global_load_b64 v[34:35], v[14:15], off
	v_sub_nc_u32_e32 v31, v32, v17
	s_delay_alu instid0(VALU_DEP_1)
	v_lshl_add_u32 v32, v31, 3, v20
	v_mov_b32_e32 v31, v0
	ds_store_b8 v18, v29 offset:2048
	s_wait_loadcnt 0x0
	ds_store_b64 v32, v[34:35]
	s_branch .LBB152_12
.LBB152_17:                             ;   in Loop: Header=BB152_10 Depth=1
	s_or_b32 exec_lo, exec_lo, s21
.LBB152_18:                             ;   in Loop: Header=BB152_10 Depth=1
	s_delay_alu instid0(SALU_CYCLE_1)
	s_or_b32 exec_lo, exec_lo, s20
	ds_bpermute_b32 v0, v21, v31
	s_wait_dscnt 0x0
	ds_load_u8 v9, v18 offset:2048
	v_min_i32_e32 v0, v0, v31
	ds_bpermute_b32 v8, v22, v0
	s_wait_dscnt 0x1
	v_and_b32_e32 v0, 1, v9
	s_delay_alu instid0(VALU_DEP_1)
	v_cmp_eq_u32_e32 vcc_lo, 1, v0
	v_mov_b32_e32 v0, 0
	s_and_saveexec_b32 s0, vcc_lo
	s_cbranch_execz .LBB152_9
; %bb.19:                               ;   in Loop: Header=BB152_10 Depth=1
	v_add_nc_u32_e32 v0, s17, v3
	global_store_b32 v2, v0, s[2:3] scale_offset
	s_wait_xcnt 0x0
	s_and_saveexec_b32 s20, s4
	s_cbranch_execz .LBB152_8
; %bb.20:                               ;   in Loop: Header=BB152_10 Depth=1
	v_ashrrev_i32_e32 v3, 31, v2
	ds_load_b64 v[16:17], v23
	s_and_b32 vcc_lo, exec_lo, s18
	v_mul_u64_e32 v[14:15], s[14:15], v[2:3]
	s_cbranch_vccz .LBB152_22
; %bb.21:                               ;   in Loop: Header=BB152_10 Depth=1
	s_delay_alu instid0(VALU_DEP_1)
	v_lshl_add_u64 v[32:33], v[14:15], 3, v[6:7]
	s_wait_dscnt 0x0
	global_store_b64 v[32:33], v[16:17], off
	s_cbranch_execnz .LBB152_8
	s_branch .LBB152_23
.LBB152_22:                             ;   in Loop: Header=BB152_10 Depth=1
.LBB152_23:                             ;   in Loop: Header=BB152_10 Depth=1
	s_delay_alu instid0(VALU_DEP_1)
	v_lshl_add_u64 v[14:15], v[14:15], 3, v[10:11]
	s_wait_dscnt 0x0
	global_store_b64 v[14:15], v[16:17], off
	s_branch .LBB152_8
.LBB152_24:
	s_endpgm
	.section	.rodata,"a",@progbits
	.p2align	6, 0x0
	.amdhsa_kernel _ZN9rocsparseL44csr2gebsr_wavefront_per_row_multipass_kernelILi256ELi16ELi2ELi32E21rocsparse_complex_numIfEEEv20rocsparse_direction_iiiiii21rocsparse_index_base_PKT3_PKiS9_S4_PS5_PiSB_
		.amdhsa_group_segment_fixed_size 2056
		.amdhsa_private_segment_fixed_size 0
		.amdhsa_kernarg_size 88
		.amdhsa_user_sgpr_count 2
		.amdhsa_user_sgpr_dispatch_ptr 0
		.amdhsa_user_sgpr_queue_ptr 0
		.amdhsa_user_sgpr_kernarg_segment_ptr 1
		.amdhsa_user_sgpr_dispatch_id 0
		.amdhsa_user_sgpr_kernarg_preload_length 0
		.amdhsa_user_sgpr_kernarg_preload_offset 0
		.amdhsa_user_sgpr_private_segment_size 0
		.amdhsa_wavefront_size32 1
		.amdhsa_uses_dynamic_stack 0
		.amdhsa_enable_private_segment 0
		.amdhsa_system_sgpr_workgroup_id_x 1
		.amdhsa_system_sgpr_workgroup_id_y 0
		.amdhsa_system_sgpr_workgroup_id_z 0
		.amdhsa_system_sgpr_workgroup_info 0
		.amdhsa_system_vgpr_workitem_id 0
		.amdhsa_next_free_vgpr 36
		.amdhsa_next_free_sgpr 23
		.amdhsa_named_barrier_count 0
		.amdhsa_reserve_vcc 1
		.amdhsa_float_round_mode_32 0
		.amdhsa_float_round_mode_16_64 0
		.amdhsa_float_denorm_mode_32 3
		.amdhsa_float_denorm_mode_16_64 3
		.amdhsa_fp16_overflow 0
		.amdhsa_memory_ordered 1
		.amdhsa_forward_progress 1
		.amdhsa_inst_pref_size 11
		.amdhsa_round_robin_scheduling 0
		.amdhsa_exception_fp_ieee_invalid_op 0
		.amdhsa_exception_fp_denorm_src 0
		.amdhsa_exception_fp_ieee_div_zero 0
		.amdhsa_exception_fp_ieee_overflow 0
		.amdhsa_exception_fp_ieee_underflow 0
		.amdhsa_exception_fp_ieee_inexact 0
		.amdhsa_exception_int_div_zero 0
	.end_amdhsa_kernel
	.section	.text._ZN9rocsparseL44csr2gebsr_wavefront_per_row_multipass_kernelILi256ELi16ELi2ELi32E21rocsparse_complex_numIfEEEv20rocsparse_direction_iiiiii21rocsparse_index_base_PKT3_PKiS9_S4_PS5_PiSB_,"axG",@progbits,_ZN9rocsparseL44csr2gebsr_wavefront_per_row_multipass_kernelILi256ELi16ELi2ELi32E21rocsparse_complex_numIfEEEv20rocsparse_direction_iiiiii21rocsparse_index_base_PKT3_PKiS9_S4_PS5_PiSB_,comdat
.Lfunc_end152:
	.size	_ZN9rocsparseL44csr2gebsr_wavefront_per_row_multipass_kernelILi256ELi16ELi2ELi32E21rocsparse_complex_numIfEEEv20rocsparse_direction_iiiiii21rocsparse_index_base_PKT3_PKiS9_S4_PS5_PiSB_, .Lfunc_end152-_ZN9rocsparseL44csr2gebsr_wavefront_per_row_multipass_kernelILi256ELi16ELi2ELi32E21rocsparse_complex_numIfEEEv20rocsparse_direction_iiiiii21rocsparse_index_base_PKT3_PKiS9_S4_PS5_PiSB_
                                        ; -- End function
	.set _ZN9rocsparseL44csr2gebsr_wavefront_per_row_multipass_kernelILi256ELi16ELi2ELi32E21rocsparse_complex_numIfEEEv20rocsparse_direction_iiiiii21rocsparse_index_base_PKT3_PKiS9_S4_PS5_PiSB_.num_vgpr, 36
	.set _ZN9rocsparseL44csr2gebsr_wavefront_per_row_multipass_kernelILi256ELi16ELi2ELi32E21rocsparse_complex_numIfEEEv20rocsparse_direction_iiiiii21rocsparse_index_base_PKT3_PKiS9_S4_PS5_PiSB_.num_agpr, 0
	.set _ZN9rocsparseL44csr2gebsr_wavefront_per_row_multipass_kernelILi256ELi16ELi2ELi32E21rocsparse_complex_numIfEEEv20rocsparse_direction_iiiiii21rocsparse_index_base_PKT3_PKiS9_S4_PS5_PiSB_.numbered_sgpr, 23
	.set _ZN9rocsparseL44csr2gebsr_wavefront_per_row_multipass_kernelILi256ELi16ELi2ELi32E21rocsparse_complex_numIfEEEv20rocsparse_direction_iiiiii21rocsparse_index_base_PKT3_PKiS9_S4_PS5_PiSB_.num_named_barrier, 0
	.set _ZN9rocsparseL44csr2gebsr_wavefront_per_row_multipass_kernelILi256ELi16ELi2ELi32E21rocsparse_complex_numIfEEEv20rocsparse_direction_iiiiii21rocsparse_index_base_PKT3_PKiS9_S4_PS5_PiSB_.private_seg_size, 0
	.set _ZN9rocsparseL44csr2gebsr_wavefront_per_row_multipass_kernelILi256ELi16ELi2ELi32E21rocsparse_complex_numIfEEEv20rocsparse_direction_iiiiii21rocsparse_index_base_PKT3_PKiS9_S4_PS5_PiSB_.uses_vcc, 1
	.set _ZN9rocsparseL44csr2gebsr_wavefront_per_row_multipass_kernelILi256ELi16ELi2ELi32E21rocsparse_complex_numIfEEEv20rocsparse_direction_iiiiii21rocsparse_index_base_PKT3_PKiS9_S4_PS5_PiSB_.uses_flat_scratch, 0
	.set _ZN9rocsparseL44csr2gebsr_wavefront_per_row_multipass_kernelILi256ELi16ELi2ELi32E21rocsparse_complex_numIfEEEv20rocsparse_direction_iiiiii21rocsparse_index_base_PKT3_PKiS9_S4_PS5_PiSB_.has_dyn_sized_stack, 0
	.set _ZN9rocsparseL44csr2gebsr_wavefront_per_row_multipass_kernelILi256ELi16ELi2ELi32E21rocsparse_complex_numIfEEEv20rocsparse_direction_iiiiii21rocsparse_index_base_PKT3_PKiS9_S4_PS5_PiSB_.has_recursion, 0
	.set _ZN9rocsparseL44csr2gebsr_wavefront_per_row_multipass_kernelILi256ELi16ELi2ELi32E21rocsparse_complex_numIfEEEv20rocsparse_direction_iiiiii21rocsparse_index_base_PKT3_PKiS9_S4_PS5_PiSB_.has_indirect_call, 0
	.section	.AMDGPU.csdata,"",@progbits
; Kernel info:
; codeLenInByte = 1408
; TotalNumSgprs: 25
; NumVgprs: 36
; ScratchSize: 0
; MemoryBound: 0
; FloatMode: 240
; IeeeMode: 1
; LDSByteSize: 2056 bytes/workgroup (compile time only)
; SGPRBlocks: 0
; VGPRBlocks: 2
; NumSGPRsForWavesPerEU: 25
; NumVGPRsForWavesPerEU: 36
; NamedBarCnt: 0
; Occupancy: 16
; WaveLimiterHint : 0
; COMPUTE_PGM_RSRC2:SCRATCH_EN: 0
; COMPUTE_PGM_RSRC2:USER_SGPR: 2
; COMPUTE_PGM_RSRC2:TRAP_HANDLER: 0
; COMPUTE_PGM_RSRC2:TGID_X_EN: 1
; COMPUTE_PGM_RSRC2:TGID_Y_EN: 0
; COMPUTE_PGM_RSRC2:TGID_Z_EN: 0
; COMPUTE_PGM_RSRC2:TIDIG_COMP_CNT: 0
	.section	.text._ZN9rocsparseL44csr2gebsr_wavefront_per_row_multipass_kernelILi256ELi16ELi4ELi64E21rocsparse_complex_numIfEEEv20rocsparse_direction_iiiiii21rocsparse_index_base_PKT3_PKiS9_S4_PS5_PiSB_,"axG",@progbits,_ZN9rocsparseL44csr2gebsr_wavefront_per_row_multipass_kernelILi256ELi16ELi4ELi64E21rocsparse_complex_numIfEEEv20rocsparse_direction_iiiiii21rocsparse_index_base_PKT3_PKiS9_S4_PS5_PiSB_,comdat
	.globl	_ZN9rocsparseL44csr2gebsr_wavefront_per_row_multipass_kernelILi256ELi16ELi4ELi64E21rocsparse_complex_numIfEEEv20rocsparse_direction_iiiiii21rocsparse_index_base_PKT3_PKiS9_S4_PS5_PiSB_ ; -- Begin function _ZN9rocsparseL44csr2gebsr_wavefront_per_row_multipass_kernelILi256ELi16ELi4ELi64E21rocsparse_complex_numIfEEEv20rocsparse_direction_iiiiii21rocsparse_index_base_PKT3_PKiS9_S4_PS5_PiSB_
	.p2align	8
	.type	_ZN9rocsparseL44csr2gebsr_wavefront_per_row_multipass_kernelILi256ELi16ELi4ELi64E21rocsparse_complex_numIfEEEv20rocsparse_direction_iiiiii21rocsparse_index_base_PKT3_PKiS9_S4_PS5_PiSB_,@function
_ZN9rocsparseL44csr2gebsr_wavefront_per_row_multipass_kernelILi256ELi16ELi4ELi64E21rocsparse_complex_numIfEEEv20rocsparse_direction_iiiiii21rocsparse_index_base_PKT3_PKiS9_S4_PS5_PiSB_: ; @_ZN9rocsparseL44csr2gebsr_wavefront_per_row_multipass_kernelILi256ELi16ELi4ELi64E21rocsparse_complex_numIfEEEv20rocsparse_direction_iiiiii21rocsparse_index_base_PKT3_PKiS9_S4_PS5_PiSB_
; %bb.0:
	s_clause 0x1
	s_load_b128 s[4:7], s[0:1], 0xc
	s_load_b64 s[12:13], s[0:1], 0x0
	s_bfe_u32 s2, ttmp6, 0x4000c
	s_and_b32 s3, ttmp6, 15
	s_add_co_i32 s2, s2, 1
	s_getreg_b32 s8, hwreg(HW_REG_IB_STS2, 6, 4)
	s_mul_i32 s2, ttmp9, s2
	v_dual_lshrrev_b32 v18, 6, v0 :: v_dual_mov_b32 v2, 0
	s_add_co_i32 s3, s3, s2
	s_cmp_eq_u32 s8, 0
	v_bfe_u32 v1, v0, 2, 4
	s_cselect_b32 s2, ttmp9, s3
	s_clause 0x1
	s_load_b32 s16, s[0:1], 0x1c
	s_load_b64 s[8:9], s[0:1], 0x28
	v_lshl_or_b32 v3, s2, 2, v18
	v_mov_b32_e32 v8, 0
	s_wait_kmcnt 0x0
	s_delay_alu instid0(VALU_DEP_2) | instskip(SKIP_1) | instid1(VALU_DEP_2)
	v_mad_u32 v4, v3, s6, v1
	v_cmp_gt_i32_e32 vcc_lo, s6, v1
	v_cmp_gt_i32_e64 s2, s13, v4
	s_and_b32 s2, vcc_lo, s2
	s_delay_alu instid0(SALU_CYCLE_1)
	s_and_saveexec_b32 s3, s2
	s_cbranch_execz .LBB153_2
; %bb.1:
	global_load_b32 v5, v4, s[8:9] scale_offset
	s_wait_loadcnt 0x0
	v_subrev_nc_u32_e32 v8, s16, v5
.LBB153_2:
	s_or_b32 exec_lo, exec_lo, s3
	v_mov_b32_e32 v19, 0
	s_and_saveexec_b32 s3, s2
	s_cbranch_execz .LBB153_4
; %bb.3:
	global_load_b32 v4, v4, s[8:9] offset:4 scale_offset
	s_wait_loadcnt 0x0
	v_subrev_nc_u32_e32 v19, s16, v4
.LBB153_4:
	s_or_b32 exec_lo, exec_lo, s3
	s_load_b32 s17, s[0:1], 0x38
	s_mov_b32 s3, exec_lo
	v_cmpx_gt_i32_e64 s4, v3
	s_cbranch_execz .LBB153_6
; %bb.5:
	s_load_b64 s[8:9], s[0:1], 0x48
	s_wait_kmcnt 0x0
	global_load_b32 v2, v3, s[8:9] scale_offset
	s_wait_loadcnt 0x0
	v_subrev_nc_u32_e32 v2, s17, v2
.LBB153_6:
	s_or_b32 exec_lo, exec_lo, s3
	s_cmp_lt_i32 s5, 1
	s_cbranch_scc1 .LBB153_24
; %bb.7:
	v_mbcnt_lo_u32_b32 v3, -1, 0
	v_lshlrev_b32_e32 v5, 5, v1
	v_and_b32_e32 v4, 0xc0, v0
	s_clause 0x3
	s_load_b64 s[2:3], s[0:1], 0x50
	s_load_b64 s[14:15], s[0:1], 0x40
	;; [unrolled: 1-line block ×4, first 2 shown]
	v_mul_lo_u32 v10, s7, v1
	v_xor_b32_e32 v6, 2, v3
	v_lshl_or_b32 v23, v3, 2, 12
	v_lshl_or_b32 v20, v4, 3, v5
	v_bfrev_b32_e32 v29, 0.5
	s_mov_b32 s13, 0
	s_wait_xcnt 0x0
	v_cmp_gt_i32_e64 s0, 32, v6
	v_dual_mov_b32 v30, 1 :: v_dual_bitop2_b32 v7, 1, v3 bitop3:0x14
	s_delay_alu instid0(VALU_DEP_2) | instskip(NEXT) | instid1(VALU_DEP_2)
	v_cndmask_b32_e64 v5, v3, v6, s0
	v_cmp_gt_i32_e64 s0, 32, v7
	v_dual_ashrrev_i32 v11, 31, v10 :: v_dual_bitop2_b32 v0, 3, v0 bitop3:0x40
	s_delay_alu instid0(VALU_DEP_2) | instskip(NEXT) | instid1(VALU_DEP_2)
	v_cndmask_b32_e64 v6, v3, v7, s0
	v_mul_lo_u32 v4, s6, v0
	v_dual_lshlrev_b32 v21, 2, v5 :: v_dual_lshlrev_b32 v12, 3, v0
	v_mov_b32_e32 v5, 0
	v_cmp_gt_u32_e64 s0, s7, v0
	s_delay_alu instid0(VALU_DEP_3)
	v_dual_lshlrev_b32 v22, 2, v6 :: v_dual_bitop2_b32 v24, v20, v12 bitop3:0x54
	s_and_b32 s4, vcc_lo, s0
	s_cmp_lg_u32 s12, 0
	s_wait_kmcnt 0x0
	v_lshl_add_u64 v[6:7], v[4:5], 3, s[14:15]
	v_dual_lshlrev_b32 v4, 3, v1 :: v_dual_bitop2_b32 v1, 32, v3 bitop3:0x54
	v_lshl_add_u64 v[10:11], v[10:11], 3, s[14:15]
	s_cselect_b32 s18, -1, 0
	s_mov_b32 s12, s6
	s_abs_i32 s6, s7
	v_cmp_gt_i32_e32 vcc_lo, 32, v1
	v_mov_b32_e32 v13, v5
	s_cvt_f32_u32 s14, s6
	v_add_nc_u64_e32 v[6:7], v[6:7], v[4:5]
	s_ashr_i32 s1, s7, 31
	v_dual_cndmask_b32 v4, v3, v1 :: v_dual_mov_b32 v1, v5
	v_add_nc_u64_e32 v[10:11], v[10:11], v[12:13]
	v_xor_b32_e32 v12, 16, v3
	v_rcp_iflag_f32_e32 v9, s14
	s_delay_alu instid0(VALU_DEP_3) | instskip(SKIP_1) | instid1(VALU_DEP_2)
	v_dual_lshlrev_b32 v25, 2, v4 :: v_dual_bitop2_b32 v4, 8, v3 bitop3:0x14
	s_mov_b32 s0, s7
	v_cmp_gt_i32_e32 vcc_lo, 32, v12
	v_xor_b32_e32 v13, 4, v3
	s_delay_alu instid0(TRANS32_DEP_1)
	v_readfirstlane_b32 s14, v9
	v_cndmask_b32_e32 v9, v3, v12, vcc_lo
	v_cmp_gt_i32_e32 vcc_lo, 32, v4
	s_mul_f32 s14, s14, 0x4f7ffffe
	v_cndmask_b32_e32 v4, v3, v4, vcc_lo
	v_cmp_gt_i32_e32 vcc_lo, 32, v13
	s_delay_alu instid0(SALU_CYCLE_1)
	s_cvt_u32_f32 s19, s14
	s_sub_co_i32 s14, 0, s6
	v_cndmask_b32_e32 v3, v3, v13, vcc_lo
	v_mov_b64_e32 v[12:13], 0
	s_mul_i32 s14, s14, s19
	v_dual_lshlrev_b32 v26, 2, v9 :: v_dual_lshlrev_b32 v27, 2, v4
	s_delay_alu instid0(VALU_DEP_3)
	v_dual_mov_b32 v3, 0 :: v_dual_lshlrev_b32 v28, 2, v3
	s_mul_hi_u32 s20, s19, s14
	s_mul_u64 s[14:15], s[0:1], s[12:13]
	s_add_co_i32 s12, s19, s20
	s_mov_b32 s19, s13
	s_branch .LBB153_10
.LBB153_8:                              ;   in Loop: Header=BB153_10 Depth=1
	s_wait_xcnt 0x0
	s_or_b32 exec_lo, exec_lo, s20
	v_mov_b32_e32 v4, 1
.LBB153_9:                              ;   in Loop: Header=BB153_10 Depth=1
	s_or_b32 exec_lo, exec_lo, s0
	ds_bpermute_b32 v3, v25, v31
	s_wait_storecnt_dscnt 0x0
	v_dual_add_nc_u32 v2, v4, v2 :: v_dual_min_i32 v3, v3, v31
	ds_bpermute_b32 v9, v26, v3
	s_wait_dscnt 0x0
	v_min_i32_e32 v3, v9, v3
	ds_bpermute_b32 v9, v27, v3
	s_wait_dscnt 0x0
	v_min_i32_e32 v3, v9, v3
	;; [unrolled: 3-line block ×5, first 2 shown]
	ds_bpermute_b32 v3, v29, v3
	s_wait_dscnt 0x0
	v_cmp_le_i32_e32 vcc_lo, s5, v3
	s_or_b32 s19, vcc_lo, s19
	s_delay_alu instid0(SALU_CYCLE_1)
	s_and_not1_b32 exec_lo, exec_lo, s19
	s_cbranch_execz .LBB153_24
.LBB153_10:                             ; =>This Loop Header: Depth=1
                                        ;     Child Loop BB153_13 Depth 2
	v_dual_mov_b32 v31, s5 :: v_dual_add_nc_u32 v16, v8, v0
	v_mov_b32_e32 v32, v19
	s_mov_b32 s20, exec_lo
	ds_store_b8 v18, v5 offset:2048
	ds_store_b64 v24, v[12:13]
	s_wait_dscnt 0x0
	v_cmpx_lt_i32_e64 v16, v19
	s_cbranch_execz .LBB153_18
; %bb.11:                               ;   in Loop: Header=BB153_10 Depth=1
	v_dual_ashrrev_i32 v9, 31, v8 :: v_dual_mov_b32 v31, s5
	v_mul_lo_u32 v17, v3, s7
	v_mov_b32_e32 v32, v19
	s_mov_b32 s21, 0
	s_delay_alu instid0(VALU_DEP_3) | instskip(NEXT) | instid1(VALU_DEP_1)
	v_add_nc_u64_e32 v[14:15], v[0:1], v[8:9]
	v_lshl_add_u64 v[8:9], v[14:15], 2, s[10:11]
	v_lshl_add_u64 v[14:15], v[14:15], 3, s[8:9]
	s_branch .LBB153_13
.LBB153_12:                             ;   in Loop: Header=BB153_13 Depth=2
	s_wait_xcnt 0x0
	s_or_b32 exec_lo, exec_lo, s0
	v_add_nc_u32_e32 v16, 4, v16
	s_xor_b32 s22, vcc_lo, -1
	v_add_nc_u64_e32 v[8:9], 16, v[8:9]
	v_add_nc_u64_e32 v[14:15], 32, v[14:15]
	s_delay_alu instid0(VALU_DEP_3) | instskip(SKIP_1) | instid1(SALU_CYCLE_1)
	v_cmp_ge_i32_e64 s0, v16, v19
	s_or_b32 s0, s22, s0
	s_and_b32 s0, exec_lo, s0
	s_delay_alu instid0(SALU_CYCLE_1) | instskip(NEXT) | instid1(SALU_CYCLE_1)
	s_or_b32 s21, s0, s21
	s_and_not1_b32 exec_lo, exec_lo, s21
	s_cbranch_execz .LBB153_17
.LBB153_13:                             ;   Parent Loop BB153_10 Depth=1
                                        ; =>  This Inner Loop Header: Depth=2
	global_load_b32 v4, v[8:9], off
	s_wait_loadcnt 0x0
	v_subrev_nc_u32_e32 v33, s16, v4
	s_delay_alu instid0(VALU_DEP_1) | instskip(NEXT) | instid1(VALU_DEP_1)
	v_sub_nc_u32_e32 v4, 0, v33
	v_max_i32_e32 v4, v33, v4
	s_delay_alu instid0(VALU_DEP_1) | instskip(NEXT) | instid1(VALU_DEP_1)
	v_mul_u64_e32 v[34:35], s[12:13], v[4:5]
	v_mul_lo_u32 v34, v35, s6
	s_delay_alu instid0(VALU_DEP_1) | instskip(NEXT) | instid1(VALU_DEP_1)
	v_dual_sub_nc_u32 v4, v4, v34 :: v_dual_add_nc_u32 v34, 1, v35
	v_cmp_le_u32_e32 vcc_lo, s6, v4
	s_delay_alu instid0(VALU_DEP_2) | instskip(SKIP_1) | instid1(VALU_DEP_1)
	v_dual_cndmask_b32 v34, v35, v34 :: v_dual_ashrrev_i32 v35, 31, v33
	v_subrev_nc_u32_e32 v36, s6, v4
	v_dual_cndmask_b32 v4, v4, v36, vcc_lo :: v_dual_add_nc_u32 v36, 1, v34
	s_delay_alu instid0(VALU_DEP_1) | instskip(NEXT) | instid1(VALU_DEP_2)
	v_cmp_le_u32_e32 vcc_lo, s6, v4
	v_dual_cndmask_b32 v4, v34, v36, vcc_lo :: v_dual_bitop2_b32 v35, s1, v35 bitop3:0x14
	s_delay_alu instid0(VALU_DEP_1) | instskip(NEXT) | instid1(VALU_DEP_1)
	v_xor_b32_e32 v4, v4, v35
	v_sub_nc_u32_e32 v34, v4, v35
	v_mov_b32_e32 v4, v32
	s_delay_alu instid0(VALU_DEP_2) | instskip(SKIP_3) | instid1(SALU_CYCLE_1)
	v_cmp_ne_u32_e64 s0, v34, v3
	v_cmp_eq_u32_e32 vcc_lo, v34, v3
	s_wait_xcnt 0x0
	s_and_saveexec_b32 s22, s0
	s_xor_b32 s0, exec_lo, s22
; %bb.14:                               ;   in Loop: Header=BB153_13 Depth=2
	v_min_i32_e32 v31, v34, v31
                                        ; implicit-def: $vgpr33
                                        ; implicit-def: $vgpr4
; %bb.15:                               ;   in Loop: Header=BB153_13 Depth=2
	s_or_saveexec_b32 s0, s0
	v_mov_b32_e32 v32, v16
	s_xor_b32 exec_lo, exec_lo, s0
	s_cbranch_execz .LBB153_12
; %bb.16:                               ;   in Loop: Header=BB153_13 Depth=2
	global_load_b64 v[34:35], v[14:15], off
	v_sub_nc_u32_e32 v32, v33, v17
	s_delay_alu instid0(VALU_DEP_1)
	v_lshl_add_u32 v33, v32, 3, v20
	v_mov_b32_e32 v32, v4
	ds_store_b8 v18, v30 offset:2048
	s_wait_loadcnt 0x0
	ds_store_b64 v33, v[34:35]
	s_branch .LBB153_12
.LBB153_17:                             ;   in Loop: Header=BB153_10 Depth=1
	s_or_b32 exec_lo, exec_lo, s21
.LBB153_18:                             ;   in Loop: Header=BB153_10 Depth=1
	s_delay_alu instid0(SALU_CYCLE_1)
	s_or_b32 exec_lo, exec_lo, s20
	ds_bpermute_b32 v4, v21, v32
	s_wait_dscnt 0x0
	ds_load_u8 v9, v18 offset:2048
	v_min_i32_e32 v4, v4, v32
	ds_bpermute_b32 v8, v22, v4
	s_wait_dscnt 0x0
	v_min_i32_e32 v4, v8, v4
	ds_bpermute_b32 v8, v23, v4
	v_and_b32_e32 v4, 1, v9
	s_delay_alu instid0(VALU_DEP_1)
	v_cmp_eq_u32_e32 vcc_lo, 1, v4
	v_mov_b32_e32 v4, 0
	s_and_saveexec_b32 s0, vcc_lo
	s_cbranch_execz .LBB153_9
; %bb.19:                               ;   in Loop: Header=BB153_10 Depth=1
	v_add_nc_u32_e32 v3, s17, v3
	global_store_b32 v2, v3, s[2:3] scale_offset
	s_wait_xcnt 0x0
	s_and_saveexec_b32 s20, s4
	s_cbranch_execz .LBB153_8
; %bb.20:                               ;   in Loop: Header=BB153_10 Depth=1
	v_ashrrev_i32_e32 v3, 31, v2
	ds_load_b64 v[16:17], v24
	s_and_b32 vcc_lo, exec_lo, s18
	v_mul_u64_e32 v[14:15], s[14:15], v[2:3]
	s_cbranch_vccz .LBB153_22
; %bb.21:                               ;   in Loop: Header=BB153_10 Depth=1
	s_delay_alu instid0(VALU_DEP_1)
	v_lshl_add_u64 v[32:33], v[14:15], 3, v[6:7]
	s_wait_dscnt 0x0
	global_store_b64 v[32:33], v[16:17], off
	s_cbranch_execnz .LBB153_8
	s_branch .LBB153_23
.LBB153_22:                             ;   in Loop: Header=BB153_10 Depth=1
.LBB153_23:                             ;   in Loop: Header=BB153_10 Depth=1
	s_delay_alu instid0(VALU_DEP_1)
	v_lshl_add_u64 v[14:15], v[14:15], 3, v[10:11]
	s_wait_dscnt 0x0
	global_store_b64 v[14:15], v[16:17], off
	s_branch .LBB153_8
.LBB153_24:
	s_endpgm
	.section	.rodata,"a",@progbits
	.p2align	6, 0x0
	.amdhsa_kernel _ZN9rocsparseL44csr2gebsr_wavefront_per_row_multipass_kernelILi256ELi16ELi4ELi64E21rocsparse_complex_numIfEEEv20rocsparse_direction_iiiiii21rocsparse_index_base_PKT3_PKiS9_S4_PS5_PiSB_
		.amdhsa_group_segment_fixed_size 2052
		.amdhsa_private_segment_fixed_size 0
		.amdhsa_kernarg_size 88
		.amdhsa_user_sgpr_count 2
		.amdhsa_user_sgpr_dispatch_ptr 0
		.amdhsa_user_sgpr_queue_ptr 0
		.amdhsa_user_sgpr_kernarg_segment_ptr 1
		.amdhsa_user_sgpr_dispatch_id 0
		.amdhsa_user_sgpr_kernarg_preload_length 0
		.amdhsa_user_sgpr_kernarg_preload_offset 0
		.amdhsa_user_sgpr_private_segment_size 0
		.amdhsa_wavefront_size32 1
		.amdhsa_uses_dynamic_stack 0
		.amdhsa_enable_private_segment 0
		.amdhsa_system_sgpr_workgroup_id_x 1
		.amdhsa_system_sgpr_workgroup_id_y 0
		.amdhsa_system_sgpr_workgroup_id_z 0
		.amdhsa_system_sgpr_workgroup_info 0
		.amdhsa_system_vgpr_workitem_id 0
		.amdhsa_next_free_vgpr 37
		.amdhsa_next_free_sgpr 23
		.amdhsa_named_barrier_count 0
		.amdhsa_reserve_vcc 1
		.amdhsa_float_round_mode_32 0
		.amdhsa_float_round_mode_16_64 0
		.amdhsa_float_denorm_mode_32 3
		.amdhsa_float_denorm_mode_16_64 3
		.amdhsa_fp16_overflow 0
		.amdhsa_memory_ordered 1
		.amdhsa_forward_progress 1
		.amdhsa_inst_pref_size 12
		.amdhsa_round_robin_scheduling 0
		.amdhsa_exception_fp_ieee_invalid_op 0
		.amdhsa_exception_fp_denorm_src 0
		.amdhsa_exception_fp_ieee_div_zero 0
		.amdhsa_exception_fp_ieee_overflow 0
		.amdhsa_exception_fp_ieee_underflow 0
		.amdhsa_exception_fp_ieee_inexact 0
		.amdhsa_exception_int_div_zero 0
	.end_amdhsa_kernel
	.section	.text._ZN9rocsparseL44csr2gebsr_wavefront_per_row_multipass_kernelILi256ELi16ELi4ELi64E21rocsparse_complex_numIfEEEv20rocsparse_direction_iiiiii21rocsparse_index_base_PKT3_PKiS9_S4_PS5_PiSB_,"axG",@progbits,_ZN9rocsparseL44csr2gebsr_wavefront_per_row_multipass_kernelILi256ELi16ELi4ELi64E21rocsparse_complex_numIfEEEv20rocsparse_direction_iiiiii21rocsparse_index_base_PKT3_PKiS9_S4_PS5_PiSB_,comdat
.Lfunc_end153:
	.size	_ZN9rocsparseL44csr2gebsr_wavefront_per_row_multipass_kernelILi256ELi16ELi4ELi64E21rocsparse_complex_numIfEEEv20rocsparse_direction_iiiiii21rocsparse_index_base_PKT3_PKiS9_S4_PS5_PiSB_, .Lfunc_end153-_ZN9rocsparseL44csr2gebsr_wavefront_per_row_multipass_kernelILi256ELi16ELi4ELi64E21rocsparse_complex_numIfEEEv20rocsparse_direction_iiiiii21rocsparse_index_base_PKT3_PKiS9_S4_PS5_PiSB_
                                        ; -- End function
	.set _ZN9rocsparseL44csr2gebsr_wavefront_per_row_multipass_kernelILi256ELi16ELi4ELi64E21rocsparse_complex_numIfEEEv20rocsparse_direction_iiiiii21rocsparse_index_base_PKT3_PKiS9_S4_PS5_PiSB_.num_vgpr, 37
	.set _ZN9rocsparseL44csr2gebsr_wavefront_per_row_multipass_kernelILi256ELi16ELi4ELi64E21rocsparse_complex_numIfEEEv20rocsparse_direction_iiiiii21rocsparse_index_base_PKT3_PKiS9_S4_PS5_PiSB_.num_agpr, 0
	.set _ZN9rocsparseL44csr2gebsr_wavefront_per_row_multipass_kernelILi256ELi16ELi4ELi64E21rocsparse_complex_numIfEEEv20rocsparse_direction_iiiiii21rocsparse_index_base_PKT3_PKiS9_S4_PS5_PiSB_.numbered_sgpr, 23
	.set _ZN9rocsparseL44csr2gebsr_wavefront_per_row_multipass_kernelILi256ELi16ELi4ELi64E21rocsparse_complex_numIfEEEv20rocsparse_direction_iiiiii21rocsparse_index_base_PKT3_PKiS9_S4_PS5_PiSB_.num_named_barrier, 0
	.set _ZN9rocsparseL44csr2gebsr_wavefront_per_row_multipass_kernelILi256ELi16ELi4ELi64E21rocsparse_complex_numIfEEEv20rocsparse_direction_iiiiii21rocsparse_index_base_PKT3_PKiS9_S4_PS5_PiSB_.private_seg_size, 0
	.set _ZN9rocsparseL44csr2gebsr_wavefront_per_row_multipass_kernelILi256ELi16ELi4ELi64E21rocsparse_complex_numIfEEEv20rocsparse_direction_iiiiii21rocsparse_index_base_PKT3_PKiS9_S4_PS5_PiSB_.uses_vcc, 1
	.set _ZN9rocsparseL44csr2gebsr_wavefront_per_row_multipass_kernelILi256ELi16ELi4ELi64E21rocsparse_complex_numIfEEEv20rocsparse_direction_iiiiii21rocsparse_index_base_PKT3_PKiS9_S4_PS5_PiSB_.uses_flat_scratch, 0
	.set _ZN9rocsparseL44csr2gebsr_wavefront_per_row_multipass_kernelILi256ELi16ELi4ELi64E21rocsparse_complex_numIfEEEv20rocsparse_direction_iiiiii21rocsparse_index_base_PKT3_PKiS9_S4_PS5_PiSB_.has_dyn_sized_stack, 0
	.set _ZN9rocsparseL44csr2gebsr_wavefront_per_row_multipass_kernelILi256ELi16ELi4ELi64E21rocsparse_complex_numIfEEEv20rocsparse_direction_iiiiii21rocsparse_index_base_PKT3_PKiS9_S4_PS5_PiSB_.has_recursion, 0
	.set _ZN9rocsparseL44csr2gebsr_wavefront_per_row_multipass_kernelILi256ELi16ELi4ELi64E21rocsparse_complex_numIfEEEv20rocsparse_direction_iiiiii21rocsparse_index_base_PKT3_PKiS9_S4_PS5_PiSB_.has_indirect_call, 0
	.section	.AMDGPU.csdata,"",@progbits
; Kernel info:
; codeLenInByte = 1468
; TotalNumSgprs: 25
; NumVgprs: 37
; ScratchSize: 0
; MemoryBound: 0
; FloatMode: 240
; IeeeMode: 1
; LDSByteSize: 2052 bytes/workgroup (compile time only)
; SGPRBlocks: 0
; VGPRBlocks: 2
; NumSGPRsForWavesPerEU: 25
; NumVGPRsForWavesPerEU: 37
; NamedBarCnt: 0
; Occupancy: 16
; WaveLimiterHint : 0
; COMPUTE_PGM_RSRC2:SCRATCH_EN: 0
; COMPUTE_PGM_RSRC2:USER_SGPR: 2
; COMPUTE_PGM_RSRC2:TRAP_HANDLER: 0
; COMPUTE_PGM_RSRC2:TGID_X_EN: 1
; COMPUTE_PGM_RSRC2:TGID_Y_EN: 0
; COMPUTE_PGM_RSRC2:TGID_Z_EN: 0
; COMPUTE_PGM_RSRC2:TIDIG_COMP_CNT: 0
	.section	.text._ZN9rocsparseL44csr2gebsr_wavefront_per_row_multipass_kernelILi256ELi16ELi4ELi32E21rocsparse_complex_numIfEEEv20rocsparse_direction_iiiiii21rocsparse_index_base_PKT3_PKiS9_S4_PS5_PiSB_,"axG",@progbits,_ZN9rocsparseL44csr2gebsr_wavefront_per_row_multipass_kernelILi256ELi16ELi4ELi32E21rocsparse_complex_numIfEEEv20rocsparse_direction_iiiiii21rocsparse_index_base_PKT3_PKiS9_S4_PS5_PiSB_,comdat
	.globl	_ZN9rocsparseL44csr2gebsr_wavefront_per_row_multipass_kernelILi256ELi16ELi4ELi32E21rocsparse_complex_numIfEEEv20rocsparse_direction_iiiiii21rocsparse_index_base_PKT3_PKiS9_S4_PS5_PiSB_ ; -- Begin function _ZN9rocsparseL44csr2gebsr_wavefront_per_row_multipass_kernelILi256ELi16ELi4ELi32E21rocsparse_complex_numIfEEEv20rocsparse_direction_iiiiii21rocsparse_index_base_PKT3_PKiS9_S4_PS5_PiSB_
	.p2align	8
	.type	_ZN9rocsparseL44csr2gebsr_wavefront_per_row_multipass_kernelILi256ELi16ELi4ELi32E21rocsparse_complex_numIfEEEv20rocsparse_direction_iiiiii21rocsparse_index_base_PKT3_PKiS9_S4_PS5_PiSB_,@function
_ZN9rocsparseL44csr2gebsr_wavefront_per_row_multipass_kernelILi256ELi16ELi4ELi32E21rocsparse_complex_numIfEEEv20rocsparse_direction_iiiiii21rocsparse_index_base_PKT3_PKiS9_S4_PS5_PiSB_: ; @_ZN9rocsparseL44csr2gebsr_wavefront_per_row_multipass_kernelILi256ELi16ELi4ELi32E21rocsparse_complex_numIfEEEv20rocsparse_direction_iiiiii21rocsparse_index_base_PKT3_PKiS9_S4_PS5_PiSB_
; %bb.0:
	s_clause 0x1
	s_load_b128 s[4:7], s[0:1], 0xc
	s_load_b64 s[12:13], s[0:1], 0x0
	s_bfe_u32 s2, ttmp6, 0x4000c
	s_and_b32 s3, ttmp6, 15
	s_add_co_i32 s2, s2, 1
	s_getreg_b32 s8, hwreg(HW_REG_IB_STS2, 6, 4)
	s_mul_i32 s2, ttmp9, s2
	v_dual_lshrrev_b32 v20, 5, v0 :: v_dual_mov_b32 v2, 0
	s_add_co_i32 s3, s3, s2
	s_cmp_eq_u32 s8, 0
	v_bfe_u32 v3, v0, 1, 4
	s_cselect_b32 s2, ttmp9, s3
	s_clause 0x1
	s_load_b32 s18, s[0:1], 0x1c
	s_load_b64 s[8:9], s[0:1], 0x28
	v_lshl_or_b32 v1, s2, 3, v20
	v_mov_b32_e32 v18, 0
	s_wait_kmcnt 0x0
	s_delay_alu instid0(VALU_DEP_2) | instskip(SKIP_1) | instid1(VALU_DEP_2)
	v_mad_u32 v4, v1, s6, v3
	v_cmp_gt_i32_e32 vcc_lo, s6, v3
	v_cmp_gt_i32_e64 s2, s13, v4
	s_and_b32 s2, vcc_lo, s2
	s_delay_alu instid0(SALU_CYCLE_1)
	s_and_saveexec_b32 s3, s2
	s_cbranch_execz .LBB154_2
; %bb.1:
	global_load_b32 v5, v4, s[8:9] scale_offset
	s_wait_loadcnt 0x0
	v_subrev_nc_u32_e32 v18, s18, v5
.LBB154_2:
	s_or_b32 exec_lo, exec_lo, s3
	v_mov_b32_e32 v21, 0
	s_and_saveexec_b32 s3, s2
	s_cbranch_execz .LBB154_4
; %bb.3:
	global_load_b32 v4, v4, s[8:9] offset:4 scale_offset
	s_wait_loadcnt 0x0
	v_subrev_nc_u32_e32 v21, s18, v4
.LBB154_4:
	s_or_b32 exec_lo, exec_lo, s3
	s_load_b32 s19, s[0:1], 0x38
	s_mov_b32 s3, exec_lo
	v_cmpx_gt_i32_e64 s4, v1
	s_cbranch_execz .LBB154_6
; %bb.5:
	s_load_b64 s[8:9], s[0:1], 0x48
	s_wait_kmcnt 0x0
	global_load_b32 v1, v1, s[8:9] scale_offset
	s_wait_loadcnt 0x0
	v_subrev_nc_u32_e32 v2, s19, v1
.LBB154_6:
	s_or_b32 exec_lo, exec_lo, s3
	s_cmp_lt_i32 s5, 1
	s_cbranch_scc1 .LBB154_31
; %bb.7:
	v_mbcnt_lo_u32_b32 v10, -1, 0
	v_mul_lo_u32 v4, s7, v3
	s_clause 0x3
	s_load_b64 s[2:3], s[0:1], 0x50
	s_load_b64 s[20:21], s[0:1], 0x40
	;; [unrolled: 1-line block ×4, first 2 shown]
	s_cmp_lg_u32 s12, 0
	s_mov_b32 s13, 0
	v_xor_b32_e32 v1, 1, v10
	v_dual_lshlrev_b32 v0, 5, v3 :: v_dual_bitop2_b32 v22, 1, v0 bitop3:0x40
	v_xor_b32_e32 v11, 16, v10
	s_cselect_b32 s4, -1, 0
	s_wait_xcnt 0x0
	v_cmp_gt_i32_e64 s0, 32, v1
	s_mov_b32 s12, s6
	v_lshl_or_b32 v23, v20, 9, v0
	v_dual_ashrrev_i32 v5, 31, v4 :: v_dual_lshlrev_b32 v0, 3, v3
	v_cndmask_b32_e64 v1, v10, v1, s0
	v_cmp_gt_i32_e64 s0, 32, v11
	s_ashr_i32 s15, s7, 31
	s_mov_b32 s14, s7
	v_lshl_or_b32 v24, v10, 2, 4
	v_dual_lshlrev_b32 v25, 2, v1 :: v_dual_lshlrev_b32 v6, 3, v22
	v_mov_b32_e32 v1, 0
	s_wait_kmcnt 0x0
	v_lshl_add_u64 v[8:9], v[4:5], 3, s[20:21]
	s_mul_u64 s[16:17], s[14:15], s[12:13]
	v_dual_cndmask_b32 v3, v10, v11, s0 :: v_dual_bitop2_b32 v26, v23, v6 bitop3:0x54
	v_mov_b32_e32 v7, v1
	v_add_nc_u64_e32 v[4:5], s[20:21], v[0:1]
	s_abs_i32 s14, s7
	s_delay_alu instid0(VALU_DEP_3)
	v_dual_lshlrev_b32 v27, 2, v3 :: v_dual_bitop2_b32 v3, 4, v10 bitop3:0x14
	v_xor_b32_e32 v0, 8, v10
	s_cvt_f32_u32 s1, s14
	v_add_nc_u64_e32 v[6:7], v[8:9], v[6:7]
	v_mov_b64_e32 v[12:13], 0
	v_dual_mov_b32 v11, v1 :: v_dual_bitop2_b32 v32, -2, v22 bitop3:0x54
	v_cmp_gt_i32_e64 s0, 32, v0
	v_rcp_iflag_f32_e32 v9, s1
	v_dual_mov_b32 v33, 1 :: v_dual_mov_b32 v35, 0
	v_mov_b32_e32 v31, 0x7c
	s_delay_alu instid0(VALU_DEP_3) | instskip(SKIP_1) | instid1(VALU_DEP_2)
	v_dual_cndmask_b32 v0, v10, v0, s0 :: v_dual_bitop2_b32 v8, 2, v10 bitop3:0x14
	v_cmp_gt_i32_e64 s0, 32, v3
	v_dual_lshlrev_b32 v28, 2, v0 :: v_dual_bitop2_b32 v0, 2, v22 bitop3:0x54
	s_delay_alu instid0(VALU_DEP_2) | instskip(NEXT) | instid1(VALU_DEP_4)
	v_cndmask_b32_e64 v3, v10, v3, s0
	v_cmp_gt_i32_e64 s0, 32, v8
	s_delay_alu instid0(VALU_DEP_1)
	v_dual_lshlrev_b32 v29, 2, v3 :: v_dual_cndmask_b32 v10, v10, v8, s0
	v_mul_lo_u32 v8, v22, s6
	v_readfirstlane_b32 s0, v9
	v_mov_b32_e32 v9, v1
	v_cmp_gt_u32_e64 s1, s7, v0
	v_lshlrev_b32_e32 v30, 2, v10
	s_mul_f32 s12, s0, 0x4f7ffffe
	v_cmp_gt_u32_e64 s0, s7, v22
	s_and_b32 s1, vcc_lo, s1
	s_delay_alu instid0(SALU_CYCLE_1) | instskip(SKIP_2) | instid1(SALU_CYCLE_1)
	s_cvt_u32_f32 s12, s12
	v_lshl_add_u32 v10, s6, 1, v8
	s_sub_co_i32 s6, 0, s14
	s_mul_i32 s20, s6, s12
	s_and_b32 s6, s0, vcc_lo
	s_mul_hi_u32 s0, s12, s20
	s_mov_b32 s20, s13
	s_add_co_i32 s12, s12, s0
	s_branch .LBB154_10
.LBB154_8:                              ;   in Loop: Header=BB154_10 Depth=1
	s_wait_xcnt 0x0
	s_or_b32 exec_lo, exec_lo, s21
	v_mov_b32_e32 v0, 1
.LBB154_9:                              ;   in Loop: Header=BB154_10 Depth=1
	s_or_b32 exec_lo, exec_lo, s0
	ds_bpermute_b32 v3, v27, v34
	s_wait_storecnt_dscnt 0x0
	v_add_nc_u32_e32 v2, v0, v2
	v_min_i32_e32 v3, v3, v34
	ds_bpermute_b32 v14, v28, v3
	s_wait_dscnt 0x0
	v_min_i32_e32 v3, v14, v3
	ds_bpermute_b32 v14, v29, v3
	s_wait_dscnt 0x0
	;; [unrolled: 3-line block ×5, first 2 shown]
	v_cmp_le_i32_e32 vcc_lo, s5, v35
	s_or_b32 s20, vcc_lo, s20
	s_delay_alu instid0(SALU_CYCLE_1)
	s_and_not1_b32 exec_lo, exec_lo, s20
	s_cbranch_execz .LBB154_31
.LBB154_10:                             ; =>This Loop Header: Depth=1
                                        ;     Child Loop BB154_11 Depth 2
                                        ;     Child Loop BB154_15 Depth 2
	v_dual_mov_b32 v0, v26 :: v_dual_mov_b32 v3, v32
	s_mov_b32 s0, 0
	ds_store_b8 v20, v1 offset:4096
.LBB154_11:                             ;   Parent Loop BB154_10 Depth=1
                                        ; =>  This Inner Loop Header: Depth=2
	v_add_co_u32 v3, s21, v3, 2
	s_xor_b32 s21, s21, -1
	ds_store_b64 v0, v[12:13]
	v_add_nc_u32_e32 v0, 16, v0
	s_and_b32 s21, exec_lo, s21
	s_delay_alu instid0(SALU_CYCLE_1) | instskip(NEXT) | instid1(SALU_CYCLE_1)
	s_or_b32 s0, s21, s0
	s_and_not1_b32 exec_lo, exec_lo, s0
	s_cbranch_execnz .LBB154_11
; %bb.12:                               ;   in Loop: Header=BB154_10 Depth=1
	s_or_b32 exec_lo, exec_lo, s0
	v_dual_add_nc_u32 v14, v18, v22 :: v_dual_mov_b32 v34, s5
	v_mov_b32_e32 v15, v21
	s_mov_b32 s21, exec_lo
	s_wait_dscnt 0x0
	s_delay_alu instid0(VALU_DEP_2)
	v_cmpx_lt_i32_e64 v14, v21
	s_cbranch_execz .LBB154_20
; %bb.13:                               ;   in Loop: Header=BB154_10 Depth=1
	v_mul_lo_u32 v3, v35, s7
	v_dual_mov_b32 v34, s5 :: v_dual_ashrrev_i32 v15, 31, v14
	s_mov_b32 s22, 0
	s_delay_alu instid0(VALU_DEP_1)
	v_lshl_add_u64 v[16:17], v[14:15], 2, s[10:11]
	v_lshl_add_u64 v[18:19], v[14:15], 3, s[8:9]
	v_mov_b32_e32 v15, v21
	s_branch .LBB154_15
.LBB154_14:                             ;   in Loop: Header=BB154_15 Depth=2
	s_wait_xcnt 0x0
	s_or_b32 exec_lo, exec_lo, s0
	v_add_nc_u32_e32 v14, 2, v14
	s_xor_b32 s23, vcc_lo, -1
	v_add_nc_u64_e32 v[16:17], 8, v[16:17]
	v_add_nc_u64_e32 v[18:19], 16, v[18:19]
	s_delay_alu instid0(VALU_DEP_3) | instskip(SKIP_1) | instid1(SALU_CYCLE_1)
	v_cmp_ge_i32_e64 s0, v14, v21
	s_or_b32 s0, s23, s0
	s_and_b32 s0, exec_lo, s0
	s_delay_alu instid0(SALU_CYCLE_1) | instskip(NEXT) | instid1(SALU_CYCLE_1)
	s_or_b32 s22, s0, s22
	s_and_not1_b32 exec_lo, exec_lo, s22
	s_cbranch_execz .LBB154_19
.LBB154_15:                             ;   Parent Loop BB154_10 Depth=1
                                        ; =>  This Inner Loop Header: Depth=2
	global_load_b32 v0, v[16:17], off
	s_wait_loadcnt 0x0
	v_subrev_nc_u32_e32 v36, s18, v0
	s_delay_alu instid0(VALU_DEP_1) | instskip(NEXT) | instid1(VALU_DEP_1)
	v_sub_nc_u32_e32 v0, 0, v36
	v_max_i32_e32 v0, v36, v0
	s_delay_alu instid0(VALU_DEP_1) | instskip(NEXT) | instid1(VALU_DEP_1)
	v_mul_u64_e32 v[38:39], s[12:13], v[0:1]
	v_mul_lo_u32 v37, v39, s14
	s_delay_alu instid0(VALU_DEP_1) | instskip(NEXT) | instid1(VALU_DEP_1)
	v_dual_sub_nc_u32 v0, v0, v37 :: v_dual_add_nc_u32 v37, 1, v39
	v_cmp_le_u32_e32 vcc_lo, s14, v0
	s_delay_alu instid0(VALU_DEP_2) | instskip(SKIP_1) | instid1(VALU_DEP_1)
	v_dual_cndmask_b32 v37, v39, v37, vcc_lo :: v_dual_ashrrev_i32 v39, 31, v36
	v_subrev_nc_u32_e32 v38, s14, v0
	v_dual_cndmask_b32 v0, v0, v38, vcc_lo :: v_dual_add_nc_u32 v38, 1, v37
	s_delay_alu instid0(VALU_DEP_1) | instskip(NEXT) | instid1(VALU_DEP_2)
	v_cmp_le_u32_e32 vcc_lo, s14, v0
	v_dual_cndmask_b32 v0, v37, v38, vcc_lo :: v_dual_bitop2_b32 v39, s15, v39 bitop3:0x14
	s_delay_alu instid0(VALU_DEP_1) | instskip(NEXT) | instid1(VALU_DEP_1)
	v_xor_b32_e32 v0, v0, v39
	v_dual_mov_b32 v0, v15 :: v_dual_sub_nc_u32 v37, v0, v39
	s_delay_alu instid0(VALU_DEP_1) | instskip(SKIP_3) | instid1(SALU_CYCLE_1)
	v_cmp_ne_u32_e64 s0, v37, v35
	v_cmp_eq_u32_e32 vcc_lo, v37, v35
	s_wait_xcnt 0x0
	s_and_saveexec_b32 s23, s0
	s_xor_b32 s0, exec_lo, s23
; %bb.16:                               ;   in Loop: Header=BB154_15 Depth=2
	v_min_i32_e32 v34, v37, v34
                                        ; implicit-def: $vgpr36
                                        ; implicit-def: $vgpr0
; %bb.17:                               ;   in Loop: Header=BB154_15 Depth=2
	s_or_saveexec_b32 s0, s0
	v_mov_b32_e32 v15, v14
	s_xor_b32 exec_lo, exec_lo, s0
	s_cbranch_execz .LBB154_14
; %bb.18:                               ;   in Loop: Header=BB154_15 Depth=2
	global_load_b64 v[38:39], v[18:19], off
	v_sub_nc_u32_e32 v15, v36, v3
	s_delay_alu instid0(VALU_DEP_1)
	v_lshl_add_u32 v36, v15, 3, v23
	v_mov_b32_e32 v15, v0
	ds_store_b8 v20, v33 offset:4096
	s_wait_loadcnt 0x0
	ds_store_b64 v36, v[38:39]
	s_branch .LBB154_14
.LBB154_19:                             ;   in Loop: Header=BB154_10 Depth=1
	s_or_b32 exec_lo, exec_lo, s22
.LBB154_20:                             ;   in Loop: Header=BB154_10 Depth=1
	s_delay_alu instid0(SALU_CYCLE_1)
	s_or_b32 exec_lo, exec_lo, s21
	ds_bpermute_b32 v0, v25, v15
	s_wait_dscnt 0x0
	ds_load_u8 v3, v20 offset:4096
	v_min_i32_e32 v0, v0, v15
	ds_bpermute_b32 v18, v24, v0
	s_wait_dscnt 0x1
	v_and_b32_e32 v0, 1, v3
	s_delay_alu instid0(VALU_DEP_1)
	v_cmp_eq_u32_e32 vcc_lo, 1, v0
	v_mov_b32_e32 v0, 0
	s_and_saveexec_b32 s0, vcc_lo
	s_cbranch_execz .LBB154_9
; %bb.21:                               ;   in Loop: Header=BB154_10 Depth=1
	v_dual_ashrrev_i32 v3, 31, v2 :: v_dual_add_nc_u32 v0, s19, v35
	s_delay_alu instid0(VALU_DEP_1) | instskip(SKIP_2) | instid1(VALU_DEP_1)
	v_mul_u64_e32 v[14:15], s[16:17], v[2:3]
	global_store_b32 v2, v0, s[2:3] scale_offset
	v_lshlrev_b64_e32 v[14:15], 3, v[14:15]
	v_add_nc_u64_e32 v[16:17], v[4:5], v[14:15]
	v_add_nc_u64_e32 v[14:15], v[6:7], v[14:15]
	s_wait_xcnt 0x0
	s_and_saveexec_b32 s21, s6
	s_cbranch_execz .LBB154_25
; %bb.22:                               ;   in Loop: Header=BB154_10 Depth=1
	s_and_b32 vcc_lo, exec_lo, s4
	s_cbranch_vccz .LBB154_28
; %bb.23:                               ;   in Loop: Header=BB154_10 Depth=1
	ds_load_b64 v[36:37], v26
	v_lshl_add_u64 v[38:39], v[8:9], 3, v[16:17]
	s_wait_dscnt 0x0
	global_store_b64 v[38:39], v[36:37], off
	s_cbranch_execnz .LBB154_25
.LBB154_24:                             ;   in Loop: Header=BB154_10 Depth=1
	s_wait_xcnt 0x0
	ds_load_b64 v[36:37], v26
	s_wait_dscnt 0x0
	global_store_b64 v[14:15], v[36:37], off
.LBB154_25:                             ;   in Loop: Header=BB154_10 Depth=1
	s_wait_xcnt 0x0
	s_or_b32 exec_lo, exec_lo, s21
	s_and_saveexec_b32 s21, s1
	s_cbranch_execz .LBB154_8
; %bb.26:                               ;   in Loop: Header=BB154_10 Depth=1
	s_and_not1_b32 vcc_lo, exec_lo, s4
	s_cbranch_vccnz .LBB154_29
; %bb.27:                               ;   in Loop: Header=BB154_10 Depth=1
	ds_load_b64 v[36:37], v26 offset:16
	v_lshl_add_u64 v[16:17], v[10:11], 3, v[16:17]
	s_wait_dscnt 0x0
	global_store_b64 v[16:17], v[36:37], off
	s_cbranch_execnz .LBB154_8
	s_branch .LBB154_30
.LBB154_28:                             ;   in Loop: Header=BB154_10 Depth=1
	s_branch .LBB154_24
.LBB154_29:                             ;   in Loop: Header=BB154_10 Depth=1
.LBB154_30:                             ;   in Loop: Header=BB154_10 Depth=1
	s_wait_xcnt 0x0
	ds_load_b64 v[16:17], v26 offset:16
	s_wait_dscnt 0x0
	global_store_b64 v[14:15], v[16:17], off offset:16
	s_branch .LBB154_8
.LBB154_31:
	s_endpgm
	.section	.rodata,"a",@progbits
	.p2align	6, 0x0
	.amdhsa_kernel _ZN9rocsparseL44csr2gebsr_wavefront_per_row_multipass_kernelILi256ELi16ELi4ELi32E21rocsparse_complex_numIfEEEv20rocsparse_direction_iiiiii21rocsparse_index_base_PKT3_PKiS9_S4_PS5_PiSB_
		.amdhsa_group_segment_fixed_size 4104
		.amdhsa_private_segment_fixed_size 0
		.amdhsa_kernarg_size 88
		.amdhsa_user_sgpr_count 2
		.amdhsa_user_sgpr_dispatch_ptr 0
		.amdhsa_user_sgpr_queue_ptr 0
		.amdhsa_user_sgpr_kernarg_segment_ptr 1
		.amdhsa_user_sgpr_dispatch_id 0
		.amdhsa_user_sgpr_kernarg_preload_length 0
		.amdhsa_user_sgpr_kernarg_preload_offset 0
		.amdhsa_user_sgpr_private_segment_size 0
		.amdhsa_wavefront_size32 1
		.amdhsa_uses_dynamic_stack 0
		.amdhsa_enable_private_segment 0
		.amdhsa_system_sgpr_workgroup_id_x 1
		.amdhsa_system_sgpr_workgroup_id_y 0
		.amdhsa_system_sgpr_workgroup_id_z 0
		.amdhsa_system_sgpr_workgroup_info 0
		.amdhsa_system_vgpr_workitem_id 0
		.amdhsa_next_free_vgpr 40
		.amdhsa_next_free_sgpr 24
		.amdhsa_named_barrier_count 0
		.amdhsa_reserve_vcc 1
		.amdhsa_float_round_mode_32 0
		.amdhsa_float_round_mode_16_64 0
		.amdhsa_float_denorm_mode_32 3
		.amdhsa_float_denorm_mode_16_64 3
		.amdhsa_fp16_overflow 0
		.amdhsa_memory_ordered 1
		.amdhsa_forward_progress 1
		.amdhsa_inst_pref_size 13
		.amdhsa_round_robin_scheduling 0
		.amdhsa_exception_fp_ieee_invalid_op 0
		.amdhsa_exception_fp_denorm_src 0
		.amdhsa_exception_fp_ieee_div_zero 0
		.amdhsa_exception_fp_ieee_overflow 0
		.amdhsa_exception_fp_ieee_underflow 0
		.amdhsa_exception_fp_ieee_inexact 0
		.amdhsa_exception_int_div_zero 0
	.end_amdhsa_kernel
	.section	.text._ZN9rocsparseL44csr2gebsr_wavefront_per_row_multipass_kernelILi256ELi16ELi4ELi32E21rocsparse_complex_numIfEEEv20rocsparse_direction_iiiiii21rocsparse_index_base_PKT3_PKiS9_S4_PS5_PiSB_,"axG",@progbits,_ZN9rocsparseL44csr2gebsr_wavefront_per_row_multipass_kernelILi256ELi16ELi4ELi32E21rocsparse_complex_numIfEEEv20rocsparse_direction_iiiiii21rocsparse_index_base_PKT3_PKiS9_S4_PS5_PiSB_,comdat
.Lfunc_end154:
	.size	_ZN9rocsparseL44csr2gebsr_wavefront_per_row_multipass_kernelILi256ELi16ELi4ELi32E21rocsparse_complex_numIfEEEv20rocsparse_direction_iiiiii21rocsparse_index_base_PKT3_PKiS9_S4_PS5_PiSB_, .Lfunc_end154-_ZN9rocsparseL44csr2gebsr_wavefront_per_row_multipass_kernelILi256ELi16ELi4ELi32E21rocsparse_complex_numIfEEEv20rocsparse_direction_iiiiii21rocsparse_index_base_PKT3_PKiS9_S4_PS5_PiSB_
                                        ; -- End function
	.set _ZN9rocsparseL44csr2gebsr_wavefront_per_row_multipass_kernelILi256ELi16ELi4ELi32E21rocsparse_complex_numIfEEEv20rocsparse_direction_iiiiii21rocsparse_index_base_PKT3_PKiS9_S4_PS5_PiSB_.num_vgpr, 40
	.set _ZN9rocsparseL44csr2gebsr_wavefront_per_row_multipass_kernelILi256ELi16ELi4ELi32E21rocsparse_complex_numIfEEEv20rocsparse_direction_iiiiii21rocsparse_index_base_PKT3_PKiS9_S4_PS5_PiSB_.num_agpr, 0
	.set _ZN9rocsparseL44csr2gebsr_wavefront_per_row_multipass_kernelILi256ELi16ELi4ELi32E21rocsparse_complex_numIfEEEv20rocsparse_direction_iiiiii21rocsparse_index_base_PKT3_PKiS9_S4_PS5_PiSB_.numbered_sgpr, 24
	.set _ZN9rocsparseL44csr2gebsr_wavefront_per_row_multipass_kernelILi256ELi16ELi4ELi32E21rocsparse_complex_numIfEEEv20rocsparse_direction_iiiiii21rocsparse_index_base_PKT3_PKiS9_S4_PS5_PiSB_.num_named_barrier, 0
	.set _ZN9rocsparseL44csr2gebsr_wavefront_per_row_multipass_kernelILi256ELi16ELi4ELi32E21rocsparse_complex_numIfEEEv20rocsparse_direction_iiiiii21rocsparse_index_base_PKT3_PKiS9_S4_PS5_PiSB_.private_seg_size, 0
	.set _ZN9rocsparseL44csr2gebsr_wavefront_per_row_multipass_kernelILi256ELi16ELi4ELi32E21rocsparse_complex_numIfEEEv20rocsparse_direction_iiiiii21rocsparse_index_base_PKT3_PKiS9_S4_PS5_PiSB_.uses_vcc, 1
	.set _ZN9rocsparseL44csr2gebsr_wavefront_per_row_multipass_kernelILi256ELi16ELi4ELi32E21rocsparse_complex_numIfEEEv20rocsparse_direction_iiiiii21rocsparse_index_base_PKT3_PKiS9_S4_PS5_PiSB_.uses_flat_scratch, 0
	.set _ZN9rocsparseL44csr2gebsr_wavefront_per_row_multipass_kernelILi256ELi16ELi4ELi32E21rocsparse_complex_numIfEEEv20rocsparse_direction_iiiiii21rocsparse_index_base_PKT3_PKiS9_S4_PS5_PiSB_.has_dyn_sized_stack, 0
	.set _ZN9rocsparseL44csr2gebsr_wavefront_per_row_multipass_kernelILi256ELi16ELi4ELi32E21rocsparse_complex_numIfEEEv20rocsparse_direction_iiiiii21rocsparse_index_base_PKT3_PKiS9_S4_PS5_PiSB_.has_recursion, 0
	.set _ZN9rocsparseL44csr2gebsr_wavefront_per_row_multipass_kernelILi256ELi16ELi4ELi32E21rocsparse_complex_numIfEEEv20rocsparse_direction_iiiiii21rocsparse_index_base_PKT3_PKiS9_S4_PS5_PiSB_.has_indirect_call, 0
	.section	.AMDGPU.csdata,"",@progbits
; Kernel info:
; codeLenInByte = 1620
; TotalNumSgprs: 26
; NumVgprs: 40
; ScratchSize: 0
; MemoryBound: 0
; FloatMode: 240
; IeeeMode: 1
; LDSByteSize: 4104 bytes/workgroup (compile time only)
; SGPRBlocks: 0
; VGPRBlocks: 2
; NumSGPRsForWavesPerEU: 26
; NumVGPRsForWavesPerEU: 40
; NamedBarCnt: 0
; Occupancy: 16
; WaveLimiterHint : 0
; COMPUTE_PGM_RSRC2:SCRATCH_EN: 0
; COMPUTE_PGM_RSRC2:USER_SGPR: 2
; COMPUTE_PGM_RSRC2:TRAP_HANDLER: 0
; COMPUTE_PGM_RSRC2:TGID_X_EN: 1
; COMPUTE_PGM_RSRC2:TGID_Y_EN: 0
; COMPUTE_PGM_RSRC2:TGID_Z_EN: 0
; COMPUTE_PGM_RSRC2:TIDIG_COMP_CNT: 0
	.section	.text._ZN9rocsparseL44csr2gebsr_wavefront_per_row_multipass_kernelILi256ELi16ELi8ELi64E21rocsparse_complex_numIfEEEv20rocsparse_direction_iiiiii21rocsparse_index_base_PKT3_PKiS9_S4_PS5_PiSB_,"axG",@progbits,_ZN9rocsparseL44csr2gebsr_wavefront_per_row_multipass_kernelILi256ELi16ELi8ELi64E21rocsparse_complex_numIfEEEv20rocsparse_direction_iiiiii21rocsparse_index_base_PKT3_PKiS9_S4_PS5_PiSB_,comdat
	.globl	_ZN9rocsparseL44csr2gebsr_wavefront_per_row_multipass_kernelILi256ELi16ELi8ELi64E21rocsparse_complex_numIfEEEv20rocsparse_direction_iiiiii21rocsparse_index_base_PKT3_PKiS9_S4_PS5_PiSB_ ; -- Begin function _ZN9rocsparseL44csr2gebsr_wavefront_per_row_multipass_kernelILi256ELi16ELi8ELi64E21rocsparse_complex_numIfEEEv20rocsparse_direction_iiiiii21rocsparse_index_base_PKT3_PKiS9_S4_PS5_PiSB_
	.p2align	8
	.type	_ZN9rocsparseL44csr2gebsr_wavefront_per_row_multipass_kernelILi256ELi16ELi8ELi64E21rocsparse_complex_numIfEEEv20rocsparse_direction_iiiiii21rocsparse_index_base_PKT3_PKiS9_S4_PS5_PiSB_,@function
_ZN9rocsparseL44csr2gebsr_wavefront_per_row_multipass_kernelILi256ELi16ELi8ELi64E21rocsparse_complex_numIfEEEv20rocsparse_direction_iiiiii21rocsparse_index_base_PKT3_PKiS9_S4_PS5_PiSB_: ; @_ZN9rocsparseL44csr2gebsr_wavefront_per_row_multipass_kernelILi256ELi16ELi8ELi64E21rocsparse_complex_numIfEEEv20rocsparse_direction_iiiiii21rocsparse_index_base_PKT3_PKiS9_S4_PS5_PiSB_
; %bb.0:
	s_clause 0x1
	s_load_b128 s[4:7], s[0:1], 0xc
	s_load_b64 s[12:13], s[0:1], 0x0
	s_bfe_u32 s2, ttmp6, 0x4000c
	s_and_b32 s3, ttmp6, 15
	s_add_co_i32 s2, s2, 1
	s_getreg_b32 s8, hwreg(HW_REG_IB_STS2, 6, 4)
	s_mul_i32 s2, ttmp9, s2
	v_dual_lshrrev_b32 v20, 6, v0 :: v_dual_mov_b32 v2, 0
	s_add_co_i32 s3, s3, s2
	s_cmp_eq_u32 s8, 0
	v_bfe_u32 v3, v0, 2, 4
	s_cselect_b32 s2, ttmp9, s3
	s_clause 0x1
	s_load_b32 s18, s[0:1], 0x1c
	s_load_b64 s[8:9], s[0:1], 0x28
	v_lshl_or_b32 v1, s2, 2, v20
	v_mov_b32_e32 v18, 0
	s_wait_kmcnt 0x0
	s_delay_alu instid0(VALU_DEP_2) | instskip(SKIP_1) | instid1(VALU_DEP_2)
	v_mad_u32 v4, v1, s6, v3
	v_cmp_gt_i32_e32 vcc_lo, s6, v3
	v_cmp_gt_i32_e64 s2, s13, v4
	s_and_b32 s2, vcc_lo, s2
	s_delay_alu instid0(SALU_CYCLE_1)
	s_and_saveexec_b32 s3, s2
	s_cbranch_execz .LBB155_2
; %bb.1:
	global_load_b32 v5, v4, s[8:9] scale_offset
	s_wait_loadcnt 0x0
	v_subrev_nc_u32_e32 v18, s18, v5
.LBB155_2:
	s_or_b32 exec_lo, exec_lo, s3
	v_mov_b32_e32 v21, 0
	s_and_saveexec_b32 s3, s2
	s_cbranch_execz .LBB155_4
; %bb.3:
	global_load_b32 v4, v4, s[8:9] offset:4 scale_offset
	s_wait_loadcnt 0x0
	v_subrev_nc_u32_e32 v21, s18, v4
.LBB155_4:
	s_or_b32 exec_lo, exec_lo, s3
	s_load_b32 s19, s[0:1], 0x38
	s_mov_b32 s3, exec_lo
	v_cmpx_gt_i32_e64 s4, v1
	s_cbranch_execz .LBB155_6
; %bb.5:
	s_load_b64 s[8:9], s[0:1], 0x48
	s_wait_kmcnt 0x0
	global_load_b32 v1, v1, s[8:9] scale_offset
	s_wait_loadcnt 0x0
	v_subrev_nc_u32_e32 v2, s19, v1
.LBB155_6:
	s_or_b32 exec_lo, exec_lo, s3
	s_cmp_lt_i32 s5, 1
	s_cbranch_scc1 .LBB155_31
; %bb.7:
	v_mbcnt_lo_u32_b32 v10, -1, 0
	s_clause 0x3
	s_load_b64 s[2:3], s[0:1], 0x50
	s_load_b64 s[20:21], s[0:1], 0x40
	;; [unrolled: 1-line block ×4, first 2 shown]
	v_and_b32_e32 v22, 3, v0
	s_cmp_lg_u32 s12, 0
	s_mov_b32 s13, 0
	v_dual_lshlrev_b32 v0, 6, v3 :: v_dual_bitop2_b32 v1, 2, v10 bitop3:0x14
	s_cselect_b32 s4, -1, 0
	s_mov_b32 s12, s6
	s_ashr_i32 s15, s7, 31
	s_wait_xcnt 0x0
	v_cmp_gt_i32_e64 s0, 32, v1
	v_xor_b32_e32 v4, 1, v10
	v_lshl_or_b32 v23, v20, 10, v0
	s_mov_b32 s14, s7
	v_lshl_or_b32 v26, v10, 2, 12
	v_cndmask_b32_e64 v1, v10, v1, s0
	v_cmp_gt_i32_e64 s0, 32, v4
	s_mul_u64 s[16:17], s[14:15], s[12:13]
	s_abs_i32 s14, s7
	v_mov_b64_e32 v[12:13], 0
	v_dual_lshlrev_b32 v24, 2, v1 :: v_dual_cndmask_b32 v5, v10, v4, s0
	v_lshlrev_b32_e32 v6, 3, v22
	v_mul_lo_u32 v4, s7, v3
	v_dual_mov_b32 v1, 0 :: v_dual_bitop2_b32 v11, 32, v10 bitop3:0x54
	s_delay_alu instid0(VALU_DEP_4) | instskip(SKIP_1) | instid1(VALU_DEP_2)
	v_dual_lshlrev_b32 v25, 2, v5 :: v_dual_lshlrev_b32 v0, 3, v3
	s_cvt_f32_u32 s1, s14
	v_mov_b32_e32 v7, v1
	s_delay_alu instid0(VALU_DEP_3) | instskip(SKIP_3) | instid1(VALU_DEP_4)
	v_cmp_gt_i32_e64 s0, 32, v11
	v_or_b32_e32 v27, v23, v6
	v_bfrev_b32_e32 v32, 0.5
	v_dual_ashrrev_i32 v5, 31, v4 :: v_dual_bitop2_b32 v33, -4, v22 bitop3:0x54
	v_dual_cndmask_b32 v3, v10, v11, s0 :: v_dual_mov_b32 v11, v1
	v_dual_mov_b32 v34, 1 :: v_dual_mov_b32 v36, 0
	s_wait_kmcnt 0x0
	s_delay_alu instid0(VALU_DEP_3) | instskip(SKIP_2) | instid1(VALU_DEP_3)
	v_lshl_add_u64 v[8:9], v[4:5], 3, s[20:21]
	v_add_nc_u64_e32 v[4:5], s[20:21], v[0:1]
	v_dual_lshlrev_b32 v28, 2, v3 :: v_dual_bitop2_b32 v0, 16, v10 bitop3:0x14
	v_add_nc_u64_e32 v[6:7], v[8:9], v[6:7]
	v_rcp_iflag_f32_e32 v9, s1
	s_delay_alu instid0(VALU_DEP_2) | instskip(NEXT) | instid1(VALU_DEP_1)
	v_cmp_gt_i32_e64 s0, 32, v0
	v_dual_cndmask_b32 v0, v10, v0, s0 :: v_dual_bitop2_b32 v3, 8, v10 bitop3:0x14
	s_delay_alu instid0(VALU_DEP_1) | instskip(NEXT) | instid1(VALU_DEP_1)
	v_cmp_gt_i32_e64 s0, 32, v3
	v_dual_cndmask_b32 v3, v10, v3, s0 :: v_dual_bitop2_b32 v8, 4, v10 bitop3:0x14
	s_delay_alu instid0(VALU_DEP_1) | instskip(NEXT) | instid1(VALU_DEP_1)
	v_cmp_gt_i32_e64 s0, 32, v8
	v_dual_lshlrev_b32 v30, 2, v3 :: v_dual_cndmask_b32 v10, v10, v8, s0
	v_mul_lo_u32 v8, v22, s6
	v_readfirstlane_b32 s0, v9
	v_dual_lshlrev_b32 v29, 2, v0 :: v_dual_bitop2_b32 v0, 4, v22 bitop3:0x54
	s_delay_alu instid0(VALU_DEP_4) | instskip(SKIP_2) | instid1(VALU_DEP_3)
	v_dual_mov_b32 v9, v1 :: v_dual_lshlrev_b32 v31, 2, v10
	s_mul_f32 s12, s0, 0x4f7ffffe
	v_cmp_gt_u32_e64 s0, s7, v22
	v_cmp_gt_u32_e64 s1, s7, v0
	s_delay_alu instid0(SALU_CYCLE_1)
	s_cvt_u32_f32 s12, s12
	v_lshl_add_u32 v10, s6, 2, v8
	s_sub_co_i32 s6, 0, s14
	s_and_b32 s1, vcc_lo, s1
	s_mul_i32 s20, s6, s12
	s_and_b32 s6, s0, vcc_lo
	s_mul_hi_u32 s0, s12, s20
	s_mov_b32 s20, s13
	s_add_co_i32 s12, s12, s0
	s_branch .LBB155_10
.LBB155_8:                              ;   in Loop: Header=BB155_10 Depth=1
	s_wait_xcnt 0x0
	s_or_b32 exec_lo, exec_lo, s21
	v_mov_b32_e32 v0, 1
.LBB155_9:                              ;   in Loop: Header=BB155_10 Depth=1
	s_or_b32 exec_lo, exec_lo, s0
	ds_bpermute_b32 v3, v28, v35
	s_wait_storecnt_dscnt 0x0
	v_dual_add_nc_u32 v2, v0, v2 :: v_dual_min_i32 v3, v3, v35
	ds_bpermute_b32 v14, v29, v3
	s_wait_dscnt 0x0
	v_min_i32_e32 v3, v14, v3
	ds_bpermute_b32 v14, v30, v3
	s_wait_dscnt 0x0
	v_min_i32_e32 v3, v14, v3
	;; [unrolled: 3-line block ×5, first 2 shown]
	ds_bpermute_b32 v36, v32, v3
	s_wait_dscnt 0x0
	v_cmp_le_i32_e32 vcc_lo, s5, v36
	s_or_b32 s20, vcc_lo, s20
	s_delay_alu instid0(SALU_CYCLE_1)
	s_and_not1_b32 exec_lo, exec_lo, s20
	s_cbranch_execz .LBB155_31
.LBB155_10:                             ; =>This Loop Header: Depth=1
                                        ;     Child Loop BB155_11 Depth 2
                                        ;     Child Loop BB155_15 Depth 2
	v_dual_mov_b32 v0, v27 :: v_dual_mov_b32 v3, v33
	s_mov_b32 s0, 0
	ds_store_b8 v20, v1 offset:4096
.LBB155_11:                             ;   Parent Loop BB155_10 Depth=1
                                        ; =>  This Inner Loop Header: Depth=2
	v_add_co_u32 v3, s21, v3, 4
	s_xor_b32 s21, s21, -1
	ds_store_b64 v0, v[12:13]
	v_add_nc_u32_e32 v0, 32, v0
	s_and_b32 s21, exec_lo, s21
	s_delay_alu instid0(SALU_CYCLE_1) | instskip(NEXT) | instid1(SALU_CYCLE_1)
	s_or_b32 s0, s21, s0
	s_and_not1_b32 exec_lo, exec_lo, s0
	s_cbranch_execnz .LBB155_11
; %bb.12:                               ;   in Loop: Header=BB155_10 Depth=1
	s_or_b32 exec_lo, exec_lo, s0
	v_dual_mov_b32 v35, s5 :: v_dual_add_nc_u32 v14, v18, v22
	v_mov_b32_e32 v15, v21
	s_mov_b32 s21, exec_lo
	s_wait_dscnt 0x0
	s_delay_alu instid0(VALU_DEP_2)
	v_cmpx_lt_i32_e64 v14, v21
	s_cbranch_execz .LBB155_20
; %bb.13:                               ;   in Loop: Header=BB155_10 Depth=1
	v_mul_lo_u32 v3, v36, s7
	v_dual_ashrrev_i32 v15, 31, v14 :: v_dual_mov_b32 v35, s5
	s_mov_b32 s22, 0
	s_delay_alu instid0(VALU_DEP_1)
	v_lshl_add_u64 v[16:17], v[14:15], 2, s[10:11]
	v_lshl_add_u64 v[18:19], v[14:15], 3, s[8:9]
	v_mov_b32_e32 v15, v21
	s_branch .LBB155_15
.LBB155_14:                             ;   in Loop: Header=BB155_15 Depth=2
	s_wait_xcnt 0x0
	s_or_b32 exec_lo, exec_lo, s0
	v_add_nc_u32_e32 v14, 4, v14
	s_xor_b32 s23, vcc_lo, -1
	v_add_nc_u64_e32 v[16:17], 16, v[16:17]
	v_add_nc_u64_e32 v[18:19], 32, v[18:19]
	s_delay_alu instid0(VALU_DEP_3) | instskip(SKIP_1) | instid1(SALU_CYCLE_1)
	v_cmp_ge_i32_e64 s0, v14, v21
	s_or_b32 s0, s23, s0
	s_and_b32 s0, exec_lo, s0
	s_delay_alu instid0(SALU_CYCLE_1) | instskip(NEXT) | instid1(SALU_CYCLE_1)
	s_or_b32 s22, s0, s22
	s_and_not1_b32 exec_lo, exec_lo, s22
	s_cbranch_execz .LBB155_19
.LBB155_15:                             ;   Parent Loop BB155_10 Depth=1
                                        ; =>  This Inner Loop Header: Depth=2
	global_load_b32 v0, v[16:17], off
	s_wait_loadcnt 0x0
	v_subrev_nc_u32_e32 v37, s18, v0
	s_delay_alu instid0(VALU_DEP_1) | instskip(NEXT) | instid1(VALU_DEP_1)
	v_sub_nc_u32_e32 v0, 0, v37
	v_max_i32_e32 v0, v37, v0
	s_delay_alu instid0(VALU_DEP_1) | instskip(NEXT) | instid1(VALU_DEP_1)
	v_mul_u64_e32 v[38:39], s[12:13], v[0:1]
	v_mul_lo_u32 v38, v39, s14
	s_delay_alu instid0(VALU_DEP_1) | instskip(NEXT) | instid1(VALU_DEP_1)
	v_dual_sub_nc_u32 v0, v0, v38 :: v_dual_add_nc_u32 v38, 1, v39
	v_cmp_le_u32_e32 vcc_lo, s14, v0
	s_delay_alu instid0(VALU_DEP_2) | instskip(SKIP_1) | instid1(VALU_DEP_1)
	v_dual_cndmask_b32 v38, v39, v38 :: v_dual_ashrrev_i32 v39, 31, v37
	v_subrev_nc_u32_e32 v40, s14, v0
	v_dual_cndmask_b32 v0, v0, v40, vcc_lo :: v_dual_add_nc_u32 v40, 1, v38
	s_delay_alu instid0(VALU_DEP_1) | instskip(NEXT) | instid1(VALU_DEP_2)
	v_cmp_le_u32_e32 vcc_lo, s14, v0
	v_dual_cndmask_b32 v0, v38, v40, vcc_lo :: v_dual_bitop2_b32 v39, s15, v39 bitop3:0x14
	s_delay_alu instid0(VALU_DEP_1) | instskip(NEXT) | instid1(VALU_DEP_1)
	v_xor_b32_e32 v0, v0, v39
	v_dual_sub_nc_u32 v38, v0, v39 :: v_dual_mov_b32 v0, v15
	s_delay_alu instid0(VALU_DEP_1) | instskip(SKIP_3) | instid1(SALU_CYCLE_1)
	v_cmp_ne_u32_e64 s0, v38, v36
	v_cmp_eq_u32_e32 vcc_lo, v38, v36
	s_wait_xcnt 0x0
	s_and_saveexec_b32 s23, s0
	s_xor_b32 s0, exec_lo, s23
; %bb.16:                               ;   in Loop: Header=BB155_15 Depth=2
	v_min_i32_e32 v35, v38, v35
                                        ; implicit-def: $vgpr37
                                        ; implicit-def: $vgpr0
; %bb.17:                               ;   in Loop: Header=BB155_15 Depth=2
	s_or_saveexec_b32 s0, s0
	v_mov_b32_e32 v15, v14
	s_xor_b32 exec_lo, exec_lo, s0
	s_cbranch_execz .LBB155_14
; %bb.18:                               ;   in Loop: Header=BB155_15 Depth=2
	global_load_b64 v[38:39], v[18:19], off
	v_sub_nc_u32_e32 v15, v37, v3
	s_delay_alu instid0(VALU_DEP_1)
	v_lshl_add_u32 v37, v15, 3, v23
	v_mov_b32_e32 v15, v0
	ds_store_b8 v20, v34 offset:4096
	s_wait_loadcnt 0x0
	ds_store_b64 v37, v[38:39]
	s_branch .LBB155_14
.LBB155_19:                             ;   in Loop: Header=BB155_10 Depth=1
	s_or_b32 exec_lo, exec_lo, s22
.LBB155_20:                             ;   in Loop: Header=BB155_10 Depth=1
	s_delay_alu instid0(SALU_CYCLE_1)
	s_or_b32 exec_lo, exec_lo, s21
	ds_bpermute_b32 v0, v24, v15
	s_wait_dscnt 0x0
	ds_load_u8 v14, v20 offset:4096
	v_min_i32_e32 v0, v0, v15
	ds_bpermute_b32 v3, v25, v0
	s_wait_dscnt 0x0
	v_min_i32_e32 v0, v3, v0
	ds_bpermute_b32 v18, v26, v0
	v_and_b32_e32 v0, 1, v14
	s_delay_alu instid0(VALU_DEP_1)
	v_cmp_eq_u32_e32 vcc_lo, 1, v0
	v_mov_b32_e32 v0, 0
	s_and_saveexec_b32 s0, vcc_lo
	s_cbranch_execz .LBB155_9
; %bb.21:                               ;   in Loop: Header=BB155_10 Depth=1
	v_dual_ashrrev_i32 v3, 31, v2 :: v_dual_add_nc_u32 v0, s19, v36
	s_delay_alu instid0(VALU_DEP_1) | instskip(SKIP_2) | instid1(VALU_DEP_1)
	v_mul_u64_e32 v[14:15], s[16:17], v[2:3]
	global_store_b32 v2, v0, s[2:3] scale_offset
	v_lshlrev_b64_e32 v[14:15], 3, v[14:15]
	v_add_nc_u64_e32 v[16:17], v[4:5], v[14:15]
	v_add_nc_u64_e32 v[14:15], v[6:7], v[14:15]
	s_wait_xcnt 0x0
	s_and_saveexec_b32 s21, s6
	s_cbranch_execz .LBB155_25
; %bb.22:                               ;   in Loop: Header=BB155_10 Depth=1
	s_and_b32 vcc_lo, exec_lo, s4
	s_cbranch_vccz .LBB155_28
; %bb.23:                               ;   in Loop: Header=BB155_10 Depth=1
	ds_load_b64 v[36:37], v27
	v_lshl_add_u64 v[38:39], v[8:9], 3, v[16:17]
	s_wait_dscnt 0x0
	global_store_b64 v[38:39], v[36:37], off
	s_cbranch_execnz .LBB155_25
.LBB155_24:                             ;   in Loop: Header=BB155_10 Depth=1
	s_wait_xcnt 0x0
	ds_load_b64 v[36:37], v27
	s_wait_dscnt 0x0
	global_store_b64 v[14:15], v[36:37], off
.LBB155_25:                             ;   in Loop: Header=BB155_10 Depth=1
	s_wait_xcnt 0x0
	s_or_b32 exec_lo, exec_lo, s21
	s_and_saveexec_b32 s21, s1
	s_cbranch_execz .LBB155_8
; %bb.26:                               ;   in Loop: Header=BB155_10 Depth=1
	s_and_not1_b32 vcc_lo, exec_lo, s4
	s_cbranch_vccnz .LBB155_29
; %bb.27:                               ;   in Loop: Header=BB155_10 Depth=1
	ds_load_b64 v[36:37], v27 offset:32
	v_lshl_add_u64 v[16:17], v[10:11], 3, v[16:17]
	s_wait_dscnt 0x0
	global_store_b64 v[16:17], v[36:37], off
	s_cbranch_execnz .LBB155_8
	s_branch .LBB155_30
.LBB155_28:                             ;   in Loop: Header=BB155_10 Depth=1
	s_branch .LBB155_24
.LBB155_29:                             ;   in Loop: Header=BB155_10 Depth=1
.LBB155_30:                             ;   in Loop: Header=BB155_10 Depth=1
	s_wait_xcnt 0x0
	ds_load_b64 v[16:17], v27 offset:32
	s_wait_dscnt 0x0
	global_store_b64 v[14:15], v[16:17], off offset:32
	s_branch .LBB155_8
.LBB155_31:
	s_endpgm
	.section	.rodata,"a",@progbits
	.p2align	6, 0x0
	.amdhsa_kernel _ZN9rocsparseL44csr2gebsr_wavefront_per_row_multipass_kernelILi256ELi16ELi8ELi64E21rocsparse_complex_numIfEEEv20rocsparse_direction_iiiiii21rocsparse_index_base_PKT3_PKiS9_S4_PS5_PiSB_
		.amdhsa_group_segment_fixed_size 4100
		.amdhsa_private_segment_fixed_size 0
		.amdhsa_kernarg_size 88
		.amdhsa_user_sgpr_count 2
		.amdhsa_user_sgpr_dispatch_ptr 0
		.amdhsa_user_sgpr_queue_ptr 0
		.amdhsa_user_sgpr_kernarg_segment_ptr 1
		.amdhsa_user_sgpr_dispatch_id 0
		.amdhsa_user_sgpr_kernarg_preload_length 0
		.amdhsa_user_sgpr_kernarg_preload_offset 0
		.amdhsa_user_sgpr_private_segment_size 0
		.amdhsa_wavefront_size32 1
		.amdhsa_uses_dynamic_stack 0
		.amdhsa_enable_private_segment 0
		.amdhsa_system_sgpr_workgroup_id_x 1
		.amdhsa_system_sgpr_workgroup_id_y 0
		.amdhsa_system_sgpr_workgroup_id_z 0
		.amdhsa_system_sgpr_workgroup_info 0
		.amdhsa_system_vgpr_workitem_id 0
		.amdhsa_next_free_vgpr 41
		.amdhsa_next_free_sgpr 24
		.amdhsa_named_barrier_count 0
		.amdhsa_reserve_vcc 1
		.amdhsa_float_round_mode_32 0
		.amdhsa_float_round_mode_16_64 0
		.amdhsa_float_denorm_mode_32 3
		.amdhsa_float_denorm_mode_16_64 3
		.amdhsa_fp16_overflow 0
		.amdhsa_memory_ordered 1
		.amdhsa_forward_progress 1
		.amdhsa_inst_pref_size 14
		.amdhsa_round_robin_scheduling 0
		.amdhsa_exception_fp_ieee_invalid_op 0
		.amdhsa_exception_fp_denorm_src 0
		.amdhsa_exception_fp_ieee_div_zero 0
		.amdhsa_exception_fp_ieee_overflow 0
		.amdhsa_exception_fp_ieee_underflow 0
		.amdhsa_exception_fp_ieee_inexact 0
		.amdhsa_exception_int_div_zero 0
	.end_amdhsa_kernel
	.section	.text._ZN9rocsparseL44csr2gebsr_wavefront_per_row_multipass_kernelILi256ELi16ELi8ELi64E21rocsparse_complex_numIfEEEv20rocsparse_direction_iiiiii21rocsparse_index_base_PKT3_PKiS9_S4_PS5_PiSB_,"axG",@progbits,_ZN9rocsparseL44csr2gebsr_wavefront_per_row_multipass_kernelILi256ELi16ELi8ELi64E21rocsparse_complex_numIfEEEv20rocsparse_direction_iiiiii21rocsparse_index_base_PKT3_PKiS9_S4_PS5_PiSB_,comdat
.Lfunc_end155:
	.size	_ZN9rocsparseL44csr2gebsr_wavefront_per_row_multipass_kernelILi256ELi16ELi8ELi64E21rocsparse_complex_numIfEEEv20rocsparse_direction_iiiiii21rocsparse_index_base_PKT3_PKiS9_S4_PS5_PiSB_, .Lfunc_end155-_ZN9rocsparseL44csr2gebsr_wavefront_per_row_multipass_kernelILi256ELi16ELi8ELi64E21rocsparse_complex_numIfEEEv20rocsparse_direction_iiiiii21rocsparse_index_base_PKT3_PKiS9_S4_PS5_PiSB_
                                        ; -- End function
	.set _ZN9rocsparseL44csr2gebsr_wavefront_per_row_multipass_kernelILi256ELi16ELi8ELi64E21rocsparse_complex_numIfEEEv20rocsparse_direction_iiiiii21rocsparse_index_base_PKT3_PKiS9_S4_PS5_PiSB_.num_vgpr, 41
	.set _ZN9rocsparseL44csr2gebsr_wavefront_per_row_multipass_kernelILi256ELi16ELi8ELi64E21rocsparse_complex_numIfEEEv20rocsparse_direction_iiiiii21rocsparse_index_base_PKT3_PKiS9_S4_PS5_PiSB_.num_agpr, 0
	.set _ZN9rocsparseL44csr2gebsr_wavefront_per_row_multipass_kernelILi256ELi16ELi8ELi64E21rocsparse_complex_numIfEEEv20rocsparse_direction_iiiiii21rocsparse_index_base_PKT3_PKiS9_S4_PS5_PiSB_.numbered_sgpr, 24
	.set _ZN9rocsparseL44csr2gebsr_wavefront_per_row_multipass_kernelILi256ELi16ELi8ELi64E21rocsparse_complex_numIfEEEv20rocsparse_direction_iiiiii21rocsparse_index_base_PKT3_PKiS9_S4_PS5_PiSB_.num_named_barrier, 0
	.set _ZN9rocsparseL44csr2gebsr_wavefront_per_row_multipass_kernelILi256ELi16ELi8ELi64E21rocsparse_complex_numIfEEEv20rocsparse_direction_iiiiii21rocsparse_index_base_PKT3_PKiS9_S4_PS5_PiSB_.private_seg_size, 0
	.set _ZN9rocsparseL44csr2gebsr_wavefront_per_row_multipass_kernelILi256ELi16ELi8ELi64E21rocsparse_complex_numIfEEEv20rocsparse_direction_iiiiii21rocsparse_index_base_PKT3_PKiS9_S4_PS5_PiSB_.uses_vcc, 1
	.set _ZN9rocsparseL44csr2gebsr_wavefront_per_row_multipass_kernelILi256ELi16ELi8ELi64E21rocsparse_complex_numIfEEEv20rocsparse_direction_iiiiii21rocsparse_index_base_PKT3_PKiS9_S4_PS5_PiSB_.uses_flat_scratch, 0
	.set _ZN9rocsparseL44csr2gebsr_wavefront_per_row_multipass_kernelILi256ELi16ELi8ELi64E21rocsparse_complex_numIfEEEv20rocsparse_direction_iiiiii21rocsparse_index_base_PKT3_PKiS9_S4_PS5_PiSB_.has_dyn_sized_stack, 0
	.set _ZN9rocsparseL44csr2gebsr_wavefront_per_row_multipass_kernelILi256ELi16ELi8ELi64E21rocsparse_complex_numIfEEEv20rocsparse_direction_iiiiii21rocsparse_index_base_PKT3_PKiS9_S4_PS5_PiSB_.has_recursion, 0
	.set _ZN9rocsparseL44csr2gebsr_wavefront_per_row_multipass_kernelILi256ELi16ELi8ELi64E21rocsparse_complex_numIfEEEv20rocsparse_direction_iiiiii21rocsparse_index_base_PKT3_PKiS9_S4_PS5_PiSB_.has_indirect_call, 0
	.section	.AMDGPU.csdata,"",@progbits
; Kernel info:
; codeLenInByte = 1688
; TotalNumSgprs: 26
; NumVgprs: 41
; ScratchSize: 0
; MemoryBound: 0
; FloatMode: 240
; IeeeMode: 1
; LDSByteSize: 4100 bytes/workgroup (compile time only)
; SGPRBlocks: 0
; VGPRBlocks: 2
; NumSGPRsForWavesPerEU: 26
; NumVGPRsForWavesPerEU: 41
; NamedBarCnt: 0
; Occupancy: 16
; WaveLimiterHint : 0
; COMPUTE_PGM_RSRC2:SCRATCH_EN: 0
; COMPUTE_PGM_RSRC2:USER_SGPR: 2
; COMPUTE_PGM_RSRC2:TRAP_HANDLER: 0
; COMPUTE_PGM_RSRC2:TGID_X_EN: 1
; COMPUTE_PGM_RSRC2:TGID_Y_EN: 0
; COMPUTE_PGM_RSRC2:TGID_Z_EN: 0
; COMPUTE_PGM_RSRC2:TIDIG_COMP_CNT: 0
	.section	.text._ZN9rocsparseL44csr2gebsr_wavefront_per_row_multipass_kernelILi256ELi16ELi8ELi32E21rocsparse_complex_numIfEEEv20rocsparse_direction_iiiiii21rocsparse_index_base_PKT3_PKiS9_S4_PS5_PiSB_,"axG",@progbits,_ZN9rocsparseL44csr2gebsr_wavefront_per_row_multipass_kernelILi256ELi16ELi8ELi32E21rocsparse_complex_numIfEEEv20rocsparse_direction_iiiiii21rocsparse_index_base_PKT3_PKiS9_S4_PS5_PiSB_,comdat
	.globl	_ZN9rocsparseL44csr2gebsr_wavefront_per_row_multipass_kernelILi256ELi16ELi8ELi32E21rocsparse_complex_numIfEEEv20rocsparse_direction_iiiiii21rocsparse_index_base_PKT3_PKiS9_S4_PS5_PiSB_ ; -- Begin function _ZN9rocsparseL44csr2gebsr_wavefront_per_row_multipass_kernelILi256ELi16ELi8ELi32E21rocsparse_complex_numIfEEEv20rocsparse_direction_iiiiii21rocsparse_index_base_PKT3_PKiS9_S4_PS5_PiSB_
	.p2align	8
	.type	_ZN9rocsparseL44csr2gebsr_wavefront_per_row_multipass_kernelILi256ELi16ELi8ELi32E21rocsparse_complex_numIfEEEv20rocsparse_direction_iiiiii21rocsparse_index_base_PKT3_PKiS9_S4_PS5_PiSB_,@function
_ZN9rocsparseL44csr2gebsr_wavefront_per_row_multipass_kernelILi256ELi16ELi8ELi32E21rocsparse_complex_numIfEEEv20rocsparse_direction_iiiiii21rocsparse_index_base_PKT3_PKiS9_S4_PS5_PiSB_: ; @_ZN9rocsparseL44csr2gebsr_wavefront_per_row_multipass_kernelILi256ELi16ELi8ELi32E21rocsparse_complex_numIfEEEv20rocsparse_direction_iiiiii21rocsparse_index_base_PKT3_PKiS9_S4_PS5_PiSB_
; %bb.0:
	s_clause 0x1
	s_load_b128 s[4:7], s[0:1], 0xc
	s_load_b64 s[14:15], s[0:1], 0x0
	s_bfe_u32 s2, ttmp6, 0x4000c
	s_and_b32 s3, ttmp6, 15
	s_add_co_i32 s2, s2, 1
	s_getreg_b32 s8, hwreg(HW_REG_IB_STS2, 6, 4)
	s_mul_i32 s2, ttmp9, s2
	v_dual_lshrrev_b32 v24, 5, v0 :: v_dual_mov_b32 v2, 0
	s_add_co_i32 s3, s3, s2
	s_cmp_eq_u32 s8, 0
	v_bfe_u32 v3, v0, 1, 4
	s_cselect_b32 s2, ttmp9, s3
	s_clause 0x1
	s_load_b32 s20, s[0:1], 0x1c
	s_load_b64 s[8:9], s[0:1], 0x28
	v_lshl_or_b32 v1, s2, 3, v24
	v_mov_b32_e32 v22, 0
	s_wait_kmcnt 0x0
	s_delay_alu instid0(VALU_DEP_2) | instskip(SKIP_1) | instid1(VALU_DEP_2)
	v_mad_u32 v4, v1, s6, v3
	v_cmp_gt_i32_e32 vcc_lo, s6, v3
	v_cmp_gt_i32_e64 s2, s15, v4
	s_and_b32 s2, vcc_lo, s2
	s_delay_alu instid0(SALU_CYCLE_1)
	s_and_saveexec_b32 s3, s2
	s_cbranch_execz .LBB156_2
; %bb.1:
	global_load_b32 v5, v4, s[8:9] scale_offset
	s_wait_loadcnt 0x0
	v_subrev_nc_u32_e32 v22, s20, v5
.LBB156_2:
	s_or_b32 exec_lo, exec_lo, s3
	v_mov_b32_e32 v25, 0
	s_and_saveexec_b32 s3, s2
	s_cbranch_execz .LBB156_4
; %bb.3:
	global_load_b32 v4, v4, s[8:9] offset:4 scale_offset
	s_wait_loadcnt 0x0
	v_subrev_nc_u32_e32 v25, s20, v4
.LBB156_4:
	s_or_b32 exec_lo, exec_lo, s3
	s_load_b32 s21, s[0:1], 0x38
	s_mov_b32 s3, exec_lo
	v_cmpx_gt_i32_e64 s4, v1
	s_cbranch_execz .LBB156_6
; %bb.5:
	s_load_b64 s[8:9], s[0:1], 0x48
	s_wait_kmcnt 0x0
	global_load_b32 v1, v1, s[8:9] scale_offset
	s_wait_loadcnt 0x0
	v_subrev_nc_u32_e32 v2, s21, v1
.LBB156_6:
	s_or_b32 exec_lo, exec_lo, s3
	s_cmp_lt_i32 s5, 1
	s_cbranch_scc1 .LBB156_41
; %bb.7:
	v_mbcnt_lo_u32_b32 v10, -1, 0
	s_clause 0x3
	s_load_b64 s[8:9], s[0:1], 0x50
	s_load_b64 s[2:3], s[0:1], 0x40
	;; [unrolled: 1-line block ×4, first 2 shown]
	v_mul_lo_u32 v4, s7, v3
	s_cmp_lg_u32 s14, 0
	s_mov_b32 s15, 0
	v_xor_b32_e32 v1, 1, v10
	v_dual_lshlrev_b32 v0, 6, v3 :: v_dual_bitop2_b32 v26, 1, v0 bitop3:0x40
	s_cselect_b32 s4, -1, 0
	s_mov_b32 s14, s6
	s_wait_xcnt 0x0
	v_cmp_gt_i32_e64 s0, 32, v1
	s_ashr_i32 s17, s7, 31
	v_lshl_or_b32 v27, v24, 10, v0
	v_ashrrev_i32_e32 v5, 31, v4
	s_mov_b32 s16, s7
	v_cndmask_b32_e64 v1, v10, v1, s0
	s_mul_u64 s[18:19], s[16:17], s[14:15]
	s_abs_i32 s16, s7
	v_lshl_or_b32 v28, v10, 2, 4
	s_cvt_f32_u32 s1, s16
	v_dual_lshlrev_b32 v29, 2, v1 :: v_dual_lshlrev_b32 v6, 3, v26
	v_dual_mov_b32 v1, 0 :: v_dual_lshlrev_b32 v0, 3, v3
	s_wait_kmcnt 0x0
	v_lshl_add_u64 v[8:9], v[4:5], 3, s[2:3]
	v_mov_b64_e32 v[16:17], 0
	v_dual_mov_b32 v37, 1 :: v_dual_bitop2_b32 v36, -2, v26 bitop3:0x54
	v_mov_b32_e32 v7, v1
	v_add_nc_u64_e32 v[4:5], s[2:3], v[0:1]
	v_xor_b32_e32 v0, 8, v10
	v_dual_mov_b32 v11, v1 :: v_dual_bitop2_b32 v3, 16, v10 bitop3:0x14
	v_mov_b32_e32 v39, 0
	s_mov_b32 s22, s15
	v_mov_b32_e32 v35, 0x7c
	s_delay_alu instid0(VALU_DEP_3) | instskip(SKIP_3) | instid1(VALU_DEP_4)
	v_cmp_gt_i32_e64 s0, 32, v3
	v_or_b32_e32 v30, v27, v6
	v_add_nc_u64_e32 v[6:7], v[8:9], v[6:7]
	v_dual_mov_b32 v13, v1 :: v_dual_mov_b32 v15, v1
	v_dual_cndmask_b32 v3, v10, v3, s0 :: v_dual_bitop2_b32 v8, 4, v10 bitop3:0x14
	v_cmp_gt_i32_e64 s0, 32, v0
	s_delay_alu instid0(VALU_DEP_1) | instskip(SKIP_1) | instid1(VALU_DEP_4)
	v_dual_lshlrev_b32 v31, 2, v3 :: v_dual_cndmask_b32 v0, v10, v0, s0
	v_xor_b32_e32 v9, 2, v10
	v_cmp_gt_i32_e64 s0, 32, v8
	s_delay_alu instid0(VALU_DEP_3) | instskip(NEXT) | instid1(VALU_DEP_2)
	v_dual_lshlrev_b32 v32, 2, v0 :: v_dual_bitop2_b32 v0, 2, v26 bitop3:0x54
	v_cndmask_b32_e64 v8, v10, v8, s0
	s_delay_alu instid0(VALU_DEP_4) | instskip(NEXT) | instid1(VALU_DEP_1)
	v_cmp_gt_i32_e64 s0, 32, v9
	v_dual_lshlrev_b32 v33, 2, v8 :: v_dual_cndmask_b32 v3, v10, v9, s0
	v_mul_lo_u32 v8, v26, s6
	s_lshl_b32 s6, s6, 1
	v_cmp_gt_u32_e64 s0, s7, v26
	s_delay_alu instid0(VALU_DEP_3) | instskip(SKIP_2) | instid1(VALU_DEP_4)
	v_dual_mov_b32 v9, v1 :: v_dual_lshlrev_b32 v34, 2, v3
	v_rcp_iflag_f32_e32 v3, s1
	v_cmp_gt_u32_e64 s1, s7, v0
	v_dual_add_nc_u32 v10, s6, v8 :: v_dual_bitop2_b32 v0, 4, v26 bitop3:0x54
	s_delay_alu instid0(TRANS32_DEP_1) | instskip(SKIP_1) | instid1(VALU_DEP_3)
	v_readfirstlane_b32 s3, v3
	v_or_b32_e32 v3, 6, v26
	v_cmp_gt_u32_e64 s2, s7, v0
	s_and_b32 s1, vcc_lo, s1
	v_add_nc_u32_e32 v12, s6, v10
	s_mul_f32 s14, s3, 0x4f7ffffe
	v_cmp_gt_u32_e64 s3, s7, v3
	s_and_b32 s2, vcc_lo, s2
	s_delay_alu instid0(SALU_CYCLE_1)
	s_cvt_u32_f32 s14, s14
	v_add_nc_u32_e32 v14, s6, v12
	s_and_b32 s6, s0, vcc_lo
	s_sub_co_i32 s0, 0, s16
	s_and_b32 s3, vcc_lo, s3
	s_mul_i32 s0, s0, s14
	s_delay_alu instid0(SALU_CYCLE_1) | instskip(NEXT) | instid1(SALU_CYCLE_1)
	s_mul_hi_u32 s0, s14, s0
	s_add_co_i32 s14, s14, s0
	s_branch .LBB156_10
.LBB156_8:                              ;   in Loop: Header=BB156_10 Depth=1
	s_wait_xcnt 0x0
	s_or_b32 exec_lo, exec_lo, s23
	v_mov_b32_e32 v0, 1
.LBB156_9:                              ;   in Loop: Header=BB156_10 Depth=1
	s_or_b32 exec_lo, exec_lo, s0
	ds_bpermute_b32 v3, v31, v38
	s_wait_storecnt_dscnt 0x0
	v_add_nc_u32_e32 v2, v0, v2
	v_min_i32_e32 v3, v3, v38
	ds_bpermute_b32 v18, v32, v3
	s_wait_dscnt 0x0
	v_min_i32_e32 v3, v18, v3
	ds_bpermute_b32 v18, v33, v3
	s_wait_dscnt 0x0
	;; [unrolled: 3-line block ×5, first 2 shown]
	v_cmp_le_i32_e32 vcc_lo, s5, v39
	s_or_b32 s22, vcc_lo, s22
	s_delay_alu instid0(SALU_CYCLE_1)
	s_and_not1_b32 exec_lo, exec_lo, s22
	s_cbranch_execz .LBB156_41
.LBB156_10:                             ; =>This Loop Header: Depth=1
                                        ;     Child Loop BB156_11 Depth 2
                                        ;     Child Loop BB156_15 Depth 2
	v_dual_mov_b32 v0, v30 :: v_dual_mov_b32 v3, v36
	s_mov_b32 s0, 0
	ds_store_b8 v24, v1 offset:8192
.LBB156_11:                             ;   Parent Loop BB156_10 Depth=1
                                        ; =>  This Inner Loop Header: Depth=2
	v_add_nc_u32_e32 v3, 2, v3
	ds_store_b64 v0, v[16:17]
	v_add_nc_u32_e32 v0, 16, v0
	v_cmp_lt_u32_e32 vcc_lo, 5, v3
	s_or_b32 s0, vcc_lo, s0
	s_delay_alu instid0(SALU_CYCLE_1)
	s_and_not1_b32 exec_lo, exec_lo, s0
	s_cbranch_execnz .LBB156_11
; %bb.12:                               ;   in Loop: Header=BB156_10 Depth=1
	s_or_b32 exec_lo, exec_lo, s0
	v_dual_add_nc_u32 v18, v22, v26 :: v_dual_mov_b32 v38, s5
	v_mov_b32_e32 v19, v25
	s_mov_b32 s23, exec_lo
	s_wait_dscnt 0x0
	s_delay_alu instid0(VALU_DEP_2)
	v_cmpx_lt_i32_e64 v18, v25
	s_cbranch_execz .LBB156_20
; %bb.13:                               ;   in Loop: Header=BB156_10 Depth=1
	v_mul_lo_u32 v3, v39, s7
	v_dual_mov_b32 v38, s5 :: v_dual_ashrrev_i32 v19, 31, v18
	s_mov_b32 s24, 0
	s_delay_alu instid0(VALU_DEP_1)
	v_lshl_add_u64 v[20:21], v[18:19], 2, s[12:13]
	v_lshl_add_u64 v[22:23], v[18:19], 3, s[10:11]
	v_mov_b32_e32 v19, v25
	s_branch .LBB156_15
.LBB156_14:                             ;   in Loop: Header=BB156_15 Depth=2
	s_wait_xcnt 0x0
	s_or_b32 exec_lo, exec_lo, s0
	v_add_nc_u32_e32 v18, 2, v18
	s_xor_b32 s25, vcc_lo, -1
	v_add_nc_u64_e32 v[20:21], 8, v[20:21]
	v_add_nc_u64_e32 v[22:23], 16, v[22:23]
	s_delay_alu instid0(VALU_DEP_3) | instskip(SKIP_1) | instid1(SALU_CYCLE_1)
	v_cmp_ge_i32_e64 s0, v18, v25
	s_or_b32 s0, s25, s0
	s_and_b32 s0, exec_lo, s0
	s_delay_alu instid0(SALU_CYCLE_1) | instskip(NEXT) | instid1(SALU_CYCLE_1)
	s_or_b32 s24, s0, s24
	s_and_not1_b32 exec_lo, exec_lo, s24
	s_cbranch_execz .LBB156_19
.LBB156_15:                             ;   Parent Loop BB156_10 Depth=1
                                        ; =>  This Inner Loop Header: Depth=2
	global_load_b32 v0, v[20:21], off
	s_wait_loadcnt 0x0
	v_subrev_nc_u32_e32 v40, s20, v0
	s_delay_alu instid0(VALU_DEP_1) | instskip(NEXT) | instid1(VALU_DEP_1)
	v_sub_nc_u32_e32 v0, 0, v40
	v_max_i32_e32 v0, v40, v0
	s_delay_alu instid0(VALU_DEP_1) | instskip(NEXT) | instid1(VALU_DEP_1)
	v_mul_u64_e32 v[42:43], s[14:15], v[0:1]
	v_mul_lo_u32 v41, v43, s16
	s_delay_alu instid0(VALU_DEP_1) | instskip(NEXT) | instid1(VALU_DEP_1)
	v_dual_sub_nc_u32 v0, v0, v41 :: v_dual_add_nc_u32 v41, 1, v43
	v_cmp_le_u32_e32 vcc_lo, s16, v0
	s_delay_alu instid0(VALU_DEP_2) | instskip(SKIP_1) | instid1(VALU_DEP_1)
	v_dual_cndmask_b32 v41, v43, v41, vcc_lo :: v_dual_ashrrev_i32 v43, 31, v40
	v_subrev_nc_u32_e32 v42, s16, v0
	v_dual_cndmask_b32 v0, v0, v42, vcc_lo :: v_dual_add_nc_u32 v42, 1, v41
	s_delay_alu instid0(VALU_DEP_1) | instskip(NEXT) | instid1(VALU_DEP_2)
	v_cmp_le_u32_e32 vcc_lo, s16, v0
	v_dual_cndmask_b32 v0, v41, v42, vcc_lo :: v_dual_bitop2_b32 v43, s17, v43 bitop3:0x14
	s_delay_alu instid0(VALU_DEP_1) | instskip(NEXT) | instid1(VALU_DEP_1)
	v_xor_b32_e32 v0, v0, v43
	v_dual_mov_b32 v0, v19 :: v_dual_sub_nc_u32 v41, v0, v43
	s_delay_alu instid0(VALU_DEP_1) | instskip(SKIP_3) | instid1(SALU_CYCLE_1)
	v_cmp_ne_u32_e64 s0, v41, v39
	v_cmp_eq_u32_e32 vcc_lo, v41, v39
	s_wait_xcnt 0x0
	s_and_saveexec_b32 s25, s0
	s_xor_b32 s0, exec_lo, s25
; %bb.16:                               ;   in Loop: Header=BB156_15 Depth=2
	v_min_i32_e32 v38, v41, v38
                                        ; implicit-def: $vgpr40
                                        ; implicit-def: $vgpr0
; %bb.17:                               ;   in Loop: Header=BB156_15 Depth=2
	s_or_saveexec_b32 s0, s0
	v_mov_b32_e32 v19, v18
	s_xor_b32 exec_lo, exec_lo, s0
	s_cbranch_execz .LBB156_14
; %bb.18:                               ;   in Loop: Header=BB156_15 Depth=2
	global_load_b64 v[42:43], v[22:23], off
	v_sub_nc_u32_e32 v19, v40, v3
	s_delay_alu instid0(VALU_DEP_1)
	v_lshl_add_u32 v40, v19, 3, v27
	v_mov_b32_e32 v19, v0
	ds_store_b8 v24, v37 offset:8192
	s_wait_loadcnt 0x0
	ds_store_b64 v40, v[42:43]
	s_branch .LBB156_14
.LBB156_19:                             ;   in Loop: Header=BB156_10 Depth=1
	s_or_b32 exec_lo, exec_lo, s24
.LBB156_20:                             ;   in Loop: Header=BB156_10 Depth=1
	s_delay_alu instid0(SALU_CYCLE_1)
	s_or_b32 exec_lo, exec_lo, s23
	ds_bpermute_b32 v0, v29, v19
	s_wait_dscnt 0x0
	ds_load_u8 v3, v24 offset:8192
	v_min_i32_e32 v0, v0, v19
	ds_bpermute_b32 v22, v28, v0
	s_wait_dscnt 0x1
	v_and_b32_e32 v0, 1, v3
	s_delay_alu instid0(VALU_DEP_1)
	v_cmp_eq_u32_e32 vcc_lo, 1, v0
	v_mov_b32_e32 v0, 0
	s_and_saveexec_b32 s0, vcc_lo
	s_cbranch_execz .LBB156_9
; %bb.21:                               ;   in Loop: Header=BB156_10 Depth=1
	v_dual_ashrrev_i32 v3, 31, v2 :: v_dual_add_nc_u32 v0, s21, v39
	s_delay_alu instid0(VALU_DEP_1) | instskip(SKIP_2) | instid1(VALU_DEP_1)
	v_mul_u64_e32 v[18:19], s[18:19], v[2:3]
	global_store_b32 v2, v0, s[8:9] scale_offset
	v_lshlrev_b64_e32 v[18:19], 3, v[18:19]
	v_add_nc_u64_e32 v[20:21], v[4:5], v[18:19]
	v_add_nc_u64_e32 v[18:19], v[6:7], v[18:19]
	s_wait_xcnt 0x0
	s_and_saveexec_b32 s23, s6
	s_cbranch_execz .LBB156_25
; %bb.22:                               ;   in Loop: Header=BB156_10 Depth=1
	s_and_b32 vcc_lo, exec_lo, s4
	s_cbranch_vccz .LBB156_36
; %bb.23:                               ;   in Loop: Header=BB156_10 Depth=1
	ds_load_b64 v[40:41], v30
	v_lshl_add_u64 v[42:43], v[8:9], 3, v[20:21]
	s_wait_dscnt 0x0
	global_store_b64 v[42:43], v[40:41], off
	s_cbranch_execnz .LBB156_25
.LBB156_24:                             ;   in Loop: Header=BB156_10 Depth=1
	s_wait_xcnt 0x0
	ds_load_b64 v[40:41], v30
	s_wait_dscnt 0x0
	global_store_b64 v[18:19], v[40:41], off
.LBB156_25:                             ;   in Loop: Header=BB156_10 Depth=1
	s_wait_xcnt 0x0
	s_or_b32 exec_lo, exec_lo, s23
	s_and_saveexec_b32 s23, s1
	s_cbranch_execz .LBB156_29
; %bb.26:                               ;   in Loop: Header=BB156_10 Depth=1
	s_and_not1_b32 vcc_lo, exec_lo, s4
	s_cbranch_vccnz .LBB156_37
; %bb.27:                               ;   in Loop: Header=BB156_10 Depth=1
	ds_load_b64 v[40:41], v30 offset:16
	v_lshl_add_u64 v[42:43], v[10:11], 3, v[20:21]
	s_wait_dscnt 0x0
	global_store_b64 v[42:43], v[40:41], off
	s_cbranch_execnz .LBB156_29
.LBB156_28:                             ;   in Loop: Header=BB156_10 Depth=1
	s_wait_xcnt 0x0
	ds_load_b64 v[40:41], v30 offset:16
	s_wait_dscnt 0x0
	global_store_b64 v[18:19], v[40:41], off offset:16
.LBB156_29:                             ;   in Loop: Header=BB156_10 Depth=1
	s_wait_xcnt 0x0
	s_or_b32 exec_lo, exec_lo, s23
	s_and_saveexec_b32 s23, s2
	s_cbranch_execz .LBB156_33
; %bb.30:                               ;   in Loop: Header=BB156_10 Depth=1
	s_and_not1_b32 vcc_lo, exec_lo, s4
	s_cbranch_vccnz .LBB156_38
; %bb.31:                               ;   in Loop: Header=BB156_10 Depth=1
	ds_load_b64 v[40:41], v30 offset:32
	v_lshl_add_u64 v[42:43], v[12:13], 3, v[20:21]
	s_wait_dscnt 0x0
	global_store_b64 v[42:43], v[40:41], off
	s_cbranch_execnz .LBB156_33
.LBB156_32:                             ;   in Loop: Header=BB156_10 Depth=1
	s_wait_xcnt 0x0
	ds_load_b64 v[40:41], v30 offset:32
	s_wait_dscnt 0x0
	global_store_b64 v[18:19], v[40:41], off offset:32
.LBB156_33:                             ;   in Loop: Header=BB156_10 Depth=1
	s_wait_xcnt 0x0
	s_or_b32 exec_lo, exec_lo, s23
	s_and_saveexec_b32 s23, s3
	s_cbranch_execz .LBB156_8
; %bb.34:                               ;   in Loop: Header=BB156_10 Depth=1
	s_and_not1_b32 vcc_lo, exec_lo, s4
	s_cbranch_vccnz .LBB156_39
; %bb.35:                               ;   in Loop: Header=BB156_10 Depth=1
	ds_load_b64 v[40:41], v30 offset:48
	v_lshl_add_u64 v[20:21], v[14:15], 3, v[20:21]
	s_wait_dscnt 0x0
	global_store_b64 v[20:21], v[40:41], off
	s_cbranch_execnz .LBB156_8
	s_branch .LBB156_40
.LBB156_36:                             ;   in Loop: Header=BB156_10 Depth=1
	s_branch .LBB156_24
.LBB156_37:                             ;   in Loop: Header=BB156_10 Depth=1
	s_branch .LBB156_28
.LBB156_38:                             ;   in Loop: Header=BB156_10 Depth=1
	s_branch .LBB156_32
.LBB156_39:                             ;   in Loop: Header=BB156_10 Depth=1
.LBB156_40:                             ;   in Loop: Header=BB156_10 Depth=1
	s_wait_xcnt 0x0
	ds_load_b64 v[20:21], v30 offset:48
	s_wait_dscnt 0x0
	global_store_b64 v[18:19], v[20:21], off offset:48
	s_branch .LBB156_8
.LBB156_41:
	s_endpgm
	.section	.rodata,"a",@progbits
	.p2align	6, 0x0
	.amdhsa_kernel _ZN9rocsparseL44csr2gebsr_wavefront_per_row_multipass_kernelILi256ELi16ELi8ELi32E21rocsparse_complex_numIfEEEv20rocsparse_direction_iiiiii21rocsparse_index_base_PKT3_PKiS9_S4_PS5_PiSB_
		.amdhsa_group_segment_fixed_size 8200
		.amdhsa_private_segment_fixed_size 0
		.amdhsa_kernarg_size 88
		.amdhsa_user_sgpr_count 2
		.amdhsa_user_sgpr_dispatch_ptr 0
		.amdhsa_user_sgpr_queue_ptr 0
		.amdhsa_user_sgpr_kernarg_segment_ptr 1
		.amdhsa_user_sgpr_dispatch_id 0
		.amdhsa_user_sgpr_kernarg_preload_length 0
		.amdhsa_user_sgpr_kernarg_preload_offset 0
		.amdhsa_user_sgpr_private_segment_size 0
		.amdhsa_wavefront_size32 1
		.amdhsa_uses_dynamic_stack 0
		.amdhsa_enable_private_segment 0
		.amdhsa_system_sgpr_workgroup_id_x 1
		.amdhsa_system_sgpr_workgroup_id_y 0
		.amdhsa_system_sgpr_workgroup_id_z 0
		.amdhsa_system_sgpr_workgroup_info 0
		.amdhsa_system_vgpr_workitem_id 0
		.amdhsa_next_free_vgpr 44
		.amdhsa_next_free_sgpr 26
		.amdhsa_named_barrier_count 0
		.amdhsa_reserve_vcc 1
		.amdhsa_float_round_mode_32 0
		.amdhsa_float_round_mode_16_64 0
		.amdhsa_float_denorm_mode_32 3
		.amdhsa_float_denorm_mode_16_64 3
		.amdhsa_fp16_overflow 0
		.amdhsa_memory_ordered 1
		.amdhsa_forward_progress 1
		.amdhsa_inst_pref_size 15
		.amdhsa_round_robin_scheduling 0
		.amdhsa_exception_fp_ieee_invalid_op 0
		.amdhsa_exception_fp_denorm_src 0
		.amdhsa_exception_fp_ieee_div_zero 0
		.amdhsa_exception_fp_ieee_overflow 0
		.amdhsa_exception_fp_ieee_underflow 0
		.amdhsa_exception_fp_ieee_inexact 0
		.amdhsa_exception_int_div_zero 0
	.end_amdhsa_kernel
	.section	.text._ZN9rocsparseL44csr2gebsr_wavefront_per_row_multipass_kernelILi256ELi16ELi8ELi32E21rocsparse_complex_numIfEEEv20rocsparse_direction_iiiiii21rocsparse_index_base_PKT3_PKiS9_S4_PS5_PiSB_,"axG",@progbits,_ZN9rocsparseL44csr2gebsr_wavefront_per_row_multipass_kernelILi256ELi16ELi8ELi32E21rocsparse_complex_numIfEEEv20rocsparse_direction_iiiiii21rocsparse_index_base_PKT3_PKiS9_S4_PS5_PiSB_,comdat
.Lfunc_end156:
	.size	_ZN9rocsparseL44csr2gebsr_wavefront_per_row_multipass_kernelILi256ELi16ELi8ELi32E21rocsparse_complex_numIfEEEv20rocsparse_direction_iiiiii21rocsparse_index_base_PKT3_PKiS9_S4_PS5_PiSB_, .Lfunc_end156-_ZN9rocsparseL44csr2gebsr_wavefront_per_row_multipass_kernelILi256ELi16ELi8ELi32E21rocsparse_complex_numIfEEEv20rocsparse_direction_iiiiii21rocsparse_index_base_PKT3_PKiS9_S4_PS5_PiSB_
                                        ; -- End function
	.set _ZN9rocsparseL44csr2gebsr_wavefront_per_row_multipass_kernelILi256ELi16ELi8ELi32E21rocsparse_complex_numIfEEEv20rocsparse_direction_iiiiii21rocsparse_index_base_PKT3_PKiS9_S4_PS5_PiSB_.num_vgpr, 44
	.set _ZN9rocsparseL44csr2gebsr_wavefront_per_row_multipass_kernelILi256ELi16ELi8ELi32E21rocsparse_complex_numIfEEEv20rocsparse_direction_iiiiii21rocsparse_index_base_PKT3_PKiS9_S4_PS5_PiSB_.num_agpr, 0
	.set _ZN9rocsparseL44csr2gebsr_wavefront_per_row_multipass_kernelILi256ELi16ELi8ELi32E21rocsparse_complex_numIfEEEv20rocsparse_direction_iiiiii21rocsparse_index_base_PKT3_PKiS9_S4_PS5_PiSB_.numbered_sgpr, 26
	.set _ZN9rocsparseL44csr2gebsr_wavefront_per_row_multipass_kernelILi256ELi16ELi8ELi32E21rocsparse_complex_numIfEEEv20rocsparse_direction_iiiiii21rocsparse_index_base_PKT3_PKiS9_S4_PS5_PiSB_.num_named_barrier, 0
	.set _ZN9rocsparseL44csr2gebsr_wavefront_per_row_multipass_kernelILi256ELi16ELi8ELi32E21rocsparse_complex_numIfEEEv20rocsparse_direction_iiiiii21rocsparse_index_base_PKT3_PKiS9_S4_PS5_PiSB_.private_seg_size, 0
	.set _ZN9rocsparseL44csr2gebsr_wavefront_per_row_multipass_kernelILi256ELi16ELi8ELi32E21rocsparse_complex_numIfEEEv20rocsparse_direction_iiiiii21rocsparse_index_base_PKT3_PKiS9_S4_PS5_PiSB_.uses_vcc, 1
	.set _ZN9rocsparseL44csr2gebsr_wavefront_per_row_multipass_kernelILi256ELi16ELi8ELi32E21rocsparse_complex_numIfEEEv20rocsparse_direction_iiiiii21rocsparse_index_base_PKT3_PKiS9_S4_PS5_PiSB_.uses_flat_scratch, 0
	.set _ZN9rocsparseL44csr2gebsr_wavefront_per_row_multipass_kernelILi256ELi16ELi8ELi32E21rocsparse_complex_numIfEEEv20rocsparse_direction_iiiiii21rocsparse_index_base_PKT3_PKiS9_S4_PS5_PiSB_.has_dyn_sized_stack, 0
	.set _ZN9rocsparseL44csr2gebsr_wavefront_per_row_multipass_kernelILi256ELi16ELi8ELi32E21rocsparse_complex_numIfEEEv20rocsparse_direction_iiiiii21rocsparse_index_base_PKT3_PKiS9_S4_PS5_PiSB_.has_recursion, 0
	.set _ZN9rocsparseL44csr2gebsr_wavefront_per_row_multipass_kernelILi256ELi16ELi8ELi32E21rocsparse_complex_numIfEEEv20rocsparse_direction_iiiiii21rocsparse_index_base_PKT3_PKiS9_S4_PS5_PiSB_.has_indirect_call, 0
	.section	.AMDGPU.csdata,"",@progbits
; Kernel info:
; codeLenInByte = 1856
; TotalNumSgprs: 28
; NumVgprs: 44
; ScratchSize: 0
; MemoryBound: 0
; FloatMode: 240
; IeeeMode: 1
; LDSByteSize: 8200 bytes/workgroup (compile time only)
; SGPRBlocks: 0
; VGPRBlocks: 2
; NumSGPRsForWavesPerEU: 28
; NumVGPRsForWavesPerEU: 44
; NamedBarCnt: 0
; Occupancy: 16
; WaveLimiterHint : 0
; COMPUTE_PGM_RSRC2:SCRATCH_EN: 0
; COMPUTE_PGM_RSRC2:USER_SGPR: 2
; COMPUTE_PGM_RSRC2:TRAP_HANDLER: 0
; COMPUTE_PGM_RSRC2:TGID_X_EN: 1
; COMPUTE_PGM_RSRC2:TGID_Y_EN: 0
; COMPUTE_PGM_RSRC2:TGID_Z_EN: 0
; COMPUTE_PGM_RSRC2:TIDIG_COMP_CNT: 0
	.section	.text._ZN9rocsparseL44csr2gebsr_wavefront_per_row_multipass_kernelILi256ELi16ELi16ELi64E21rocsparse_complex_numIfEEEv20rocsparse_direction_iiiiii21rocsparse_index_base_PKT3_PKiS9_S4_PS5_PiSB_,"axG",@progbits,_ZN9rocsparseL44csr2gebsr_wavefront_per_row_multipass_kernelILi256ELi16ELi16ELi64E21rocsparse_complex_numIfEEEv20rocsparse_direction_iiiiii21rocsparse_index_base_PKT3_PKiS9_S4_PS5_PiSB_,comdat
	.globl	_ZN9rocsparseL44csr2gebsr_wavefront_per_row_multipass_kernelILi256ELi16ELi16ELi64E21rocsparse_complex_numIfEEEv20rocsparse_direction_iiiiii21rocsparse_index_base_PKT3_PKiS9_S4_PS5_PiSB_ ; -- Begin function _ZN9rocsparseL44csr2gebsr_wavefront_per_row_multipass_kernelILi256ELi16ELi16ELi64E21rocsparse_complex_numIfEEEv20rocsparse_direction_iiiiii21rocsparse_index_base_PKT3_PKiS9_S4_PS5_PiSB_
	.p2align	8
	.type	_ZN9rocsparseL44csr2gebsr_wavefront_per_row_multipass_kernelILi256ELi16ELi16ELi64E21rocsparse_complex_numIfEEEv20rocsparse_direction_iiiiii21rocsparse_index_base_PKT3_PKiS9_S4_PS5_PiSB_,@function
_ZN9rocsparseL44csr2gebsr_wavefront_per_row_multipass_kernelILi256ELi16ELi16ELi64E21rocsparse_complex_numIfEEEv20rocsparse_direction_iiiiii21rocsparse_index_base_PKT3_PKiS9_S4_PS5_PiSB_: ; @_ZN9rocsparseL44csr2gebsr_wavefront_per_row_multipass_kernelILi256ELi16ELi16ELi64E21rocsparse_complex_numIfEEEv20rocsparse_direction_iiiiii21rocsparse_index_base_PKT3_PKiS9_S4_PS5_PiSB_
; %bb.0:
	s_clause 0x1
	s_load_b128 s[4:7], s[0:1], 0xc
	s_load_b64 s[14:15], s[0:1], 0x0
	s_bfe_u32 s2, ttmp6, 0x4000c
	s_and_b32 s3, ttmp6, 15
	s_add_co_i32 s2, s2, 1
	s_getreg_b32 s8, hwreg(HW_REG_IB_STS2, 6, 4)
	s_mul_i32 s2, ttmp9, s2
	v_dual_lshrrev_b32 v24, 6, v0 :: v_dual_mov_b32 v2, 0
	s_add_co_i32 s3, s3, s2
	s_cmp_eq_u32 s8, 0
	v_bfe_u32 v3, v0, 2, 4
	s_cselect_b32 s2, ttmp9, s3
	s_clause 0x1
	s_load_b32 s20, s[0:1], 0x1c
	s_load_b64 s[8:9], s[0:1], 0x28
	v_lshl_or_b32 v1, s2, 2, v24
	v_mov_b32_e32 v22, 0
	s_wait_kmcnt 0x0
	s_delay_alu instid0(VALU_DEP_2) | instskip(SKIP_1) | instid1(VALU_DEP_2)
	v_mad_u32 v4, v1, s6, v3
	v_cmp_gt_i32_e32 vcc_lo, s6, v3
	v_cmp_gt_i32_e64 s2, s15, v4
	s_and_b32 s2, vcc_lo, s2
	s_delay_alu instid0(SALU_CYCLE_1)
	s_and_saveexec_b32 s3, s2
	s_cbranch_execz .LBB157_2
; %bb.1:
	global_load_b32 v5, v4, s[8:9] scale_offset
	s_wait_loadcnt 0x0
	v_subrev_nc_u32_e32 v22, s20, v5
.LBB157_2:
	s_or_b32 exec_lo, exec_lo, s3
	v_mov_b32_e32 v25, 0
	s_and_saveexec_b32 s3, s2
	s_cbranch_execz .LBB157_4
; %bb.3:
	global_load_b32 v4, v4, s[8:9] offset:4 scale_offset
	s_wait_loadcnt 0x0
	v_subrev_nc_u32_e32 v25, s20, v4
.LBB157_4:
	s_or_b32 exec_lo, exec_lo, s3
	s_load_b32 s21, s[0:1], 0x38
	s_mov_b32 s3, exec_lo
	v_cmpx_gt_i32_e64 s4, v1
	s_cbranch_execz .LBB157_6
; %bb.5:
	s_load_b64 s[8:9], s[0:1], 0x48
	s_wait_kmcnt 0x0
	global_load_b32 v1, v1, s[8:9] scale_offset
	s_wait_loadcnt 0x0
	v_subrev_nc_u32_e32 v2, s21, v1
.LBB157_6:
	s_or_b32 exec_lo, exec_lo, s3
	s_cmp_lt_i32 s5, 1
	s_cbranch_scc1 .LBB157_41
; %bb.7:
	v_mbcnt_lo_u32_b32 v10, -1, 0
	s_clause 0x3
	s_load_b64 s[8:9], s[0:1], 0x50
	s_load_b64 s[2:3], s[0:1], 0x40
	;; [unrolled: 1-line block ×4, first 2 shown]
	s_cmp_lg_u32 s14, 0
	s_mov_b32 s15, 0
	s_cselect_b32 s4, -1, 0
	v_dual_lshlrev_b32 v5, 7, v3 :: v_dual_bitop2_b32 v1, 2, v10 bitop3:0x14
	s_mov_b32 s14, s6
	s_ashr_i32 s17, s7, 31
	s_mov_b32 s16, s7
	s_wait_xcnt 0x0
	v_cmp_gt_i32_e64 s0, 32, v1
	v_xor_b32_e32 v4, 1, v10
	v_lshl_or_b32 v27, v24, 11, v5
	s_mul_u64 s[18:19], s[16:17], s[14:15]
	s_abs_i32 s16, s7
	v_cndmask_b32_e64 v1, v10, v1, s0
	v_cmp_gt_i32_e64 s0, 32, v4
	s_cvt_f32_u32 s1, s16
	v_lshl_or_b32 v30, v10, 2, 12
	v_mov_b64_e32 v[16:17], 0
	v_dual_lshlrev_b32 v28, 2, v1 :: v_dual_cndmask_b32 v6, v10, v4, s0
	v_mul_lo_u32 v4, s7, v3
	v_dual_mov_b32 v1, 0 :: v_dual_bitop2_b32 v26, 3, v0 bitop3:0x40
	s_delay_alu instid0(VALU_DEP_3) | instskip(SKIP_1) | instid1(VALU_DEP_3)
	v_dual_lshlrev_b32 v0, 3, v3 :: v_dual_lshlrev_b32 v29, 2, v6
	v_bfrev_b32_e32 v36, 0.5
	v_dual_mov_b32 v11, v1 :: v_dual_lshlrev_b32 v6, 3, v26
	v_dual_mov_b32 v38, 1 :: v_dual_bitop2_b32 v37, -4, v26 bitop3:0x54
	v_dual_mov_b32 v40, 0 :: v_dual_ashrrev_i32 v5, 31, v4
	s_delay_alu instid0(VALU_DEP_3)
	v_dual_mov_b32 v7, v1 :: v_dual_bitop2_b32 v31, v27, v6 bitop3:0x54
	s_mov_b32 s22, s15
	v_mov_b32_e32 v13, v1
	s_wait_kmcnt 0x0
	v_lshl_add_u64 v[8:9], v[4:5], 3, s[2:3]
	v_add_nc_u64_e32 v[4:5], s[2:3], v[0:1]
	v_xor_b32_e32 v0, 16, v10
	v_dual_mov_b32 v15, v1 :: v_dual_bitop2_b32 v3, 32, v10 bitop3:0x54
	s_delay_alu instid0(VALU_DEP_4) | instskip(NEXT) | instid1(VALU_DEP_2)
	v_add_nc_u64_e32 v[6:7], v[8:9], v[6:7]
	v_cmp_gt_i32_e64 s0, 32, v3
	s_delay_alu instid0(VALU_DEP_1) | instskip(SKIP_1) | instid1(VALU_DEP_1)
	v_dual_cndmask_b32 v3, v10, v3, s0 :: v_dual_bitop2_b32 v8, 8, v10 bitop3:0x14
	v_cmp_gt_i32_e64 s0, 32, v0
	v_dual_lshlrev_b32 v32, 2, v3 :: v_dual_cndmask_b32 v0, v10, v0, s0
	s_delay_alu instid0(VALU_DEP_3) | instskip(NEXT) | instid1(VALU_DEP_2)
	v_cmp_gt_i32_e64 s0, 32, v8
	v_dual_lshlrev_b32 v33, 2, v0 :: v_dual_bitop2_b32 v9, 4, v10 bitop3:0x14
	s_delay_alu instid0(VALU_DEP_2) | instskip(NEXT) | instid1(VALU_DEP_2)
	v_cndmask_b32_e64 v8, v10, v8, s0
	v_cmp_gt_i32_e64 s0, 32, v9
	s_delay_alu instid0(VALU_DEP_1) | instskip(NEXT) | instid1(VALU_DEP_3)
	v_dual_cndmask_b32 v3, v10, v9, s0 :: v_dual_bitop2_b32 v0, 4, v26 bitop3:0x54
	v_lshlrev_b32_e32 v34, 2, v8
	v_mul_lo_u32 v8, v26, s6
	s_lshl_b32 s6, s6, 2
	v_cmp_gt_u32_e64 s0, s7, v26
	v_lshlrev_b32_e32 v35, 2, v3
	v_rcp_iflag_f32_e32 v3, s1
	v_mov_b32_e32 v9, v1
	v_cmp_gt_u32_e64 s1, s7, v0
	v_dual_add_nc_u32 v10, s6, v8 :: v_dual_bitop2_b32 v0, 8, v26 bitop3:0x54
	s_delay_alu instid0(TRANS32_DEP_1) | instskip(SKIP_1) | instid1(VALU_DEP_3)
	v_readfirstlane_b32 s3, v3
	v_or_b32_e32 v3, 12, v26
	v_cmp_gt_u32_e64 s2, s7, v0
	s_and_b32 s1, vcc_lo, s1
	v_add_nc_u32_e32 v12, s6, v10
	s_mul_f32 s14, s3, 0x4f7ffffe
	v_cmp_gt_u32_e64 s3, s7, v3
	s_and_b32 s2, vcc_lo, s2
	s_delay_alu instid0(SALU_CYCLE_1)
	s_cvt_u32_f32 s14, s14
	v_add_nc_u32_e32 v14, s6, v12
	s_and_b32 s6, s0, vcc_lo
	s_sub_co_i32 s0, 0, s16
	s_and_b32 s3, vcc_lo, s3
	s_mul_i32 s0, s0, s14
	s_delay_alu instid0(SALU_CYCLE_1) | instskip(NEXT) | instid1(SALU_CYCLE_1)
	s_mul_hi_u32 s0, s14, s0
	s_add_co_i32 s14, s14, s0
	s_branch .LBB157_10
.LBB157_8:                              ;   in Loop: Header=BB157_10 Depth=1
	s_wait_xcnt 0x0
	s_or_b32 exec_lo, exec_lo, s23
	v_mov_b32_e32 v0, 1
.LBB157_9:                              ;   in Loop: Header=BB157_10 Depth=1
	s_or_b32 exec_lo, exec_lo, s0
	ds_bpermute_b32 v3, v32, v39
	s_wait_storecnt_dscnt 0x0
	v_dual_add_nc_u32 v2, v0, v2 :: v_dual_min_i32 v3, v3, v39
	ds_bpermute_b32 v18, v33, v3
	s_wait_dscnt 0x0
	v_min_i32_e32 v3, v18, v3
	ds_bpermute_b32 v18, v34, v3
	s_wait_dscnt 0x0
	v_min_i32_e32 v3, v18, v3
	;; [unrolled: 3-line block ×5, first 2 shown]
	ds_bpermute_b32 v40, v36, v3
	s_wait_dscnt 0x0
	v_cmp_le_i32_e32 vcc_lo, s5, v40
	s_or_b32 s22, vcc_lo, s22
	s_delay_alu instid0(SALU_CYCLE_1)
	s_and_not1_b32 exec_lo, exec_lo, s22
	s_cbranch_execz .LBB157_41
.LBB157_10:                             ; =>This Loop Header: Depth=1
                                        ;     Child Loop BB157_11 Depth 2
                                        ;     Child Loop BB157_15 Depth 2
	v_dual_mov_b32 v0, v31 :: v_dual_mov_b32 v3, v37
	s_mov_b32 s0, 0
	ds_store_b8 v24, v1 offset:8192
.LBB157_11:                             ;   Parent Loop BB157_10 Depth=1
                                        ; =>  This Inner Loop Header: Depth=2
	v_add_nc_u32_e32 v3, 4, v3
	ds_store_b64 v0, v[16:17]
	v_add_nc_u32_e32 v0, 32, v0
	v_cmp_lt_u32_e32 vcc_lo, 11, v3
	s_or_b32 s0, vcc_lo, s0
	s_delay_alu instid0(SALU_CYCLE_1)
	s_and_not1_b32 exec_lo, exec_lo, s0
	s_cbranch_execnz .LBB157_11
; %bb.12:                               ;   in Loop: Header=BB157_10 Depth=1
	s_or_b32 exec_lo, exec_lo, s0
	v_dual_mov_b32 v39, s5 :: v_dual_add_nc_u32 v18, v22, v26
	v_mov_b32_e32 v19, v25
	s_mov_b32 s23, exec_lo
	s_wait_dscnt 0x0
	s_delay_alu instid0(VALU_DEP_2)
	v_cmpx_lt_i32_e64 v18, v25
	s_cbranch_execz .LBB157_20
; %bb.13:                               ;   in Loop: Header=BB157_10 Depth=1
	v_mul_lo_u32 v3, v40, s7
	v_dual_ashrrev_i32 v19, 31, v18 :: v_dual_mov_b32 v39, s5
	s_mov_b32 s24, 0
	s_delay_alu instid0(VALU_DEP_1)
	v_lshl_add_u64 v[20:21], v[18:19], 2, s[12:13]
	v_lshl_add_u64 v[22:23], v[18:19], 3, s[10:11]
	v_mov_b32_e32 v19, v25
	s_branch .LBB157_15
.LBB157_14:                             ;   in Loop: Header=BB157_15 Depth=2
	s_wait_xcnt 0x0
	s_or_b32 exec_lo, exec_lo, s0
	v_add_nc_u32_e32 v18, 4, v18
	s_xor_b32 s25, vcc_lo, -1
	v_add_nc_u64_e32 v[20:21], 16, v[20:21]
	v_add_nc_u64_e32 v[22:23], 32, v[22:23]
	s_delay_alu instid0(VALU_DEP_3) | instskip(SKIP_1) | instid1(SALU_CYCLE_1)
	v_cmp_ge_i32_e64 s0, v18, v25
	s_or_b32 s0, s25, s0
	s_and_b32 s0, exec_lo, s0
	s_delay_alu instid0(SALU_CYCLE_1) | instskip(NEXT) | instid1(SALU_CYCLE_1)
	s_or_b32 s24, s0, s24
	s_and_not1_b32 exec_lo, exec_lo, s24
	s_cbranch_execz .LBB157_19
.LBB157_15:                             ;   Parent Loop BB157_10 Depth=1
                                        ; =>  This Inner Loop Header: Depth=2
	global_load_b32 v0, v[20:21], off
	s_wait_loadcnt 0x0
	v_subrev_nc_u32_e32 v41, s20, v0
	s_delay_alu instid0(VALU_DEP_1) | instskip(NEXT) | instid1(VALU_DEP_1)
	v_sub_nc_u32_e32 v0, 0, v41
	v_max_i32_e32 v0, v41, v0
	s_delay_alu instid0(VALU_DEP_1) | instskip(NEXT) | instid1(VALU_DEP_1)
	v_mul_u64_e32 v[42:43], s[14:15], v[0:1]
	v_mul_lo_u32 v42, v43, s16
	s_delay_alu instid0(VALU_DEP_1) | instskip(NEXT) | instid1(VALU_DEP_1)
	v_dual_sub_nc_u32 v0, v0, v42 :: v_dual_add_nc_u32 v42, 1, v43
	v_cmp_le_u32_e32 vcc_lo, s16, v0
	s_delay_alu instid0(VALU_DEP_2) | instskip(SKIP_1) | instid1(VALU_DEP_1)
	v_dual_cndmask_b32 v42, v43, v42 :: v_dual_ashrrev_i32 v43, 31, v41
	v_subrev_nc_u32_e32 v44, s16, v0
	v_dual_cndmask_b32 v0, v0, v44, vcc_lo :: v_dual_add_nc_u32 v44, 1, v42
	s_delay_alu instid0(VALU_DEP_1) | instskip(NEXT) | instid1(VALU_DEP_2)
	v_cmp_le_u32_e32 vcc_lo, s16, v0
	v_dual_cndmask_b32 v0, v42, v44, vcc_lo :: v_dual_bitop2_b32 v43, s17, v43 bitop3:0x14
	s_delay_alu instid0(VALU_DEP_1) | instskip(NEXT) | instid1(VALU_DEP_1)
	v_xor_b32_e32 v0, v0, v43
	v_dual_sub_nc_u32 v42, v0, v43 :: v_dual_mov_b32 v0, v19
	s_delay_alu instid0(VALU_DEP_1) | instskip(SKIP_3) | instid1(SALU_CYCLE_1)
	v_cmp_ne_u32_e64 s0, v42, v40
	v_cmp_eq_u32_e32 vcc_lo, v42, v40
	s_wait_xcnt 0x0
	s_and_saveexec_b32 s25, s0
	s_xor_b32 s0, exec_lo, s25
; %bb.16:                               ;   in Loop: Header=BB157_15 Depth=2
	v_min_i32_e32 v39, v42, v39
                                        ; implicit-def: $vgpr41
                                        ; implicit-def: $vgpr0
; %bb.17:                               ;   in Loop: Header=BB157_15 Depth=2
	s_or_saveexec_b32 s0, s0
	v_mov_b32_e32 v19, v18
	s_xor_b32 exec_lo, exec_lo, s0
	s_cbranch_execz .LBB157_14
; %bb.18:                               ;   in Loop: Header=BB157_15 Depth=2
	global_load_b64 v[42:43], v[22:23], off
	v_sub_nc_u32_e32 v19, v41, v3
	s_delay_alu instid0(VALU_DEP_1)
	v_lshl_add_u32 v41, v19, 3, v27
	v_mov_b32_e32 v19, v0
	ds_store_b8 v24, v38 offset:8192
	s_wait_loadcnt 0x0
	ds_store_b64 v41, v[42:43]
	s_branch .LBB157_14
.LBB157_19:                             ;   in Loop: Header=BB157_10 Depth=1
	s_or_b32 exec_lo, exec_lo, s24
.LBB157_20:                             ;   in Loop: Header=BB157_10 Depth=1
	s_delay_alu instid0(SALU_CYCLE_1)
	s_or_b32 exec_lo, exec_lo, s23
	ds_bpermute_b32 v0, v28, v19
	s_wait_dscnt 0x0
	ds_load_u8 v18, v24 offset:8192
	v_min_i32_e32 v0, v0, v19
	ds_bpermute_b32 v3, v29, v0
	s_wait_dscnt 0x0
	v_min_i32_e32 v0, v3, v0
	ds_bpermute_b32 v22, v30, v0
	v_and_b32_e32 v0, 1, v18
	s_delay_alu instid0(VALU_DEP_1)
	v_cmp_eq_u32_e32 vcc_lo, 1, v0
	v_mov_b32_e32 v0, 0
	s_and_saveexec_b32 s0, vcc_lo
	s_cbranch_execz .LBB157_9
; %bb.21:                               ;   in Loop: Header=BB157_10 Depth=1
	v_dual_ashrrev_i32 v3, 31, v2 :: v_dual_add_nc_u32 v0, s21, v40
	s_delay_alu instid0(VALU_DEP_1) | instskip(SKIP_2) | instid1(VALU_DEP_1)
	v_mul_u64_e32 v[18:19], s[18:19], v[2:3]
	global_store_b32 v2, v0, s[8:9] scale_offset
	v_lshlrev_b64_e32 v[18:19], 3, v[18:19]
	v_add_nc_u64_e32 v[20:21], v[4:5], v[18:19]
	v_add_nc_u64_e32 v[18:19], v[6:7], v[18:19]
	s_wait_xcnt 0x0
	s_and_saveexec_b32 s23, s6
	s_cbranch_execz .LBB157_25
; %bb.22:                               ;   in Loop: Header=BB157_10 Depth=1
	s_and_b32 vcc_lo, exec_lo, s4
	s_cbranch_vccz .LBB157_36
; %bb.23:                               ;   in Loop: Header=BB157_10 Depth=1
	ds_load_b64 v[40:41], v31
	v_lshl_add_u64 v[42:43], v[8:9], 3, v[20:21]
	s_wait_dscnt 0x0
	global_store_b64 v[42:43], v[40:41], off
	s_cbranch_execnz .LBB157_25
.LBB157_24:                             ;   in Loop: Header=BB157_10 Depth=1
	s_wait_xcnt 0x0
	ds_load_b64 v[40:41], v31
	s_wait_dscnt 0x0
	global_store_b64 v[18:19], v[40:41], off
.LBB157_25:                             ;   in Loop: Header=BB157_10 Depth=1
	s_wait_xcnt 0x0
	s_or_b32 exec_lo, exec_lo, s23
	s_and_saveexec_b32 s23, s1
	s_cbranch_execz .LBB157_29
; %bb.26:                               ;   in Loop: Header=BB157_10 Depth=1
	s_and_not1_b32 vcc_lo, exec_lo, s4
	s_cbranch_vccnz .LBB157_37
; %bb.27:                               ;   in Loop: Header=BB157_10 Depth=1
	ds_load_b64 v[40:41], v31 offset:32
	v_lshl_add_u64 v[42:43], v[10:11], 3, v[20:21]
	s_wait_dscnt 0x0
	global_store_b64 v[42:43], v[40:41], off
	s_cbranch_execnz .LBB157_29
.LBB157_28:                             ;   in Loop: Header=BB157_10 Depth=1
	s_wait_xcnt 0x0
	ds_load_b64 v[40:41], v31 offset:32
	s_wait_dscnt 0x0
	global_store_b64 v[18:19], v[40:41], off offset:32
.LBB157_29:                             ;   in Loop: Header=BB157_10 Depth=1
	s_wait_xcnt 0x0
	s_or_b32 exec_lo, exec_lo, s23
	s_and_saveexec_b32 s23, s2
	s_cbranch_execz .LBB157_33
; %bb.30:                               ;   in Loop: Header=BB157_10 Depth=1
	s_and_not1_b32 vcc_lo, exec_lo, s4
	s_cbranch_vccnz .LBB157_38
; %bb.31:                               ;   in Loop: Header=BB157_10 Depth=1
	ds_load_b64 v[40:41], v31 offset:64
	v_lshl_add_u64 v[42:43], v[12:13], 3, v[20:21]
	s_wait_dscnt 0x0
	global_store_b64 v[42:43], v[40:41], off
	s_cbranch_execnz .LBB157_33
.LBB157_32:                             ;   in Loop: Header=BB157_10 Depth=1
	s_wait_xcnt 0x0
	ds_load_b64 v[40:41], v31 offset:64
	s_wait_dscnt 0x0
	global_store_b64 v[18:19], v[40:41], off offset:64
.LBB157_33:                             ;   in Loop: Header=BB157_10 Depth=1
	s_wait_xcnt 0x0
	s_or_b32 exec_lo, exec_lo, s23
	s_and_saveexec_b32 s23, s3
	s_cbranch_execz .LBB157_8
; %bb.34:                               ;   in Loop: Header=BB157_10 Depth=1
	s_and_not1_b32 vcc_lo, exec_lo, s4
	s_cbranch_vccnz .LBB157_39
; %bb.35:                               ;   in Loop: Header=BB157_10 Depth=1
	ds_load_b64 v[40:41], v31 offset:96
	v_lshl_add_u64 v[20:21], v[14:15], 3, v[20:21]
	s_wait_dscnt 0x0
	global_store_b64 v[20:21], v[40:41], off
	s_cbranch_execnz .LBB157_8
	s_branch .LBB157_40
.LBB157_36:                             ;   in Loop: Header=BB157_10 Depth=1
	s_branch .LBB157_24
.LBB157_37:                             ;   in Loop: Header=BB157_10 Depth=1
	s_branch .LBB157_28
.LBB157_38:                             ;   in Loop: Header=BB157_10 Depth=1
	s_branch .LBB157_32
.LBB157_39:                             ;   in Loop: Header=BB157_10 Depth=1
.LBB157_40:                             ;   in Loop: Header=BB157_10 Depth=1
	s_wait_xcnt 0x0
	ds_load_b64 v[20:21], v31 offset:96
	s_wait_dscnt 0x0
	global_store_b64 v[18:19], v[20:21], off offset:96
	s_branch .LBB157_8
.LBB157_41:
	s_endpgm
	.section	.rodata,"a",@progbits
	.p2align	6, 0x0
	.amdhsa_kernel _ZN9rocsparseL44csr2gebsr_wavefront_per_row_multipass_kernelILi256ELi16ELi16ELi64E21rocsparse_complex_numIfEEEv20rocsparse_direction_iiiiii21rocsparse_index_base_PKT3_PKiS9_S4_PS5_PiSB_
		.amdhsa_group_segment_fixed_size 8196
		.amdhsa_private_segment_fixed_size 0
		.amdhsa_kernarg_size 88
		.amdhsa_user_sgpr_count 2
		.amdhsa_user_sgpr_dispatch_ptr 0
		.amdhsa_user_sgpr_queue_ptr 0
		.amdhsa_user_sgpr_kernarg_segment_ptr 1
		.amdhsa_user_sgpr_dispatch_id 0
		.amdhsa_user_sgpr_kernarg_preload_length 0
		.amdhsa_user_sgpr_kernarg_preload_offset 0
		.amdhsa_user_sgpr_private_segment_size 0
		.amdhsa_wavefront_size32 1
		.amdhsa_uses_dynamic_stack 0
		.amdhsa_enable_private_segment 0
		.amdhsa_system_sgpr_workgroup_id_x 1
		.amdhsa_system_sgpr_workgroup_id_y 0
		.amdhsa_system_sgpr_workgroup_id_z 0
		.amdhsa_system_sgpr_workgroup_info 0
		.amdhsa_system_vgpr_workitem_id 0
		.amdhsa_next_free_vgpr 45
		.amdhsa_next_free_sgpr 26
		.amdhsa_named_barrier_count 0
		.amdhsa_reserve_vcc 1
		.amdhsa_float_round_mode_32 0
		.amdhsa_float_round_mode_16_64 0
		.amdhsa_float_denorm_mode_32 3
		.amdhsa_float_denorm_mode_16_64 3
		.amdhsa_fp16_overflow 0
		.amdhsa_memory_ordered 1
		.amdhsa_forward_progress 1
		.amdhsa_inst_pref_size 15
		.amdhsa_round_robin_scheduling 0
		.amdhsa_exception_fp_ieee_invalid_op 0
		.amdhsa_exception_fp_denorm_src 0
		.amdhsa_exception_fp_ieee_div_zero 0
		.amdhsa_exception_fp_ieee_overflow 0
		.amdhsa_exception_fp_ieee_underflow 0
		.amdhsa_exception_fp_ieee_inexact 0
		.amdhsa_exception_int_div_zero 0
	.end_amdhsa_kernel
	.section	.text._ZN9rocsparseL44csr2gebsr_wavefront_per_row_multipass_kernelILi256ELi16ELi16ELi64E21rocsparse_complex_numIfEEEv20rocsparse_direction_iiiiii21rocsparse_index_base_PKT3_PKiS9_S4_PS5_PiSB_,"axG",@progbits,_ZN9rocsparseL44csr2gebsr_wavefront_per_row_multipass_kernelILi256ELi16ELi16ELi64E21rocsparse_complex_numIfEEEv20rocsparse_direction_iiiiii21rocsparse_index_base_PKT3_PKiS9_S4_PS5_PiSB_,comdat
.Lfunc_end157:
	.size	_ZN9rocsparseL44csr2gebsr_wavefront_per_row_multipass_kernelILi256ELi16ELi16ELi64E21rocsparse_complex_numIfEEEv20rocsparse_direction_iiiiii21rocsparse_index_base_PKT3_PKiS9_S4_PS5_PiSB_, .Lfunc_end157-_ZN9rocsparseL44csr2gebsr_wavefront_per_row_multipass_kernelILi256ELi16ELi16ELi64E21rocsparse_complex_numIfEEEv20rocsparse_direction_iiiiii21rocsparse_index_base_PKT3_PKiS9_S4_PS5_PiSB_
                                        ; -- End function
	.set _ZN9rocsparseL44csr2gebsr_wavefront_per_row_multipass_kernelILi256ELi16ELi16ELi64E21rocsparse_complex_numIfEEEv20rocsparse_direction_iiiiii21rocsparse_index_base_PKT3_PKiS9_S4_PS5_PiSB_.num_vgpr, 45
	.set _ZN9rocsparseL44csr2gebsr_wavefront_per_row_multipass_kernelILi256ELi16ELi16ELi64E21rocsparse_complex_numIfEEEv20rocsparse_direction_iiiiii21rocsparse_index_base_PKT3_PKiS9_S4_PS5_PiSB_.num_agpr, 0
	.set _ZN9rocsparseL44csr2gebsr_wavefront_per_row_multipass_kernelILi256ELi16ELi16ELi64E21rocsparse_complex_numIfEEEv20rocsparse_direction_iiiiii21rocsparse_index_base_PKT3_PKiS9_S4_PS5_PiSB_.numbered_sgpr, 26
	.set _ZN9rocsparseL44csr2gebsr_wavefront_per_row_multipass_kernelILi256ELi16ELi16ELi64E21rocsparse_complex_numIfEEEv20rocsparse_direction_iiiiii21rocsparse_index_base_PKT3_PKiS9_S4_PS5_PiSB_.num_named_barrier, 0
	.set _ZN9rocsparseL44csr2gebsr_wavefront_per_row_multipass_kernelILi256ELi16ELi16ELi64E21rocsparse_complex_numIfEEEv20rocsparse_direction_iiiiii21rocsparse_index_base_PKT3_PKiS9_S4_PS5_PiSB_.private_seg_size, 0
	.set _ZN9rocsparseL44csr2gebsr_wavefront_per_row_multipass_kernelILi256ELi16ELi16ELi64E21rocsparse_complex_numIfEEEv20rocsparse_direction_iiiiii21rocsparse_index_base_PKT3_PKiS9_S4_PS5_PiSB_.uses_vcc, 1
	.set _ZN9rocsparseL44csr2gebsr_wavefront_per_row_multipass_kernelILi256ELi16ELi16ELi64E21rocsparse_complex_numIfEEEv20rocsparse_direction_iiiiii21rocsparse_index_base_PKT3_PKiS9_S4_PS5_PiSB_.uses_flat_scratch, 0
	.set _ZN9rocsparseL44csr2gebsr_wavefront_per_row_multipass_kernelILi256ELi16ELi16ELi64E21rocsparse_complex_numIfEEEv20rocsparse_direction_iiiiii21rocsparse_index_base_PKT3_PKiS9_S4_PS5_PiSB_.has_dyn_sized_stack, 0
	.set _ZN9rocsparseL44csr2gebsr_wavefront_per_row_multipass_kernelILi256ELi16ELi16ELi64E21rocsparse_complex_numIfEEEv20rocsparse_direction_iiiiii21rocsparse_index_base_PKT3_PKiS9_S4_PS5_PiSB_.has_recursion, 0
	.set _ZN9rocsparseL44csr2gebsr_wavefront_per_row_multipass_kernelILi256ELi16ELi16ELi64E21rocsparse_complex_numIfEEEv20rocsparse_direction_iiiiii21rocsparse_index_base_PKT3_PKiS9_S4_PS5_PiSB_.has_indirect_call, 0
	.section	.AMDGPU.csdata,"",@progbits
; Kernel info:
; codeLenInByte = 1920
; TotalNumSgprs: 28
; NumVgprs: 45
; ScratchSize: 0
; MemoryBound: 0
; FloatMode: 240
; IeeeMode: 1
; LDSByteSize: 8196 bytes/workgroup (compile time only)
; SGPRBlocks: 0
; VGPRBlocks: 2
; NumSGPRsForWavesPerEU: 28
; NumVGPRsForWavesPerEU: 45
; NamedBarCnt: 0
; Occupancy: 16
; WaveLimiterHint : 0
; COMPUTE_PGM_RSRC2:SCRATCH_EN: 0
; COMPUTE_PGM_RSRC2:USER_SGPR: 2
; COMPUTE_PGM_RSRC2:TRAP_HANDLER: 0
; COMPUTE_PGM_RSRC2:TGID_X_EN: 1
; COMPUTE_PGM_RSRC2:TGID_Y_EN: 0
; COMPUTE_PGM_RSRC2:TGID_Z_EN: 0
; COMPUTE_PGM_RSRC2:TIDIG_COMP_CNT: 0
	.section	.text._ZN9rocsparseL44csr2gebsr_wavefront_per_row_multipass_kernelILi256ELi16ELi16ELi32E21rocsparse_complex_numIfEEEv20rocsparse_direction_iiiiii21rocsparse_index_base_PKT3_PKiS9_S4_PS5_PiSB_,"axG",@progbits,_ZN9rocsparseL44csr2gebsr_wavefront_per_row_multipass_kernelILi256ELi16ELi16ELi32E21rocsparse_complex_numIfEEEv20rocsparse_direction_iiiiii21rocsparse_index_base_PKT3_PKiS9_S4_PS5_PiSB_,comdat
	.globl	_ZN9rocsparseL44csr2gebsr_wavefront_per_row_multipass_kernelILi256ELi16ELi16ELi32E21rocsparse_complex_numIfEEEv20rocsparse_direction_iiiiii21rocsparse_index_base_PKT3_PKiS9_S4_PS5_PiSB_ ; -- Begin function _ZN9rocsparseL44csr2gebsr_wavefront_per_row_multipass_kernelILi256ELi16ELi16ELi32E21rocsparse_complex_numIfEEEv20rocsparse_direction_iiiiii21rocsparse_index_base_PKT3_PKiS9_S4_PS5_PiSB_
	.p2align	8
	.type	_ZN9rocsparseL44csr2gebsr_wavefront_per_row_multipass_kernelILi256ELi16ELi16ELi32E21rocsparse_complex_numIfEEEv20rocsparse_direction_iiiiii21rocsparse_index_base_PKT3_PKiS9_S4_PS5_PiSB_,@function
_ZN9rocsparseL44csr2gebsr_wavefront_per_row_multipass_kernelILi256ELi16ELi16ELi32E21rocsparse_complex_numIfEEEv20rocsparse_direction_iiiiii21rocsparse_index_base_PKT3_PKiS9_S4_PS5_PiSB_: ; @_ZN9rocsparseL44csr2gebsr_wavefront_per_row_multipass_kernelILi256ELi16ELi16ELi32E21rocsparse_complex_numIfEEEv20rocsparse_direction_iiiiii21rocsparse_index_base_PKT3_PKiS9_S4_PS5_PiSB_
; %bb.0:
	s_clause 0x1
	s_load_b128 s[8:11], s[0:1], 0xc
	s_load_b64 s[4:5], s[0:1], 0x0
	s_bfe_u32 s2, ttmp6, 0x4000c
	s_and_b32 s3, ttmp6, 15
	s_add_co_i32 s2, s2, 1
	s_getreg_b32 s6, hwreg(HW_REG_IB_STS2, 6, 4)
	s_mul_i32 s2, ttmp9, s2
	v_dual_lshrrev_b32 v32, 5, v0 :: v_dual_mov_b32 v2, 0
	s_add_co_i32 s3, s3, s2
	s_cmp_eq_u32 s6, 0
	v_bfe_u32 v1, v0, 1, 4
	s_cselect_b32 s2, ttmp9, s3
	s_clause 0x1
	s_load_b32 s24, s[0:1], 0x1c
	s_load_b64 s[6:7], s[0:1], 0x28
	v_lshl_or_b32 v3, s2, 3, v32
	v_mov_b32_e32 v30, 0
	s_wait_kmcnt 0x0
	s_delay_alu instid0(VALU_DEP_2) | instskip(SKIP_1) | instid1(VALU_DEP_2)
	v_mad_u32 v4, v3, s10, v1
	v_cmp_gt_i32_e32 vcc_lo, s10, v1
	v_cmp_gt_i32_e64 s2, s5, v4
	s_and_b32 s2, vcc_lo, s2
	s_delay_alu instid0(SALU_CYCLE_1)
	s_and_saveexec_b32 s3, s2
	s_cbranch_execz .LBB158_2
; %bb.1:
	global_load_b32 v5, v4, s[6:7] scale_offset
	s_wait_loadcnt 0x0
	v_subrev_nc_u32_e32 v30, s24, v5
.LBB158_2:
	s_or_b32 exec_lo, exec_lo, s3
	v_mov_b32_e32 v33, 0
	s_and_saveexec_b32 s3, s2
	s_cbranch_execz .LBB158_4
; %bb.3:
	global_load_b32 v4, v4, s[6:7] offset:4 scale_offset
	s_wait_loadcnt 0x0
	v_subrev_nc_u32_e32 v33, s24, v4
.LBB158_4:
	s_or_b32 exec_lo, exec_lo, s3
	s_load_b32 s25, s[0:1], 0x38
	s_mov_b32 s3, exec_lo
	v_cmpx_gt_i32_e64 s8, v3
	s_cbranch_execz .LBB158_6
; %bb.5:
	s_load_b64 s[6:7], s[0:1], 0x48
	s_wait_kmcnt 0x0
	global_load_b32 v2, v3, s[6:7] scale_offset
	s_wait_loadcnt 0x0
	v_subrev_nc_u32_e32 v2, s25, v2
.LBB158_6:
	s_or_b32 exec_lo, exec_lo, s3
	s_cmp_lt_i32 s9, 1
	s_cbranch_scc1 .LBB158_61
; %bb.7:
	v_mbcnt_lo_u32_b32 v3, -1, 0
	s_clause 0x3
	s_load_b64 s[12:13], s[0:1], 0x50
	s_load_b64 s[2:3], s[0:1], 0x40
	;; [unrolled: 1-line block ×4, first 2 shown]
	v_and_b32_e32 v34, 1, v0
	v_mul_lo_u32 v6, s11, v1
	s_cmp_lg_u32 s4, 0
	v_dual_lshlrev_b32 v0, 7, v1 :: v_dual_bitop2_b32 v4, 1, v3 bitop3:0x14
	s_mov_b32 s19, 0
	s_cselect_b32 s8, -1, 0
	s_mov_b32 s18, s10
	s_wait_xcnt 0x0
	v_cmp_gt_i32_e64 s0, 32, v4
	v_lshl_or_b32 v35, v32, 11, v0
	v_lshlrev_b32_e32 v0, 3, v1
	s_ashr_i32 s21, s11, 31
	s_mov_b32 s20, s11
	v_dual_cndmask_b32 v4, v3, v4, s0 :: v_dual_lshlrev_b32 v8, 3, v34
	v_ashrrev_i32_e32 v7, 31, v6
	s_mul_u64 s[22:23], s[20:21], s[18:19]
	s_lshl_b32 s18, s10, 1
	s_delay_alu instid0(VALU_DEP_2)
	v_dual_lshlrev_b32 v37, 2, v4 :: v_dual_mov_b32 v1, 0
	v_or_b32_e32 v38, v35, v8
	s_wait_kmcnt 0x0
	v_lshl_add_u64 v[10:11], v[6:7], 3, s[2:3]
	v_lshl_or_b32 v36, v3, 2, 4
	v_mov_b64_e32 v[24:25], 0
	v_add_nc_u64_e32 v[4:5], s[2:3], v[0:1]
	v_dual_mov_b32 v9, v1 :: v_dual_bitop2_b32 v0, 16, v3 bitop3:0x14
	v_dual_mov_b32 v45, 1 :: v_dual_bitop2_b32 v44, -2, v34 bitop3:0x54
	v_mov_b32_e32 v47, 0
	s_delay_alu instid0(VALU_DEP_3) | instskip(SKIP_3) | instid1(VALU_DEP_4)
	v_cmp_gt_i32_e64 s0, 32, v0
	v_xor_b32_e32 v6, 8, v3
	v_add_nc_u64_e32 v[8:9], v[10:11], v[8:9]
	v_dual_mov_b32 v15, v1 :: v_dual_mov_b32 v11, v1
	v_cndmask_b32_e64 v0, v3, v0, s0
	s_delay_alu instid0(VALU_DEP_4) | instskip(SKIP_3) | instid1(VALU_DEP_4)
	v_cmp_gt_i32_e64 s0, 32, v6
	v_xor_b32_e32 v7, 4, v3
	v_xor_b32_e32 v12, 2, v3
	v_mov_b32_e32 v43, 0x7c
	v_dual_lshlrev_b32 v39, 2, v0 :: v_dual_cndmask_b32 v13, v3, v6, s0
	v_mul_lo_u32 v6, v34, s10
	v_cmp_gt_i32_e64 s0, 32, v7
	s_abs_i32 s10, s11
	v_or_b32_e32 v0, 2, v34
	s_cvt_f32_u32 s5, s10
	v_dual_mov_b32 v17, v1 :: v_dual_cndmask_b32 v7, v3, v7, s0
	v_cmp_gt_i32_e64 s0, 32, v12
	s_delay_alu instid0(SALU_CYCLE_1) | instskip(SKIP_1) | instid1(VALU_DEP_2)
	v_rcp_iflag_f32_e32 v22, s5
	v_dual_mov_b32 v19, v1 :: v_dual_mov_b32 v21, v1
	v_dual_add_nc_u32 v10, s18, v6 :: v_dual_cndmask_b32 v3, v3, v12, s0
	v_dual_lshlrev_b32 v40, 2, v13 :: v_dual_lshlrev_b32 v41, 2, v7
	s_delay_alu instid0(VALU_DEP_2) | instskip(NEXT) | instid1(VALU_DEP_3)
	v_dual_mov_b32 v13, v1 :: v_dual_add_nc_u32 v12, s18, v10
	v_dual_lshlrev_b32 v42, 2, v3 :: v_dual_bitop2_b32 v3, 4, v34 bitop3:0x54
	v_mov_b32_e32 v7, v1
	v_cmp_gt_u32_e64 s1, s11, v0
	s_delay_alu instid0(VALU_DEP_4) | instskip(SKIP_3) | instid1(VALU_DEP_4)
	v_dual_add_nc_u32 v14, s18, v12 :: v_dual_bitop2_b32 v0, 6, v34 bitop3:0x54
	v_cmp_gt_u32_e64 s0, s11, v34
	v_readfirstlane_b32 s26, v22
	v_cmp_gt_u32_e64 s2, s11, v3
	v_add_nc_u32_e32 v16, s18, v14
	v_cmp_gt_u32_e64 s3, s11, v0
	v_or_b32_e32 v0, 10, v34
	v_or_b32_e32 v3, 8, v34
	s_and_b32 s20, s0, vcc_lo
	v_add_nc_u32_e32 v18, s18, v16
	s_mul_f32 s0, s26, 0x4f7ffffe
	v_cmp_gt_u32_e64 s5, s11, v0
	v_cmp_gt_u32_e64 s4, s11, v3
	v_or_b32_e32 v3, 12, v34
	v_dual_mov_b32 v23, v1 :: v_dual_add_nc_u32 v20, s18, v18
	v_or_b32_e32 v0, 14, v34
	s_cvt_u32_f32 s0, s0
	s_delay_alu instid0(VALU_DEP_3) | instskip(NEXT) | instid1(VALU_DEP_3)
	v_cmp_gt_u32_e64 s6, s11, v3
	v_add_nc_u32_e32 v22, s18, v20
	s_sub_co_i32 s18, 0, s10
	v_cmp_gt_u32_e64 s7, s11, v0
	s_mul_i32 s18, s18, s0
	s_and_b32 s1, vcc_lo, s1
	s_mul_hi_u32 s18, s0, s18
	s_and_b32 s2, vcc_lo, s2
	s_and_b32 s3, vcc_lo, s3
	;; [unrolled: 1-line block ×6, first 2 shown]
	s_add_co_i32 s18, s0, s18
	s_mov_b32 s26, s19
	s_branch .LBB158_10
.LBB158_8:                              ;   in Loop: Header=BB158_10 Depth=1
	s_wait_xcnt 0x0
	s_or_b32 exec_lo, exec_lo, s27
	v_mov_b32_e32 v0, 1
.LBB158_9:                              ;   in Loop: Header=BB158_10 Depth=1
	s_or_b32 exec_lo, exec_lo, s0
	ds_bpermute_b32 v3, v39, v46
	s_wait_storecnt_dscnt 0x0
	v_add_nc_u32_e32 v2, v0, v2
	v_min_i32_e32 v3, v3, v46
	ds_bpermute_b32 v26, v40, v3
	s_wait_dscnt 0x0
	v_min_i32_e32 v3, v26, v3
	ds_bpermute_b32 v26, v41, v3
	s_wait_dscnt 0x0
	;; [unrolled: 3-line block ×5, first 2 shown]
	v_cmp_le_i32_e32 vcc_lo, s9, v47
	s_or_b32 s26, vcc_lo, s26
	s_delay_alu instid0(SALU_CYCLE_1)
	s_and_not1_b32 exec_lo, exec_lo, s26
	s_cbranch_execz .LBB158_61
.LBB158_10:                             ; =>This Loop Header: Depth=1
                                        ;     Child Loop BB158_11 Depth 2
                                        ;     Child Loop BB158_15 Depth 2
	v_dual_mov_b32 v0, v38 :: v_dual_mov_b32 v3, v44
	s_mov_b32 s0, 0
	ds_store_b8 v32, v1 offset:16384
.LBB158_11:                             ;   Parent Loop BB158_10 Depth=1
                                        ; =>  This Inner Loop Header: Depth=2
	v_add_nc_u32_e32 v3, 2, v3
	ds_store_b64 v0, v[24:25]
	v_add_nc_u32_e32 v0, 16, v0
	v_cmp_lt_u32_e32 vcc_lo, 13, v3
	s_or_b32 s0, vcc_lo, s0
	s_delay_alu instid0(SALU_CYCLE_1)
	s_and_not1_b32 exec_lo, exec_lo, s0
	s_cbranch_execnz .LBB158_11
; %bb.12:                               ;   in Loop: Header=BB158_10 Depth=1
	s_or_b32 exec_lo, exec_lo, s0
	v_dual_add_nc_u32 v26, v30, v34 :: v_dual_mov_b32 v46, s9
	v_mov_b32_e32 v27, v33
	s_mov_b32 s27, exec_lo
	s_wait_dscnt 0x0
	s_delay_alu instid0(VALU_DEP_2)
	v_cmpx_lt_i32_e64 v26, v33
	s_cbranch_execz .LBB158_20
; %bb.13:                               ;   in Loop: Header=BB158_10 Depth=1
	v_mul_lo_u32 v3, v47, s11
	v_dual_mov_b32 v46, s9 :: v_dual_ashrrev_i32 v27, 31, v26
	s_mov_b32 s28, 0
	s_delay_alu instid0(VALU_DEP_1)
	v_lshl_add_u64 v[28:29], v[26:27], 2, s[16:17]
	v_lshl_add_u64 v[30:31], v[26:27], 3, s[14:15]
	v_mov_b32_e32 v27, v33
	s_branch .LBB158_15
.LBB158_14:                             ;   in Loop: Header=BB158_15 Depth=2
	s_wait_xcnt 0x0
	s_or_b32 exec_lo, exec_lo, s0
	v_add_nc_u32_e32 v26, 2, v26
	s_xor_b32 s29, vcc_lo, -1
	v_add_nc_u64_e32 v[28:29], 8, v[28:29]
	v_add_nc_u64_e32 v[30:31], 16, v[30:31]
	s_delay_alu instid0(VALU_DEP_3) | instskip(SKIP_1) | instid1(SALU_CYCLE_1)
	v_cmp_ge_i32_e64 s0, v26, v33
	s_or_b32 s0, s29, s0
	s_and_b32 s0, exec_lo, s0
	s_delay_alu instid0(SALU_CYCLE_1) | instskip(NEXT) | instid1(SALU_CYCLE_1)
	s_or_b32 s28, s0, s28
	s_and_not1_b32 exec_lo, exec_lo, s28
	s_cbranch_execz .LBB158_19
.LBB158_15:                             ;   Parent Loop BB158_10 Depth=1
                                        ; =>  This Inner Loop Header: Depth=2
	global_load_b32 v0, v[28:29], off
	s_wait_loadcnt 0x0
	v_subrev_nc_u32_e32 v48, s24, v0
	s_delay_alu instid0(VALU_DEP_1) | instskip(NEXT) | instid1(VALU_DEP_1)
	v_sub_nc_u32_e32 v0, 0, v48
	v_max_i32_e32 v0, v48, v0
	s_delay_alu instid0(VALU_DEP_1) | instskip(NEXT) | instid1(VALU_DEP_1)
	v_mul_u64_e32 v[50:51], s[18:19], v[0:1]
	v_mul_lo_u32 v49, v51, s10
	s_delay_alu instid0(VALU_DEP_1) | instskip(NEXT) | instid1(VALU_DEP_1)
	v_dual_sub_nc_u32 v0, v0, v49 :: v_dual_add_nc_u32 v49, 1, v51
	v_cmp_le_u32_e32 vcc_lo, s10, v0
	s_delay_alu instid0(VALU_DEP_2) | instskip(SKIP_1) | instid1(VALU_DEP_1)
	v_dual_cndmask_b32 v49, v51, v49, vcc_lo :: v_dual_ashrrev_i32 v51, 31, v48
	v_subrev_nc_u32_e32 v50, s10, v0
	v_dual_cndmask_b32 v0, v0, v50, vcc_lo :: v_dual_add_nc_u32 v50, 1, v49
	s_delay_alu instid0(VALU_DEP_1) | instskip(NEXT) | instid1(VALU_DEP_2)
	v_cmp_le_u32_e32 vcc_lo, s10, v0
	v_dual_cndmask_b32 v0, v49, v50, vcc_lo :: v_dual_bitop2_b32 v51, s21, v51 bitop3:0x14
	s_delay_alu instid0(VALU_DEP_1) | instskip(NEXT) | instid1(VALU_DEP_1)
	v_xor_b32_e32 v0, v0, v51
	v_dual_mov_b32 v0, v27 :: v_dual_sub_nc_u32 v49, v0, v51
	s_delay_alu instid0(VALU_DEP_1) | instskip(SKIP_3) | instid1(SALU_CYCLE_1)
	v_cmp_ne_u32_e64 s0, v49, v47
	v_cmp_eq_u32_e32 vcc_lo, v49, v47
	s_wait_xcnt 0x0
	s_and_saveexec_b32 s29, s0
	s_xor_b32 s0, exec_lo, s29
; %bb.16:                               ;   in Loop: Header=BB158_15 Depth=2
	v_min_i32_e32 v46, v49, v46
                                        ; implicit-def: $vgpr48
                                        ; implicit-def: $vgpr0
; %bb.17:                               ;   in Loop: Header=BB158_15 Depth=2
	s_or_saveexec_b32 s0, s0
	v_mov_b32_e32 v27, v26
	s_xor_b32 exec_lo, exec_lo, s0
	s_cbranch_execz .LBB158_14
; %bb.18:                               ;   in Loop: Header=BB158_15 Depth=2
	global_load_b64 v[50:51], v[30:31], off
	v_sub_nc_u32_e32 v27, v48, v3
	s_delay_alu instid0(VALU_DEP_1)
	v_lshl_add_u32 v48, v27, 3, v35
	v_mov_b32_e32 v27, v0
	ds_store_b8 v32, v45 offset:16384
	s_wait_loadcnt 0x0
	ds_store_b64 v48, v[50:51]
	s_branch .LBB158_14
.LBB158_19:                             ;   in Loop: Header=BB158_10 Depth=1
	s_or_b32 exec_lo, exec_lo, s28
.LBB158_20:                             ;   in Loop: Header=BB158_10 Depth=1
	s_delay_alu instid0(SALU_CYCLE_1)
	s_or_b32 exec_lo, exec_lo, s27
	ds_bpermute_b32 v0, v37, v27
	s_wait_dscnt 0x0
	ds_load_u8 v3, v32 offset:16384
	v_min_i32_e32 v0, v0, v27
	ds_bpermute_b32 v30, v36, v0
	s_wait_dscnt 0x1
	v_and_b32_e32 v0, 1, v3
	s_delay_alu instid0(VALU_DEP_1)
	v_cmp_eq_u32_e32 vcc_lo, 1, v0
	v_mov_b32_e32 v0, 0
	s_and_saveexec_b32 s0, vcc_lo
	s_cbranch_execz .LBB158_9
; %bb.21:                               ;   in Loop: Header=BB158_10 Depth=1
	v_dual_ashrrev_i32 v3, 31, v2 :: v_dual_add_nc_u32 v0, s25, v47
	s_delay_alu instid0(VALU_DEP_1) | instskip(SKIP_2) | instid1(VALU_DEP_1)
	v_mul_u64_e32 v[26:27], s[22:23], v[2:3]
	global_store_b32 v2, v0, s[12:13] scale_offset
	v_lshlrev_b64_e32 v[26:27], 3, v[26:27]
	v_add_nc_u64_e32 v[28:29], v[4:5], v[26:27]
	v_add_nc_u64_e32 v[26:27], v[8:9], v[26:27]
	s_wait_xcnt 0x0
	s_and_saveexec_b32 s27, s20
	s_cbranch_execz .LBB158_25
; %bb.22:                               ;   in Loop: Header=BB158_10 Depth=1
	s_and_b32 vcc_lo, exec_lo, s8
	s_cbranch_vccz .LBB158_52
; %bb.23:                               ;   in Loop: Header=BB158_10 Depth=1
	ds_load_b64 v[48:49], v38
	v_lshl_add_u64 v[50:51], v[6:7], 3, v[28:29]
	s_wait_dscnt 0x0
	global_store_b64 v[50:51], v[48:49], off
	s_cbranch_execnz .LBB158_25
.LBB158_24:                             ;   in Loop: Header=BB158_10 Depth=1
	s_wait_xcnt 0x0
	ds_load_b64 v[48:49], v38
	s_wait_dscnt 0x0
	global_store_b64 v[26:27], v[48:49], off
.LBB158_25:                             ;   in Loop: Header=BB158_10 Depth=1
	s_wait_xcnt 0x0
	s_or_b32 exec_lo, exec_lo, s27
	s_and_saveexec_b32 s27, s1
	s_cbranch_execz .LBB158_29
; %bb.26:                               ;   in Loop: Header=BB158_10 Depth=1
	s_and_not1_b32 vcc_lo, exec_lo, s8
	s_cbranch_vccnz .LBB158_53
; %bb.27:                               ;   in Loop: Header=BB158_10 Depth=1
	ds_load_b64 v[48:49], v38 offset:16
	v_lshl_add_u64 v[50:51], v[10:11], 3, v[28:29]
	s_wait_dscnt 0x0
	global_store_b64 v[50:51], v[48:49], off
	s_cbranch_execnz .LBB158_29
.LBB158_28:                             ;   in Loop: Header=BB158_10 Depth=1
	s_wait_xcnt 0x0
	ds_load_b64 v[48:49], v38 offset:16
	s_wait_dscnt 0x0
	global_store_b64 v[26:27], v[48:49], off offset:16
.LBB158_29:                             ;   in Loop: Header=BB158_10 Depth=1
	s_wait_xcnt 0x0
	s_or_b32 exec_lo, exec_lo, s27
	s_and_saveexec_b32 s27, s2
	s_cbranch_execz .LBB158_33
; %bb.30:                               ;   in Loop: Header=BB158_10 Depth=1
	s_and_not1_b32 vcc_lo, exec_lo, s8
	s_cbranch_vccnz .LBB158_54
; %bb.31:                               ;   in Loop: Header=BB158_10 Depth=1
	ds_load_b64 v[48:49], v38 offset:32
	v_lshl_add_u64 v[50:51], v[12:13], 3, v[28:29]
	s_wait_dscnt 0x0
	global_store_b64 v[50:51], v[48:49], off
	s_cbranch_execnz .LBB158_33
.LBB158_32:                             ;   in Loop: Header=BB158_10 Depth=1
	s_wait_xcnt 0x0
	ds_load_b64 v[48:49], v38 offset:32
	s_wait_dscnt 0x0
	global_store_b64 v[26:27], v[48:49], off offset:32
.LBB158_33:                             ;   in Loop: Header=BB158_10 Depth=1
	s_wait_xcnt 0x0
	s_or_b32 exec_lo, exec_lo, s27
	s_and_saveexec_b32 s27, s3
	s_cbranch_execz .LBB158_37
; %bb.34:                               ;   in Loop: Header=BB158_10 Depth=1
	s_and_not1_b32 vcc_lo, exec_lo, s8
	s_cbranch_vccnz .LBB158_55
; %bb.35:                               ;   in Loop: Header=BB158_10 Depth=1
	ds_load_b64 v[48:49], v38 offset:48
	v_lshl_add_u64 v[50:51], v[14:15], 3, v[28:29]
	s_wait_dscnt 0x0
	global_store_b64 v[50:51], v[48:49], off
	s_cbranch_execnz .LBB158_37
.LBB158_36:                             ;   in Loop: Header=BB158_10 Depth=1
	s_wait_xcnt 0x0
	ds_load_b64 v[48:49], v38 offset:48
	s_wait_dscnt 0x0
	global_store_b64 v[26:27], v[48:49], off offset:48
.LBB158_37:                             ;   in Loop: Header=BB158_10 Depth=1
	s_wait_xcnt 0x0
	s_or_b32 exec_lo, exec_lo, s27
	s_and_saveexec_b32 s27, s4
	s_cbranch_execz .LBB158_41
; %bb.38:                               ;   in Loop: Header=BB158_10 Depth=1
	s_and_not1_b32 vcc_lo, exec_lo, s8
	s_cbranch_vccnz .LBB158_56
; %bb.39:                               ;   in Loop: Header=BB158_10 Depth=1
	ds_load_b64 v[48:49], v38 offset:64
	v_lshl_add_u64 v[50:51], v[16:17], 3, v[28:29]
	s_wait_dscnt 0x0
	global_store_b64 v[50:51], v[48:49], off
	s_cbranch_execnz .LBB158_41
.LBB158_40:                             ;   in Loop: Header=BB158_10 Depth=1
	s_wait_xcnt 0x0
	ds_load_b64 v[48:49], v38 offset:64
	s_wait_dscnt 0x0
	global_store_b64 v[26:27], v[48:49], off offset:64
.LBB158_41:                             ;   in Loop: Header=BB158_10 Depth=1
	s_wait_xcnt 0x0
	s_or_b32 exec_lo, exec_lo, s27
	s_and_saveexec_b32 s27, s5
	s_cbranch_execz .LBB158_45
; %bb.42:                               ;   in Loop: Header=BB158_10 Depth=1
	s_and_not1_b32 vcc_lo, exec_lo, s8
	s_cbranch_vccnz .LBB158_57
; %bb.43:                               ;   in Loop: Header=BB158_10 Depth=1
	ds_load_b64 v[48:49], v38 offset:80
	v_lshl_add_u64 v[50:51], v[18:19], 3, v[28:29]
	s_wait_dscnt 0x0
	global_store_b64 v[50:51], v[48:49], off
	s_cbranch_execnz .LBB158_45
.LBB158_44:                             ;   in Loop: Header=BB158_10 Depth=1
	s_wait_xcnt 0x0
	ds_load_b64 v[48:49], v38 offset:80
	s_wait_dscnt 0x0
	global_store_b64 v[26:27], v[48:49], off offset:80
.LBB158_45:                             ;   in Loop: Header=BB158_10 Depth=1
	s_wait_xcnt 0x0
	s_or_b32 exec_lo, exec_lo, s27
	s_and_saveexec_b32 s27, s6
	s_cbranch_execz .LBB158_49
; %bb.46:                               ;   in Loop: Header=BB158_10 Depth=1
	s_and_not1_b32 vcc_lo, exec_lo, s8
	s_cbranch_vccnz .LBB158_58
; %bb.47:                               ;   in Loop: Header=BB158_10 Depth=1
	ds_load_b64 v[48:49], v38 offset:96
	v_lshl_add_u64 v[50:51], v[20:21], 3, v[28:29]
	s_wait_dscnt 0x0
	global_store_b64 v[50:51], v[48:49], off
	s_cbranch_execnz .LBB158_49
.LBB158_48:                             ;   in Loop: Header=BB158_10 Depth=1
	s_wait_xcnt 0x0
	ds_load_b64 v[48:49], v38 offset:96
	s_wait_dscnt 0x0
	global_store_b64 v[26:27], v[48:49], off offset:96
.LBB158_49:                             ;   in Loop: Header=BB158_10 Depth=1
	s_wait_xcnt 0x0
	s_or_b32 exec_lo, exec_lo, s27
	s_and_saveexec_b32 s27, s7
	s_cbranch_execz .LBB158_8
; %bb.50:                               ;   in Loop: Header=BB158_10 Depth=1
	s_and_not1_b32 vcc_lo, exec_lo, s8
	s_cbranch_vccnz .LBB158_59
; %bb.51:                               ;   in Loop: Header=BB158_10 Depth=1
	ds_load_b64 v[48:49], v38 offset:112
	v_lshl_add_u64 v[28:29], v[22:23], 3, v[28:29]
	s_wait_dscnt 0x0
	global_store_b64 v[28:29], v[48:49], off
	s_cbranch_execnz .LBB158_8
	s_branch .LBB158_60
.LBB158_52:                             ;   in Loop: Header=BB158_10 Depth=1
	s_branch .LBB158_24
.LBB158_53:                             ;   in Loop: Header=BB158_10 Depth=1
	s_branch .LBB158_28
.LBB158_54:                             ;   in Loop: Header=BB158_10 Depth=1
	s_branch .LBB158_32
.LBB158_55:                             ;   in Loop: Header=BB158_10 Depth=1
	s_branch .LBB158_36
.LBB158_56:                             ;   in Loop: Header=BB158_10 Depth=1
	s_branch .LBB158_40
.LBB158_57:                             ;   in Loop: Header=BB158_10 Depth=1
	s_branch .LBB158_44
.LBB158_58:                             ;   in Loop: Header=BB158_10 Depth=1
	s_branch .LBB158_48
.LBB158_59:                             ;   in Loop: Header=BB158_10 Depth=1
.LBB158_60:                             ;   in Loop: Header=BB158_10 Depth=1
	s_wait_xcnt 0x0
	ds_load_b64 v[28:29], v38 offset:112
	s_wait_dscnt 0x0
	global_store_b64 v[26:27], v[28:29], off offset:112
	s_branch .LBB158_8
.LBB158_61:
	s_endpgm
	.section	.rodata,"a",@progbits
	.p2align	6, 0x0
	.amdhsa_kernel _ZN9rocsparseL44csr2gebsr_wavefront_per_row_multipass_kernelILi256ELi16ELi16ELi32E21rocsparse_complex_numIfEEEv20rocsparse_direction_iiiiii21rocsparse_index_base_PKT3_PKiS9_S4_PS5_PiSB_
		.amdhsa_group_segment_fixed_size 16392
		.amdhsa_private_segment_fixed_size 0
		.amdhsa_kernarg_size 88
		.amdhsa_user_sgpr_count 2
		.amdhsa_user_sgpr_dispatch_ptr 0
		.amdhsa_user_sgpr_queue_ptr 0
		.amdhsa_user_sgpr_kernarg_segment_ptr 1
		.amdhsa_user_sgpr_dispatch_id 0
		.amdhsa_user_sgpr_kernarg_preload_length 0
		.amdhsa_user_sgpr_kernarg_preload_offset 0
		.amdhsa_user_sgpr_private_segment_size 0
		.amdhsa_wavefront_size32 1
		.amdhsa_uses_dynamic_stack 0
		.amdhsa_enable_private_segment 0
		.amdhsa_system_sgpr_workgroup_id_x 1
		.amdhsa_system_sgpr_workgroup_id_y 0
		.amdhsa_system_sgpr_workgroup_id_z 0
		.amdhsa_system_sgpr_workgroup_info 0
		.amdhsa_system_vgpr_workitem_id 0
		.amdhsa_next_free_vgpr 52
		.amdhsa_next_free_sgpr 30
		.amdhsa_named_barrier_count 0
		.amdhsa_reserve_vcc 1
		.amdhsa_float_round_mode_32 0
		.amdhsa_float_round_mode_16_64 0
		.amdhsa_float_denorm_mode_32 3
		.amdhsa_float_denorm_mode_16_64 3
		.amdhsa_fp16_overflow 0
		.amdhsa_memory_ordered 1
		.amdhsa_forward_progress 1
		.amdhsa_inst_pref_size 19
		.amdhsa_round_robin_scheduling 0
		.amdhsa_exception_fp_ieee_invalid_op 0
		.amdhsa_exception_fp_denorm_src 0
		.amdhsa_exception_fp_ieee_div_zero 0
		.amdhsa_exception_fp_ieee_overflow 0
		.amdhsa_exception_fp_ieee_underflow 0
		.amdhsa_exception_fp_ieee_inexact 0
		.amdhsa_exception_int_div_zero 0
	.end_amdhsa_kernel
	.section	.text._ZN9rocsparseL44csr2gebsr_wavefront_per_row_multipass_kernelILi256ELi16ELi16ELi32E21rocsparse_complex_numIfEEEv20rocsparse_direction_iiiiii21rocsparse_index_base_PKT3_PKiS9_S4_PS5_PiSB_,"axG",@progbits,_ZN9rocsparseL44csr2gebsr_wavefront_per_row_multipass_kernelILi256ELi16ELi16ELi32E21rocsparse_complex_numIfEEEv20rocsparse_direction_iiiiii21rocsparse_index_base_PKT3_PKiS9_S4_PS5_PiSB_,comdat
.Lfunc_end158:
	.size	_ZN9rocsparseL44csr2gebsr_wavefront_per_row_multipass_kernelILi256ELi16ELi16ELi32E21rocsparse_complex_numIfEEEv20rocsparse_direction_iiiiii21rocsparse_index_base_PKT3_PKiS9_S4_PS5_PiSB_, .Lfunc_end158-_ZN9rocsparseL44csr2gebsr_wavefront_per_row_multipass_kernelILi256ELi16ELi16ELi32E21rocsparse_complex_numIfEEEv20rocsparse_direction_iiiiii21rocsparse_index_base_PKT3_PKiS9_S4_PS5_PiSB_
                                        ; -- End function
	.set _ZN9rocsparseL44csr2gebsr_wavefront_per_row_multipass_kernelILi256ELi16ELi16ELi32E21rocsparse_complex_numIfEEEv20rocsparse_direction_iiiiii21rocsparse_index_base_PKT3_PKiS9_S4_PS5_PiSB_.num_vgpr, 52
	.set _ZN9rocsparseL44csr2gebsr_wavefront_per_row_multipass_kernelILi256ELi16ELi16ELi32E21rocsparse_complex_numIfEEEv20rocsparse_direction_iiiiii21rocsparse_index_base_PKT3_PKiS9_S4_PS5_PiSB_.num_agpr, 0
	.set _ZN9rocsparseL44csr2gebsr_wavefront_per_row_multipass_kernelILi256ELi16ELi16ELi32E21rocsparse_complex_numIfEEEv20rocsparse_direction_iiiiii21rocsparse_index_base_PKT3_PKiS9_S4_PS5_PiSB_.numbered_sgpr, 30
	.set _ZN9rocsparseL44csr2gebsr_wavefront_per_row_multipass_kernelILi256ELi16ELi16ELi32E21rocsparse_complex_numIfEEEv20rocsparse_direction_iiiiii21rocsparse_index_base_PKT3_PKiS9_S4_PS5_PiSB_.num_named_barrier, 0
	.set _ZN9rocsparseL44csr2gebsr_wavefront_per_row_multipass_kernelILi256ELi16ELi16ELi32E21rocsparse_complex_numIfEEEv20rocsparse_direction_iiiiii21rocsparse_index_base_PKT3_PKiS9_S4_PS5_PiSB_.private_seg_size, 0
	.set _ZN9rocsparseL44csr2gebsr_wavefront_per_row_multipass_kernelILi256ELi16ELi16ELi32E21rocsparse_complex_numIfEEEv20rocsparse_direction_iiiiii21rocsparse_index_base_PKT3_PKiS9_S4_PS5_PiSB_.uses_vcc, 1
	.set _ZN9rocsparseL44csr2gebsr_wavefront_per_row_multipass_kernelILi256ELi16ELi16ELi32E21rocsparse_complex_numIfEEEv20rocsparse_direction_iiiiii21rocsparse_index_base_PKT3_PKiS9_S4_PS5_PiSB_.uses_flat_scratch, 0
	.set _ZN9rocsparseL44csr2gebsr_wavefront_per_row_multipass_kernelILi256ELi16ELi16ELi32E21rocsparse_complex_numIfEEEv20rocsparse_direction_iiiiii21rocsparse_index_base_PKT3_PKiS9_S4_PS5_PiSB_.has_dyn_sized_stack, 0
	.set _ZN9rocsparseL44csr2gebsr_wavefront_per_row_multipass_kernelILi256ELi16ELi16ELi32E21rocsparse_complex_numIfEEEv20rocsparse_direction_iiiiii21rocsparse_index_base_PKT3_PKiS9_S4_PS5_PiSB_.has_recursion, 0
	.set _ZN9rocsparseL44csr2gebsr_wavefront_per_row_multipass_kernelILi256ELi16ELi16ELi32E21rocsparse_complex_numIfEEEv20rocsparse_direction_iiiiii21rocsparse_index_base_PKT3_PKiS9_S4_PS5_PiSB_.has_indirect_call, 0
	.section	.AMDGPU.csdata,"",@progbits
; Kernel info:
; codeLenInByte = 2324
; TotalNumSgprs: 32
; NumVgprs: 52
; ScratchSize: 0
; MemoryBound: 0
; FloatMode: 240
; IeeeMode: 1
; LDSByteSize: 16392 bytes/workgroup (compile time only)
; SGPRBlocks: 0
; VGPRBlocks: 3
; NumSGPRsForWavesPerEU: 32
; NumVGPRsForWavesPerEU: 52
; NamedBarCnt: 0
; Occupancy: 16
; WaveLimiterHint : 0
; COMPUTE_PGM_RSRC2:SCRATCH_EN: 0
; COMPUTE_PGM_RSRC2:USER_SGPR: 2
; COMPUTE_PGM_RSRC2:TRAP_HANDLER: 0
; COMPUTE_PGM_RSRC2:TGID_X_EN: 1
; COMPUTE_PGM_RSRC2:TGID_Y_EN: 0
; COMPUTE_PGM_RSRC2:TGID_Z_EN: 0
; COMPUTE_PGM_RSRC2:TIDIG_COMP_CNT: 0
	.section	.text._ZN9rocsparseL40csr2gebsr_block_per_row_multipass_kernelILj128ELj16ELj32E21rocsparse_complex_numIfEEEv20rocsparse_direction_iiiiii21rocsparse_index_base_PKT2_PKiS9_S4_PS5_PiSB_,"axG",@progbits,_ZN9rocsparseL40csr2gebsr_block_per_row_multipass_kernelILj128ELj16ELj32E21rocsparse_complex_numIfEEEv20rocsparse_direction_iiiiii21rocsparse_index_base_PKT2_PKiS9_S4_PS5_PiSB_,comdat
	.globl	_ZN9rocsparseL40csr2gebsr_block_per_row_multipass_kernelILj128ELj16ELj32E21rocsparse_complex_numIfEEEv20rocsparse_direction_iiiiii21rocsparse_index_base_PKT2_PKiS9_S4_PS5_PiSB_ ; -- Begin function _ZN9rocsparseL40csr2gebsr_block_per_row_multipass_kernelILj128ELj16ELj32E21rocsparse_complex_numIfEEEv20rocsparse_direction_iiiiii21rocsparse_index_base_PKT2_PKiS9_S4_PS5_PiSB_
	.p2align	8
	.type	_ZN9rocsparseL40csr2gebsr_block_per_row_multipass_kernelILj128ELj16ELj32E21rocsparse_complex_numIfEEEv20rocsparse_direction_iiiiii21rocsparse_index_base_PKT2_PKiS9_S4_PS5_PiSB_,@function
_ZN9rocsparseL40csr2gebsr_block_per_row_multipass_kernelILj128ELj16ELj32E21rocsparse_complex_numIfEEEv20rocsparse_direction_iiiiii21rocsparse_index_base_PKT2_PKiS9_S4_PS5_PiSB_: ; @_ZN9rocsparseL40csr2gebsr_block_per_row_multipass_kernelILj128ELj16ELj32E21rocsparse_complex_numIfEEEv20rocsparse_direction_iiiiii21rocsparse_index_base_PKT2_PKiS9_S4_PS5_PiSB_
; %bb.0:
	s_clause 0x1
	s_load_b128 s[12:15], s[0:1], 0x10
	s_load_b64 s[6:7], s[0:1], 0x0
	s_bfe_u32 s2, ttmp6, 0x4000c
	s_and_b32 s3, ttmp6, 15
	s_add_co_i32 s2, s2, 1
	s_getreg_b32 s4, hwreg(HW_REG_IB_STS2, 6, 4)
	s_mul_i32 s2, ttmp9, s2
	v_dual_mov_b32 v22, 0 :: v_dual_lshrrev_b32 v1, 3, v0
	s_add_co_i32 s3, s3, s2
	s_cmp_eq_u32 s4, 0
	s_load_b64 s[8:9], s[0:1], 0x28
	s_cselect_b32 s4, ttmp9, s3
	v_mov_b32_e32 v30, 0
	s_wait_kmcnt 0x0
	v_mad_u32 v2, s13, s4, v1
	v_cmp_gt_i32_e32 vcc_lo, s13, v1
	s_delay_alu instid0(VALU_DEP_2) | instskip(SKIP_1) | instid1(SALU_CYCLE_1)
	v_cmp_gt_i32_e64 s2, s7, v2
	s_and_b32 s2, vcc_lo, s2
	s_and_saveexec_b32 s3, s2
	s_cbranch_execnz .LBB159_3
; %bb.1:
	s_or_b32 exec_lo, exec_lo, s3
	s_and_saveexec_b32 s3, s2
	s_cbranch_execnz .LBB159_4
.LBB159_2:
	s_or_b32 exec_lo, exec_lo, s3
	s_cmp_lt_i32 s12, 1
	s_cbranch_scc0 .LBB159_5
	s_branch .LBB159_51
.LBB159_3:
	global_load_b32 v3, v2, s[8:9] scale_offset
	s_wait_loadcnt 0x0
	v_subrev_nc_u32_e32 v30, s15, v3
	s_or_b32 exec_lo, exec_lo, s3
	s_and_saveexec_b32 s3, s2
	s_cbranch_execz .LBB159_2
.LBB159_4:
	global_load_b32 v2, v2, s[8:9] offset:4 scale_offset
	s_wait_loadcnt 0x0
	v_subrev_nc_u32_e32 v22, s15, v2
	s_or_b32 exec_lo, exec_lo, s3
	s_cmp_lt_i32 s12, 1
	s_cbranch_scc1 .LBB159_51
.LBB159_5:
	s_clause 0x3
	s_load_b128 s[8:11], s[0:1], 0x40
	s_load_b64 s[20:21], s[0:1], 0x50
	s_load_b96 s[16:18], s[0:1], 0x30
	s_load_b64 s[22:23], s[0:1], 0x20
	v_mbcnt_lo_u32_b32 v5, -1, 0
	s_ashr_i32 s5, s4, 31
	v_dual_lshlrev_b32 v24, 8, v1 :: v_dual_bitop2_b32 v23, 7, v0 bitop3:0x40
	s_lshl_b64 s[4:5], s[4:5], 2
	v_dual_mov_b32 v3, 0 :: v_dual_lshlrev_b32 v2, 3, v1
	v_mul_lo_u32 v4, s14, v1
	v_xor_b32_e32 v1, 4, v5
	v_xor_b32_e32 v7, 1, v5
	s_delay_alu instid0(VALU_DEP_4)
	v_dual_mov_b32 v15, v3 :: v_dual_bitop2_b32 v6, 2, v5 bitop3:0x14
	v_lshl_or_b32 v26, v5, 2, 28
	v_mul_lo_u32 v8, v23, s13
	s_mov_b32 s24, s13
	v_dual_lshlrev_b32 v25, 2, v0 :: v_dual_lshlrev_b32 v14, 3, v23
	s_wait_kmcnt 0x0
	s_add_nc_u64 s[4:5], s[10:11], s[4:5]
	v_cmp_gt_u32_e64 s0, 64, v0
	s_load_b32 s10, s[4:5], 0x0
	s_wait_xcnt 0x0
	v_cmp_gt_i32_e64 s5, 32, v1
	v_cmp_gt_u32_e64 s1, 32, v0
	v_cmp_gt_u32_e64 s2, 16, v0
	;; [unrolled: 1-line block ×4, first 2 shown]
	v_cndmask_b32_e64 v1, v5, v1, s5
	v_cmp_gt_i32_e64 s5, 32, v6
	v_cmp_gt_u32_e64 s7, s14, v23
	s_mov_b32 s25, 0
	s_mov_b32 s26, s14
	v_dual_mov_b32 v13, v3 :: v_dual_add_nc_u32 v31, v14, v24
	v_cndmask_b32_e64 v6, v5, v6, s5
	v_cmp_gt_i32_e64 s5, 32, v7
	v_dual_mov_b32 v32, 1 :: v_dual_mov_b32 v18, 0
	s_delay_alu instid0(VALU_DEP_3) | instskip(NEXT) | instid1(VALU_DEP_3)
	v_dual_mov_b32 v9, v3 :: v_dual_lshlrev_b32 v28, 2, v6
	v_dual_cndmask_b32 v7, v5, v7, s5 :: v_dual_ashrrev_i32 v5, 31, v4
	s_wait_kmcnt 0x0
	s_sub_co_i32 s10, s10, s18
	s_cmp_lg_u32 s6, 0
	s_delay_alu instid0(VALU_DEP_1)
	v_dual_lshlrev_b32 v27, 2, v1 :: v_dual_lshlrev_b32 v29, 2, v7
	v_lshl_add_u64 v[6:7], v[4:5], 3, s[8:9]
	v_add_nc_u64_e32 v[4:5], s[8:9], v[2:3]
	s_cselect_b32 s9, -1, 0
	s_abs_i32 s19, s14
	v_or_b32_e32 v1, 8, v23
	s_cvt_f32_u32 s11, s19
	v_cmp_gt_u32_e64 s5, 2, v0
	v_cmp_eq_u32_e64 s6, 0, v0
	v_or_b32_e32 v2, 16, v23
	v_cmp_gt_u32_e64 s8, s14, v1
	v_rcp_iflag_f32_e32 v1, s11
	s_lshl_b32 s11, s13, 3
	s_ashr_i32 s27, s14, 31
	v_add_nc_u32_e32 v0, s11, v8
	s_mul_u64 s[28:29], s[26:27], s[24:25]
	s_and_b32 s26, vcc_lo, s7
	v_add_nc_u64_e32 v[6:7], v[6:7], v[14:15]
	v_readfirstlane_b32 s13, v1
	v_mov_b32_e32 v1, v3
	v_cmp_gt_u32_e64 s7, s14, v2
	v_dual_add_nc_u32 v10, s11, v0 :: v_dual_bitop2_b32 v2, 24, v23 bitop3:0x54
	s_mul_f32 s24, s13, 0x4f7ffffe
	v_mov_b32_e32 v11, v3
	s_and_b32 s13, vcc_lo, s7
	s_delay_alu instid0(VALU_DEP_2)
	v_cmp_gt_u32_e64 s7, s14, v2
	s_cvt_u32_f32 s24, s24
	v_add_nc_u32_e32 v12, s11, v10
	s_sub_co_i32 s11, 0, s19
	v_mov_b64_e32 v[14:15], 0
	s_mul_i32 s11, s11, s24
	s_and_b32 s8, vcc_lo, s8
	s_mul_hi_u32 s11, s24, s11
	s_and_b32 s30, vcc_lo, s7
	s_add_co_i32 s24, s24, s11
	s_branch .LBB159_7
.LBB159_6:                              ;   in Loop: Header=BB159_7 Depth=1
	s_or_b32 exec_lo, exec_lo, s11
	s_wait_dscnt 0x0
	s_barrier_signal -1
	s_barrier_wait -1
	ds_load_b32 v18, v3
	s_add_co_i32 s10, s7, s10
	s_wait_dscnt 0x0
	s_barrier_signal -1
	s_barrier_wait -1
	v_cmp_gt_i32_e32 vcc_lo, s12, v18
	s_cbranch_vccz .LBB159_51
.LBB159_7:                              ; =>This Loop Header: Depth=1
                                        ;     Child Loop BB159_10 Depth 2
	v_dual_mov_b32 v33, s12 :: v_dual_add_nc_u32 v16, v30, v23
	v_mov_b32_e32 v17, v22
	s_mov_b32 s11, exec_lo
	ds_store_b8 v3, v3 offset:4096
	ds_store_2addr_b64 v31, v[14:15], v[14:15] offset1:8
	ds_store_2addr_b64 v31, v[14:15], v[14:15] offset0:16 offset1:24
	s_wait_dscnt 0x0
	s_barrier_signal -1
	s_barrier_wait -1
	v_cmpx_lt_i32_e64 v16, v22
	s_cbranch_execz .LBB159_15
; %bb.8:                                ;   in Loop: Header=BB159_7 Depth=1
	v_mul_lo_u32 v19, v18, s14
	v_dual_mov_b32 v33, s12 :: v_dual_mov_b32 v17, v22
	s_mov_b32 s31, 0
	s_branch .LBB159_10
.LBB159_9:                              ;   in Loop: Header=BB159_10 Depth=2
	s_wait_xcnt 0x0
	s_or_b32 exec_lo, exec_lo, s7
	v_add_nc_u32_e32 v16, 8, v16
	s_xor_b32 s33, vcc_lo, -1
	s_delay_alu instid0(VALU_DEP_1) | instskip(SKIP_1) | instid1(SALU_CYCLE_1)
	v_cmp_ge_i32_e64 s7, v16, v22
	s_or_b32 s7, s33, s7
	s_and_b32 s7, exec_lo, s7
	s_delay_alu instid0(SALU_CYCLE_1) | instskip(NEXT) | instid1(SALU_CYCLE_1)
	s_or_b32 s31, s7, s31
	s_and_not1_b32 exec_lo, exec_lo, s31
	s_cbranch_execz .LBB159_14
.LBB159_10:                             ;   Parent Loop BB159_7 Depth=1
                                        ; =>  This Inner Loop Header: Depth=2
	global_load_b32 v2, v16, s[16:17] scale_offset
	s_wait_loadcnt 0x0
	v_subrev_nc_u32_e32 v20, s15, v2
	s_delay_alu instid0(VALU_DEP_1) | instskip(NEXT) | instid1(VALU_DEP_1)
	v_sub_nc_u32_e32 v2, 0, v20
	v_max_i32_e32 v2, v20, v2
	s_delay_alu instid0(VALU_DEP_1) | instskip(SKIP_1) | instid1(VALU_DEP_1)
	v_mul_u64_e32 v[34:35], s[24:25], v[2:3]
	v_ashrrev_i32_e32 v34, 31, v20
	v_xor_b32_e32 v34, s27, v34
	s_delay_alu instid0(VALU_DEP_3) | instskip(NEXT) | instid1(VALU_DEP_1)
	v_mul_lo_u32 v21, v35, s19
	v_dual_sub_nc_u32 v2, v2, v21 :: v_dual_add_nc_u32 v21, 1, v35
	s_delay_alu instid0(VALU_DEP_1) | instskip(SKIP_1) | instid1(VALU_DEP_2)
	v_subrev_nc_u32_e32 v30, s19, v2
	v_cmp_le_u32_e32 vcc_lo, s19, v2
	v_dual_cndmask_b32 v21, v35, v21 :: v_dual_cndmask_b32 v2, v2, v30
	s_delay_alu instid0(VALU_DEP_1) | instskip(NEXT) | instid1(VALU_DEP_2)
	v_add_nc_u32_e32 v30, 1, v21
	v_cmp_le_u32_e32 vcc_lo, s19, v2
	s_delay_alu instid0(VALU_DEP_2) | instskip(NEXT) | instid1(VALU_DEP_1)
	v_cndmask_b32_e32 v2, v21, v30, vcc_lo
	v_xor_b32_e32 v2, v2, v34
	s_delay_alu instid0(VALU_DEP_1) | instskip(NEXT) | instid1(VALU_DEP_1)
	v_dual_mov_b32 v2, v17 :: v_dual_sub_nc_u32 v21, v2, v34
	v_cmp_ne_u32_e64 s7, v21, v18
	v_cmp_eq_u32_e32 vcc_lo, v21, v18
	s_wait_xcnt 0x0
	s_and_saveexec_b32 s33, s7
	s_delay_alu instid0(SALU_CYCLE_1)
	s_xor_b32 s7, exec_lo, s33
; %bb.11:                               ;   in Loop: Header=BB159_10 Depth=2
	v_min_i32_e32 v33, v21, v33
                                        ; implicit-def: $vgpr20
                                        ; implicit-def: $vgpr2
; %bb.12:                               ;   in Loop: Header=BB159_10 Depth=2
	s_or_saveexec_b32 s7, s7
	v_mov_b32_e32 v17, v16
	s_xor_b32 exec_lo, exec_lo, s7
	s_cbranch_execz .LBB159_9
; %bb.13:                               ;   in Loop: Header=BB159_10 Depth=2
	v_ashrrev_i32_e32 v17, 31, v16
	s_delay_alu instid0(VALU_DEP_1)
	v_lshl_add_u64 v[34:35], v[16:17], 3, s[22:23]
	v_sub_nc_u32_e32 v17, v20, v19
	global_load_b64 v[34:35], v[34:35], off
	v_lshl_add_u32 v20, v17, 3, v24
	v_mov_b32_e32 v17, v2
	ds_store_b8 v3, v32 offset:4096
	s_wait_loadcnt 0x0
	ds_store_b64 v20, v[34:35]
	s_branch .LBB159_9
.LBB159_14:                             ;   in Loop: Header=BB159_7 Depth=1
	s_or_b32 exec_lo, exec_lo, s31
.LBB159_15:                             ;   in Loop: Header=BB159_7 Depth=1
	s_delay_alu instid0(SALU_CYCLE_1)
	s_or_b32 exec_lo, exec_lo, s11
	ds_bpermute_b32 v2, v27, v17
	s_wait_dscnt 0x0
	s_barrier_signal -1
	s_barrier_wait -1
	s_mov_b32 s7, 0
	v_min_i32_e32 v2, v2, v17
	ds_load_u8 v17, v3 offset:4096
	ds_bpermute_b32 v16, v28, v2
	s_wait_dscnt 0x0
	v_min_i32_e32 v2, v16, v2
	ds_bpermute_b32 v16, v29, v2
	s_wait_dscnt 0x0
	v_min_i32_e32 v2, v16, v2
	ds_bpermute_b32 v30, v26, v2
	v_and_b32_e32 v2, 1, v17
	s_delay_alu instid0(VALU_DEP_1)
	v_cmp_eq_u32_e32 vcc_lo, 0, v2
	s_cbranch_vccnz .LBB159_33
; %bb.16:                               ;   in Loop: Header=BB159_7 Depth=1
	s_ashr_i32 s11, s10, 31
	v_dual_add_nc_u32 v2, s18, v18 :: v_dual_mov_b32 v20, s10
	s_mul_u64 s[34:35], s[28:29], s[10:11]
	s_delay_alu instid0(SALU_CYCLE_1) | instskip(NEXT) | instid1(SALU_CYCLE_1)
	s_lshl_b64 s[34:35], s[34:35], 3
	v_add_nc_u64_e32 v[18:19], s[34:35], v[4:5]
	v_add_nc_u64_e32 v[16:17], s[34:35], v[6:7]
	global_store_b32 v20, v2, s[20:21] scale_offset
	s_wait_xcnt 0x0
	s_and_saveexec_b32 s7, s26
	s_cbranch_execz .LBB159_20
; %bb.17:                               ;   in Loop: Header=BB159_7 Depth=1
	s_and_b32 vcc_lo, exec_lo, s9
	s_cbranch_vccz .LBB159_47
; %bb.18:                               ;   in Loop: Header=BB159_7 Depth=1
	ds_load_b64 v[20:21], v31
	v_lshl_add_u64 v[34:35], v[8:9], 3, v[18:19]
	s_wait_dscnt 0x0
	global_store_b64 v[34:35], v[20:21], off
	s_cbranch_execnz .LBB159_20
.LBB159_19:                             ;   in Loop: Header=BB159_7 Depth=1
	s_wait_xcnt 0x0
	ds_load_b64 v[20:21], v31
	s_wait_dscnt 0x0
	global_store_b64 v[16:17], v[20:21], off
.LBB159_20:                             ;   in Loop: Header=BB159_7 Depth=1
	s_wait_xcnt 0x0
	s_or_b32 exec_lo, exec_lo, s7
	s_and_saveexec_b32 s7, s8
	s_cbranch_execz .LBB159_24
; %bb.21:                               ;   in Loop: Header=BB159_7 Depth=1
	ds_load_b64 v[20:21], v31 offset:64
	s_and_not1_b32 vcc_lo, exec_lo, s9
	s_cbranch_vccnz .LBB159_48
; %bb.22:                               ;   in Loop: Header=BB159_7 Depth=1
	v_lshl_add_u64 v[34:35], v[0:1], 3, v[18:19]
	s_wait_dscnt 0x0
	global_store_b64 v[34:35], v[20:21], off
	s_cbranch_execnz .LBB159_24
.LBB159_23:                             ;   in Loop: Header=BB159_7 Depth=1
	s_wait_dscnt 0x0
	global_store_b64 v[16:17], v[20:21], off offset:64
.LBB159_24:                             ;   in Loop: Header=BB159_7 Depth=1
	s_wait_xcnt 0x0
	s_or_b32 exec_lo, exec_lo, s7
	s_and_saveexec_b32 s7, s13
	s_cbranch_execz .LBB159_28
; %bb.25:                               ;   in Loop: Header=BB159_7 Depth=1
	s_wait_dscnt 0x0
	ds_load_b64 v[20:21], v31 offset:128
	s_and_not1_b32 vcc_lo, exec_lo, s9
	s_cbranch_vccnz .LBB159_49
; %bb.26:                               ;   in Loop: Header=BB159_7 Depth=1
	v_lshl_add_u64 v[34:35], v[10:11], 3, v[18:19]
	s_wait_dscnt 0x0
	global_store_b64 v[34:35], v[20:21], off
	s_cbranch_execnz .LBB159_28
.LBB159_27:                             ;   in Loop: Header=BB159_7 Depth=1
	s_wait_dscnt 0x0
	global_store_b64 v[16:17], v[20:21], off offset:128
.LBB159_28:                             ;   in Loop: Header=BB159_7 Depth=1
	s_wait_xcnt 0x0
	s_or_b32 exec_lo, exec_lo, s7
	s_and_saveexec_b32 s7, s30
	s_cbranch_execz .LBB159_32
; %bb.29:                               ;   in Loop: Header=BB159_7 Depth=1
	s_wait_dscnt 0x0
	ds_load_b64 v[20:21], v31 offset:192
	s_and_not1_b32 vcc_lo, exec_lo, s9
	s_cbranch_vccnz .LBB159_50
; %bb.30:                               ;   in Loop: Header=BB159_7 Depth=1
	v_lshl_add_u64 v[18:19], v[12:13], 3, v[18:19]
	s_wait_dscnt 0x0
	global_store_b64 v[18:19], v[20:21], off
	s_cbranch_execnz .LBB159_32
.LBB159_31:                             ;   in Loop: Header=BB159_7 Depth=1
	s_wait_dscnt 0x0
	global_store_b64 v[16:17], v[20:21], off offset:192
.LBB159_32:                             ;   in Loop: Header=BB159_7 Depth=1
	s_wait_xcnt 0x0
	s_or_b32 exec_lo, exec_lo, s7
	s_mov_b32 s7, 1
.LBB159_33:                             ;   in Loop: Header=BB159_7 Depth=1
	s_wait_storecnt_dscnt 0x0
	s_barrier_signal -1
	s_barrier_wait -1
	ds_store_b32 v25, v33
	s_wait_dscnt 0x0
	s_barrier_signal -1
	s_barrier_wait -1
	s_and_saveexec_b32 s11, s0
	s_cbranch_execz .LBB159_35
; %bb.34:                               ;   in Loop: Header=BB159_7 Depth=1
	ds_load_2addr_stride64_b32 v[16:17], v25 offset1:1
	s_wait_dscnt 0x0
	v_min_i32_e32 v2, v17, v16
	ds_store_b32 v25, v2
.LBB159_35:                             ;   in Loop: Header=BB159_7 Depth=1
	s_or_b32 exec_lo, exec_lo, s11
	s_wait_dscnt 0x0
	s_barrier_signal -1
	s_barrier_wait -1
	s_and_saveexec_b32 s11, s1
	s_cbranch_execz .LBB159_37
; %bb.36:                               ;   in Loop: Header=BB159_7 Depth=1
	ds_load_2addr_b32 v[16:17], v25 offset1:32
	s_wait_dscnt 0x0
	v_min_i32_e32 v2, v17, v16
	ds_store_b32 v25, v2
.LBB159_37:                             ;   in Loop: Header=BB159_7 Depth=1
	s_or_b32 exec_lo, exec_lo, s11
	s_wait_dscnt 0x0
	s_barrier_signal -1
	s_barrier_wait -1
	s_and_saveexec_b32 s11, s2
	s_cbranch_execz .LBB159_39
; %bb.38:                               ;   in Loop: Header=BB159_7 Depth=1
	ds_load_2addr_b32 v[16:17], v25 offset1:16
	s_wait_dscnt 0x0
	v_min_i32_e32 v2, v17, v16
	ds_store_b32 v25, v2
.LBB159_39:                             ;   in Loop: Header=BB159_7 Depth=1
	;; [unrolled: 12-line block ×5, first 2 shown]
	s_or_b32 exec_lo, exec_lo, s11
	s_wait_dscnt 0x0
	s_barrier_signal -1
	s_barrier_wait -1
	s_and_saveexec_b32 s11, s6
	s_cbranch_execz .LBB159_6
; %bb.46:                               ;   in Loop: Header=BB159_7 Depth=1
	ds_load_b64 v[16:17], v3
	s_wait_dscnt 0x0
	v_min_i32_e32 v2, v17, v16
	ds_store_b32 v3, v2
	s_branch .LBB159_6
.LBB159_47:                             ;   in Loop: Header=BB159_7 Depth=1
	s_branch .LBB159_19
.LBB159_48:                             ;   in Loop: Header=BB159_7 Depth=1
	s_branch .LBB159_23
.LBB159_49:                             ;   in Loop: Header=BB159_7 Depth=1
	s_branch .LBB159_27
.LBB159_50:                             ;   in Loop: Header=BB159_7 Depth=1
	s_branch .LBB159_31
.LBB159_51:
	s_endpgm
	.section	.rodata,"a",@progbits
	.p2align	6, 0x0
	.amdhsa_kernel _ZN9rocsparseL40csr2gebsr_block_per_row_multipass_kernelILj128ELj16ELj32E21rocsparse_complex_numIfEEEv20rocsparse_direction_iiiiii21rocsparse_index_base_PKT2_PKiS9_S4_PS5_PiSB_
		.amdhsa_group_segment_fixed_size 4100
		.amdhsa_private_segment_fixed_size 0
		.amdhsa_kernarg_size 88
		.amdhsa_user_sgpr_count 2
		.amdhsa_user_sgpr_dispatch_ptr 0
		.amdhsa_user_sgpr_queue_ptr 0
		.amdhsa_user_sgpr_kernarg_segment_ptr 1
		.amdhsa_user_sgpr_dispatch_id 0
		.amdhsa_user_sgpr_kernarg_preload_length 0
		.amdhsa_user_sgpr_kernarg_preload_offset 0
		.amdhsa_user_sgpr_private_segment_size 0
		.amdhsa_wavefront_size32 1
		.amdhsa_uses_dynamic_stack 0
		.amdhsa_enable_private_segment 0
		.amdhsa_system_sgpr_workgroup_id_x 1
		.amdhsa_system_sgpr_workgroup_id_y 0
		.amdhsa_system_sgpr_workgroup_id_z 0
		.amdhsa_system_sgpr_workgroup_info 0
		.amdhsa_system_vgpr_workitem_id 0
		.amdhsa_next_free_vgpr 36
		.amdhsa_next_free_sgpr 36
		.amdhsa_named_barrier_count 0
		.amdhsa_reserve_vcc 1
		.amdhsa_float_round_mode_32 0
		.amdhsa_float_round_mode_16_64 0
		.amdhsa_float_denorm_mode_32 3
		.amdhsa_float_denorm_mode_16_64 3
		.amdhsa_fp16_overflow 0
		.amdhsa_memory_ordered 1
		.amdhsa_forward_progress 1
		.amdhsa_inst_pref_size 16
		.amdhsa_round_robin_scheduling 0
		.amdhsa_exception_fp_ieee_invalid_op 0
		.amdhsa_exception_fp_denorm_src 0
		.amdhsa_exception_fp_ieee_div_zero 0
		.amdhsa_exception_fp_ieee_overflow 0
		.amdhsa_exception_fp_ieee_underflow 0
		.amdhsa_exception_fp_ieee_inexact 0
		.amdhsa_exception_int_div_zero 0
	.end_amdhsa_kernel
	.section	.text._ZN9rocsparseL40csr2gebsr_block_per_row_multipass_kernelILj128ELj16ELj32E21rocsparse_complex_numIfEEEv20rocsparse_direction_iiiiii21rocsparse_index_base_PKT2_PKiS9_S4_PS5_PiSB_,"axG",@progbits,_ZN9rocsparseL40csr2gebsr_block_per_row_multipass_kernelILj128ELj16ELj32E21rocsparse_complex_numIfEEEv20rocsparse_direction_iiiiii21rocsparse_index_base_PKT2_PKiS9_S4_PS5_PiSB_,comdat
.Lfunc_end159:
	.size	_ZN9rocsparseL40csr2gebsr_block_per_row_multipass_kernelILj128ELj16ELj32E21rocsparse_complex_numIfEEEv20rocsparse_direction_iiiiii21rocsparse_index_base_PKT2_PKiS9_S4_PS5_PiSB_, .Lfunc_end159-_ZN9rocsparseL40csr2gebsr_block_per_row_multipass_kernelILj128ELj16ELj32E21rocsparse_complex_numIfEEEv20rocsparse_direction_iiiiii21rocsparse_index_base_PKT2_PKiS9_S4_PS5_PiSB_
                                        ; -- End function
	.set _ZN9rocsparseL40csr2gebsr_block_per_row_multipass_kernelILj128ELj16ELj32E21rocsparse_complex_numIfEEEv20rocsparse_direction_iiiiii21rocsparse_index_base_PKT2_PKiS9_S4_PS5_PiSB_.num_vgpr, 36
	.set _ZN9rocsparseL40csr2gebsr_block_per_row_multipass_kernelILj128ELj16ELj32E21rocsparse_complex_numIfEEEv20rocsparse_direction_iiiiii21rocsparse_index_base_PKT2_PKiS9_S4_PS5_PiSB_.num_agpr, 0
	.set _ZN9rocsparseL40csr2gebsr_block_per_row_multipass_kernelILj128ELj16ELj32E21rocsparse_complex_numIfEEEv20rocsparse_direction_iiiiii21rocsparse_index_base_PKT2_PKiS9_S4_PS5_PiSB_.numbered_sgpr, 36
	.set _ZN9rocsparseL40csr2gebsr_block_per_row_multipass_kernelILj128ELj16ELj32E21rocsparse_complex_numIfEEEv20rocsparse_direction_iiiiii21rocsparse_index_base_PKT2_PKiS9_S4_PS5_PiSB_.num_named_barrier, 0
	.set _ZN9rocsparseL40csr2gebsr_block_per_row_multipass_kernelILj128ELj16ELj32E21rocsparse_complex_numIfEEEv20rocsparse_direction_iiiiii21rocsparse_index_base_PKT2_PKiS9_S4_PS5_PiSB_.private_seg_size, 0
	.set _ZN9rocsparseL40csr2gebsr_block_per_row_multipass_kernelILj128ELj16ELj32E21rocsparse_complex_numIfEEEv20rocsparse_direction_iiiiii21rocsparse_index_base_PKT2_PKiS9_S4_PS5_PiSB_.uses_vcc, 1
	.set _ZN9rocsparseL40csr2gebsr_block_per_row_multipass_kernelILj128ELj16ELj32E21rocsparse_complex_numIfEEEv20rocsparse_direction_iiiiii21rocsparse_index_base_PKT2_PKiS9_S4_PS5_PiSB_.uses_flat_scratch, 0
	.set _ZN9rocsparseL40csr2gebsr_block_per_row_multipass_kernelILj128ELj16ELj32E21rocsparse_complex_numIfEEEv20rocsparse_direction_iiiiii21rocsparse_index_base_PKT2_PKiS9_S4_PS5_PiSB_.has_dyn_sized_stack, 0
	.set _ZN9rocsparseL40csr2gebsr_block_per_row_multipass_kernelILj128ELj16ELj32E21rocsparse_complex_numIfEEEv20rocsparse_direction_iiiiii21rocsparse_index_base_PKT2_PKiS9_S4_PS5_PiSB_.has_recursion, 0
	.set _ZN9rocsparseL40csr2gebsr_block_per_row_multipass_kernelILj128ELj16ELj32E21rocsparse_complex_numIfEEEv20rocsparse_direction_iiiiii21rocsparse_index_base_PKT2_PKiS9_S4_PS5_PiSB_.has_indirect_call, 0
	.section	.AMDGPU.csdata,"",@progbits
; Kernel info:
; codeLenInByte = 2012
; TotalNumSgprs: 38
; NumVgprs: 36
; ScratchSize: 0
; MemoryBound: 0
; FloatMode: 240
; IeeeMode: 1
; LDSByteSize: 4100 bytes/workgroup (compile time only)
; SGPRBlocks: 0
; VGPRBlocks: 2
; NumSGPRsForWavesPerEU: 38
; NumVGPRsForWavesPerEU: 36
; NamedBarCnt: 0
; Occupancy: 16
; WaveLimiterHint : 0
; COMPUTE_PGM_RSRC2:SCRATCH_EN: 0
; COMPUTE_PGM_RSRC2:USER_SGPR: 2
; COMPUTE_PGM_RSRC2:TRAP_HANDLER: 0
; COMPUTE_PGM_RSRC2:TGID_X_EN: 1
; COMPUTE_PGM_RSRC2:TGID_Y_EN: 0
; COMPUTE_PGM_RSRC2:TGID_Z_EN: 0
; COMPUTE_PGM_RSRC2:TIDIG_COMP_CNT: 0
	.section	.text._ZN9rocsparseL40csr2gebsr_block_per_row_multipass_kernelILj128ELj16ELj64E21rocsparse_complex_numIfEEEv20rocsparse_direction_iiiiii21rocsparse_index_base_PKT2_PKiS9_S4_PS5_PiSB_,"axG",@progbits,_ZN9rocsparseL40csr2gebsr_block_per_row_multipass_kernelILj128ELj16ELj64E21rocsparse_complex_numIfEEEv20rocsparse_direction_iiiiii21rocsparse_index_base_PKT2_PKiS9_S4_PS5_PiSB_,comdat
	.globl	_ZN9rocsparseL40csr2gebsr_block_per_row_multipass_kernelILj128ELj16ELj64E21rocsparse_complex_numIfEEEv20rocsparse_direction_iiiiii21rocsparse_index_base_PKT2_PKiS9_S4_PS5_PiSB_ ; -- Begin function _ZN9rocsparseL40csr2gebsr_block_per_row_multipass_kernelILj128ELj16ELj64E21rocsparse_complex_numIfEEEv20rocsparse_direction_iiiiii21rocsparse_index_base_PKT2_PKiS9_S4_PS5_PiSB_
	.p2align	8
	.type	_ZN9rocsparseL40csr2gebsr_block_per_row_multipass_kernelILj128ELj16ELj64E21rocsparse_complex_numIfEEEv20rocsparse_direction_iiiiii21rocsparse_index_base_PKT2_PKiS9_S4_PS5_PiSB_,@function
_ZN9rocsparseL40csr2gebsr_block_per_row_multipass_kernelILj128ELj16ELj64E21rocsparse_complex_numIfEEEv20rocsparse_direction_iiiiii21rocsparse_index_base_PKT2_PKiS9_S4_PS5_PiSB_: ; @_ZN9rocsparseL40csr2gebsr_block_per_row_multipass_kernelILj128ELj16ELj64E21rocsparse_complex_numIfEEEv20rocsparse_direction_iiiiii21rocsparse_index_base_PKT2_PKiS9_S4_PS5_PiSB_
; %bb.0:
	s_clause 0x1
	s_load_b128 s[12:15], s[0:1], 0x10
	s_load_b64 s[6:7], s[0:1], 0x0
	s_bfe_u32 s2, ttmp6, 0x4000c
	s_and_b32 s3, ttmp6, 15
	s_add_co_i32 s2, s2, 1
	s_getreg_b32 s4, hwreg(HW_REG_IB_STS2, 6, 4)
	s_mul_i32 s2, ttmp9, s2
	v_dual_mov_b32 v30, 0 :: v_dual_lshrrev_b32 v1, 3, v0
	s_add_co_i32 s3, s3, s2
	s_cmp_eq_u32 s4, 0
	s_load_b64 s[8:9], s[0:1], 0x28
	s_cselect_b32 s4, ttmp9, s3
	v_mov_b32_e32 v38, 0
	s_wait_kmcnt 0x0
	v_mad_u32 v2, s13, s4, v1
	v_cmp_gt_i32_e32 vcc_lo, s13, v1
	s_delay_alu instid0(VALU_DEP_2) | instskip(SKIP_1) | instid1(SALU_CYCLE_1)
	v_cmp_gt_i32_e64 s2, s7, v2
	s_and_b32 s2, vcc_lo, s2
	s_and_saveexec_b32 s3, s2
	s_cbranch_execnz .LBB160_3
; %bb.1:
	s_or_b32 exec_lo, exec_lo, s3
	s_and_saveexec_b32 s3, s2
	s_cbranch_execnz .LBB160_4
.LBB160_2:
	s_or_b32 exec_lo, exec_lo, s3
	s_cmp_lt_i32 s12, 1
	s_cbranch_scc0 .LBB160_5
	s_branch .LBB160_71
.LBB160_3:
	global_load_b32 v3, v2, s[8:9] scale_offset
	s_wait_loadcnt 0x0
	v_subrev_nc_u32_e32 v38, s15, v3
	s_or_b32 exec_lo, exec_lo, s3
	s_and_saveexec_b32 s3, s2
	s_cbranch_execz .LBB160_2
.LBB160_4:
	global_load_b32 v2, v2, s[8:9] offset:4 scale_offset
	s_wait_loadcnt 0x0
	v_subrev_nc_u32_e32 v30, s15, v2
	s_or_b32 exec_lo, exec_lo, s3
	s_cmp_lt_i32 s12, 1
	s_cbranch_scc1 .LBB160_71
.LBB160_5:
	s_clause 0x3
	s_load_b128 s[8:11], s[0:1], 0x40
	s_load_b64 s[20:21], s[0:1], 0x50
	s_load_b96 s[16:18], s[0:1], 0x30
	s_load_b64 s[22:23], s[0:1], 0x20
	v_mbcnt_lo_u32_b32 v5, -1, 0
	s_ashr_i32 s5, s4, 31
	v_dual_lshlrev_b32 v32, 9, v1 :: v_dual_bitop2_b32 v31, 7, v0 bitop3:0x40
	s_lshl_b64 s[4:5], s[4:5], 2
	v_dual_mov_b32 v3, 0 :: v_dual_lshlrev_b32 v2, 3, v1
	v_mul_lo_u32 v4, s14, v1
	v_xor_b32_e32 v1, 4, v5
	v_xor_b32_e32 v7, 1, v5
	s_delay_alu instid0(VALU_DEP_4)
	v_dual_mov_b32 v23, v3 :: v_dual_bitop2_b32 v6, 2, v5 bitop3:0x14
	v_mul_lo_u32 v8, v31, s13
	v_lshl_or_b32 v34, v5, 2, 28
	v_dual_lshlrev_b32 v33, 2, v0 :: v_dual_lshlrev_b32 v22, 3, v31
	s_wait_kmcnt 0x0
	s_add_nc_u64 s[4:5], s[10:11], s[4:5]
	v_cmp_gt_u32_e64 s0, 64, v0
	s_load_b32 s10, s[4:5], 0x0
	s_wait_xcnt 0x0
	v_cmp_gt_i32_e64 s5, 32, v1
	v_cmp_gt_u32_e64 s1, 32, v0
	v_cmp_gt_u32_e64 s2, 16, v0
	;; [unrolled: 1-line block ×4, first 2 shown]
	v_cndmask_b32_e64 v1, v5, v1, s5
	v_cmp_gt_i32_e64 s5, 32, v6
	v_cmp_gt_u32_e64 s7, s14, v31
	s_mov_b32 s25, 0
	s_mov_b32 s24, s13
	;; [unrolled: 1-line block ×3, first 2 shown]
	v_cndmask_b32_e64 v6, v5, v6, s5
	v_cmp_gt_i32_e64 s5, 32, v7
	v_dual_mov_b32 v11, v3 :: v_dual_bitop2_b32 v17, 48, v31 bitop3:0x54
	s_delay_alu instid0(VALU_DEP_3) | instskip(NEXT) | instid1(VALU_DEP_3)
	v_dual_mov_b32 v15, v3 :: v_dual_lshlrev_b32 v36, 2, v6
	v_dual_cndmask_b32 v7, v5, v7, s5 :: v_dual_ashrrev_i32 v5, 31, v4
	s_wait_kmcnt 0x0
	s_sub_co_i32 s10, s10, s18
	s_cmp_lg_u32 s6, 0
	v_cmp_gt_u32_e64 s5, 2, v0
	v_cmp_eq_u32_e64 s6, 0, v0
	v_dual_lshlrev_b32 v35, 2, v1 :: v_dual_bitop2_b32 v0, 16, v31 bitop3:0x54
	v_dual_lshlrev_b32 v37, 2, v7 :: v_dual_mov_b32 v9, v3
	v_lshl_add_u64 v[6:7], v[4:5], 3, s[8:9]
	v_add_nc_u64_e32 v[4:5], s[8:9], v[2:3]
	s_cselect_b32 s9, -1, 0
	s_lshl_b32 s11, s13, 3
	v_or_b32_e32 v1, 8, v31
	v_cmp_gt_u32_e64 s8, s14, v0
	v_add_nc_u32_e32 v0, s11, v8
	s_and_b32 s19, vcc_lo, s7
	s_ashr_i32 s27, s14, 31
	v_cmp_gt_u32_e64 s7, s14, v1
	s_delay_alu instid0(VALU_DEP_2) | instskip(SKIP_3) | instid1(VALU_DEP_2)
	v_dual_add_nc_u32 v10, s11, v0 :: v_dual_bitop2_b32 v1, 24, v31 bitop3:0x54
	s_abs_i32 s31, s14
	v_or_b32_e32 v2, 32, v31
	s_and_b32 s13, vcc_lo, s7
	v_cmp_gt_u32_e64 s7, s14, v1
	s_mul_u64 s[28:29], s[26:27], s[24:25]
	s_cvt_f32_u32 s24, s31
	v_dual_add_nc_u32 v12, s11, v10 :: v_dual_bitop2_b32 v14, 40, v31 bitop3:0x54
	s_and_b32 s30, vcc_lo, s7
	v_cmp_gt_u32_e64 s7, s14, v2
	v_rcp_iflag_f32_e32 v2, s24
	s_and_b32 s26, vcc_lo, s8
	v_mov_b32_e32 v13, v3
	v_cmp_gt_u32_e64 s8, s14, v14
	v_add_nc_u32_e32 v14, s11, v12
	s_and_b32 s33, vcc_lo, s7
	v_cmp_gt_u32_e64 s7, s14, v17
	v_readfirstlane_b32 s24, v2
	s_delay_alu instid0(VALU_DEP_3)
	v_dual_mov_b32 v17, v3 :: v_dual_add_nc_u32 v16, s11, v14
	v_or_b32_e32 v2, 56, v31
	v_add_nc_u64_e32 v[6:7], v[6:7], v[22:23]
	s_mul_f32 s24, s24, 0x4f7ffffe
	s_and_b32 s34, vcc_lo, s7
	v_dual_mov_b32 v19, v3 :: v_dual_add_nc_u32 v18, s11, v16
	s_delay_alu instid0(SALU_CYCLE_1) | instskip(SKIP_2) | instid1(VALU_DEP_3)
	s_cvt_u32_f32 s24, s24
	v_cmp_gt_u32_e64 s7, s14, v2
	v_dual_mov_b32 v21, v3 :: v_dual_add_nc_u32 v39, v22, v32
	v_add_nc_u32_e32 v20, s11, v18
	s_sub_co_i32 s11, 0, s31
	v_mov_b64_e32 v[22:23], 0
	s_mul_i32 s11, s11, s24
	v_dual_mov_b32 v1, v3 :: v_dual_mov_b32 v40, 1
	v_mov_b32_e32 v26, 0
	s_mul_hi_u32 s11, s24, s11
	s_and_b32 s8, vcc_lo, s8
	s_and_b32 s35, vcc_lo, s7
	s_add_co_i32 s24, s24, s11
	s_branch .LBB160_7
.LBB160_6:                              ;   in Loop: Header=BB160_7 Depth=1
	s_or_b32 exec_lo, exec_lo, s11
	s_wait_dscnt 0x0
	s_barrier_signal -1
	s_barrier_wait -1
	ds_load_b32 v26, v3
	s_add_co_i32 s10, s7, s10
	s_wait_dscnt 0x0
	s_barrier_signal -1
	s_barrier_wait -1
	v_cmp_gt_i32_e32 vcc_lo, s12, v26
	s_cbranch_vccz .LBB160_71
.LBB160_7:                              ; =>This Loop Header: Depth=1
                                        ;     Child Loop BB160_10 Depth 2
	v_dual_mov_b32 v41, s12 :: v_dual_add_nc_u32 v24, v38, v31
	v_mov_b32_e32 v25, v30
	s_mov_b32 s11, exec_lo
	ds_store_b8 v3, v3 offset:8192
	ds_store_2addr_b64 v39, v[22:23], v[22:23] offset1:8
	ds_store_2addr_b64 v39, v[22:23], v[22:23] offset0:16 offset1:24
	ds_store_2addr_b64 v39, v[22:23], v[22:23] offset0:32 offset1:40
	;; [unrolled: 1-line block ×3, first 2 shown]
	s_wait_dscnt 0x0
	s_barrier_signal -1
	s_barrier_wait -1
	v_cmpx_lt_i32_e64 v24, v30
	s_cbranch_execz .LBB160_15
; %bb.8:                                ;   in Loop: Header=BB160_7 Depth=1
	v_mul_lo_u32 v27, v26, s14
	v_dual_mov_b32 v41, s12 :: v_dual_mov_b32 v25, v30
	s_mov_b32 s36, 0
	s_branch .LBB160_10
.LBB160_9:                              ;   in Loop: Header=BB160_10 Depth=2
	s_wait_xcnt 0x0
	s_or_b32 exec_lo, exec_lo, s7
	v_add_nc_u32_e32 v24, 8, v24
	s_xor_b32 s37, vcc_lo, -1
	s_delay_alu instid0(VALU_DEP_1) | instskip(SKIP_1) | instid1(SALU_CYCLE_1)
	v_cmp_ge_i32_e64 s7, v24, v30
	s_or_b32 s7, s37, s7
	s_and_b32 s7, exec_lo, s7
	s_delay_alu instid0(SALU_CYCLE_1) | instskip(NEXT) | instid1(SALU_CYCLE_1)
	s_or_b32 s36, s7, s36
	s_and_not1_b32 exec_lo, exec_lo, s36
	s_cbranch_execz .LBB160_14
.LBB160_10:                             ;   Parent Loop BB160_7 Depth=1
                                        ; =>  This Inner Loop Header: Depth=2
	global_load_b32 v2, v24, s[16:17] scale_offset
	s_wait_loadcnt 0x0
	v_subrev_nc_u32_e32 v28, s15, v2
	s_delay_alu instid0(VALU_DEP_1) | instskip(NEXT) | instid1(VALU_DEP_1)
	v_sub_nc_u32_e32 v2, 0, v28
	v_max_i32_e32 v2, v28, v2
	s_delay_alu instid0(VALU_DEP_1) | instskip(SKIP_1) | instid1(VALU_DEP_1)
	v_mul_u64_e32 v[42:43], s[24:25], v[2:3]
	v_ashrrev_i32_e32 v42, 31, v28
	v_xor_b32_e32 v42, s27, v42
	s_delay_alu instid0(VALU_DEP_3) | instskip(NEXT) | instid1(VALU_DEP_1)
	v_mul_lo_u32 v29, v43, s31
	v_dual_sub_nc_u32 v2, v2, v29 :: v_dual_add_nc_u32 v29, 1, v43
	s_delay_alu instid0(VALU_DEP_1) | instskip(SKIP_1) | instid1(VALU_DEP_2)
	v_subrev_nc_u32_e32 v38, s31, v2
	v_cmp_le_u32_e32 vcc_lo, s31, v2
	v_dual_cndmask_b32 v29, v43, v29 :: v_dual_cndmask_b32 v2, v2, v38
	s_delay_alu instid0(VALU_DEP_1) | instskip(NEXT) | instid1(VALU_DEP_2)
	v_add_nc_u32_e32 v38, 1, v29
	v_cmp_le_u32_e32 vcc_lo, s31, v2
	s_delay_alu instid0(VALU_DEP_2) | instskip(NEXT) | instid1(VALU_DEP_1)
	v_cndmask_b32_e32 v2, v29, v38, vcc_lo
	v_xor_b32_e32 v2, v2, v42
	s_delay_alu instid0(VALU_DEP_1) | instskip(NEXT) | instid1(VALU_DEP_1)
	v_dual_mov_b32 v2, v25 :: v_dual_sub_nc_u32 v29, v2, v42
	v_cmp_ne_u32_e64 s7, v29, v26
	v_cmp_eq_u32_e32 vcc_lo, v29, v26
	s_wait_xcnt 0x0
	s_and_saveexec_b32 s37, s7
	s_delay_alu instid0(SALU_CYCLE_1)
	s_xor_b32 s7, exec_lo, s37
; %bb.11:                               ;   in Loop: Header=BB160_10 Depth=2
	v_min_i32_e32 v41, v29, v41
                                        ; implicit-def: $vgpr28
                                        ; implicit-def: $vgpr2
; %bb.12:                               ;   in Loop: Header=BB160_10 Depth=2
	s_or_saveexec_b32 s7, s7
	v_mov_b32_e32 v25, v24
	s_xor_b32 exec_lo, exec_lo, s7
	s_cbranch_execz .LBB160_9
; %bb.13:                               ;   in Loop: Header=BB160_10 Depth=2
	v_ashrrev_i32_e32 v25, 31, v24
	s_delay_alu instid0(VALU_DEP_1)
	v_lshl_add_u64 v[42:43], v[24:25], 3, s[22:23]
	v_sub_nc_u32_e32 v25, v28, v27
	global_load_b64 v[42:43], v[42:43], off
	v_lshl_add_u32 v28, v25, 3, v32
	v_mov_b32_e32 v25, v2
	ds_store_b8 v3, v40 offset:8192
	s_wait_loadcnt 0x0
	ds_store_b64 v28, v[42:43]
	s_branch .LBB160_9
.LBB160_14:                             ;   in Loop: Header=BB160_7 Depth=1
	s_or_b32 exec_lo, exec_lo, s36
.LBB160_15:                             ;   in Loop: Header=BB160_7 Depth=1
	s_delay_alu instid0(SALU_CYCLE_1)
	s_or_b32 exec_lo, exec_lo, s11
	ds_bpermute_b32 v2, v35, v25
	s_wait_dscnt 0x0
	s_barrier_signal -1
	s_barrier_wait -1
	s_mov_b32 s7, 0
	v_min_i32_e32 v2, v2, v25
	ds_load_u8 v25, v3 offset:8192
	ds_bpermute_b32 v24, v36, v2
	s_wait_dscnt 0x0
	v_min_i32_e32 v2, v24, v2
	ds_bpermute_b32 v24, v37, v2
	s_wait_dscnt 0x0
	v_min_i32_e32 v2, v24, v2
	ds_bpermute_b32 v38, v34, v2
	v_and_b32_e32 v2, 1, v25
	s_delay_alu instid0(VALU_DEP_1)
	v_cmp_eq_u32_e32 vcc_lo, 0, v2
	s_cbranch_vccnz .LBB160_49
; %bb.16:                               ;   in Loop: Header=BB160_7 Depth=1
	s_ashr_i32 s11, s10, 31
	v_dual_add_nc_u32 v2, s18, v26 :: v_dual_mov_b32 v28, s10
	s_mul_u64 s[36:37], s[28:29], s[10:11]
	s_delay_alu instid0(SALU_CYCLE_1) | instskip(NEXT) | instid1(SALU_CYCLE_1)
	s_lshl_b64 s[36:37], s[36:37], 3
	v_add_nc_u64_e32 v[26:27], s[36:37], v[4:5]
	v_add_nc_u64_e32 v[24:25], s[36:37], v[6:7]
	global_store_b32 v28, v2, s[20:21] scale_offset
	s_wait_xcnt 0x0
	s_and_saveexec_b32 s7, s19
	s_cbranch_execz .LBB160_20
; %bb.17:                               ;   in Loop: Header=BB160_7 Depth=1
	s_and_b32 vcc_lo, exec_lo, s9
	s_cbranch_vccz .LBB160_63
; %bb.18:                               ;   in Loop: Header=BB160_7 Depth=1
	ds_load_b64 v[28:29], v39
	v_lshl_add_u64 v[42:43], v[8:9], 3, v[26:27]
	s_wait_dscnt 0x0
	global_store_b64 v[42:43], v[28:29], off
	s_cbranch_execnz .LBB160_20
.LBB160_19:                             ;   in Loop: Header=BB160_7 Depth=1
	s_wait_xcnt 0x0
	ds_load_b64 v[28:29], v39
	s_wait_dscnt 0x0
	global_store_b64 v[24:25], v[28:29], off
.LBB160_20:                             ;   in Loop: Header=BB160_7 Depth=1
	s_wait_xcnt 0x0
	s_or_b32 exec_lo, exec_lo, s7
	s_and_saveexec_b32 s7, s13
	s_cbranch_execz .LBB160_24
; %bb.21:                               ;   in Loop: Header=BB160_7 Depth=1
	ds_load_b64 v[28:29], v39 offset:64
	s_and_not1_b32 vcc_lo, exec_lo, s9
	s_cbranch_vccnz .LBB160_64
; %bb.22:                               ;   in Loop: Header=BB160_7 Depth=1
	v_lshl_add_u64 v[42:43], v[0:1], 3, v[26:27]
	s_wait_dscnt 0x0
	global_store_b64 v[42:43], v[28:29], off
	s_cbranch_execnz .LBB160_24
.LBB160_23:                             ;   in Loop: Header=BB160_7 Depth=1
	s_wait_dscnt 0x0
	global_store_b64 v[24:25], v[28:29], off offset:64
.LBB160_24:                             ;   in Loop: Header=BB160_7 Depth=1
	s_wait_xcnt 0x0
	s_or_b32 exec_lo, exec_lo, s7
	s_and_saveexec_b32 s7, s26
	s_cbranch_execz .LBB160_28
; %bb.25:                               ;   in Loop: Header=BB160_7 Depth=1
	s_wait_dscnt 0x0
	ds_load_b64 v[28:29], v39 offset:128
	s_and_not1_b32 vcc_lo, exec_lo, s9
	s_cbranch_vccnz .LBB160_65
; %bb.26:                               ;   in Loop: Header=BB160_7 Depth=1
	v_lshl_add_u64 v[42:43], v[10:11], 3, v[26:27]
	s_wait_dscnt 0x0
	global_store_b64 v[42:43], v[28:29], off
	s_cbranch_execnz .LBB160_28
.LBB160_27:                             ;   in Loop: Header=BB160_7 Depth=1
	s_wait_dscnt 0x0
	global_store_b64 v[24:25], v[28:29], off offset:128
.LBB160_28:                             ;   in Loop: Header=BB160_7 Depth=1
	s_wait_xcnt 0x0
	s_or_b32 exec_lo, exec_lo, s7
	s_and_saveexec_b32 s7, s30
	s_cbranch_execz .LBB160_32
; %bb.29:                               ;   in Loop: Header=BB160_7 Depth=1
	s_wait_dscnt 0x0
	ds_load_b64 v[28:29], v39 offset:192
	s_and_not1_b32 vcc_lo, exec_lo, s9
	s_cbranch_vccnz .LBB160_66
; %bb.30:                               ;   in Loop: Header=BB160_7 Depth=1
	v_lshl_add_u64 v[42:43], v[12:13], 3, v[26:27]
	s_wait_dscnt 0x0
	global_store_b64 v[42:43], v[28:29], off
	s_cbranch_execnz .LBB160_32
.LBB160_31:                             ;   in Loop: Header=BB160_7 Depth=1
	s_wait_dscnt 0x0
	global_store_b64 v[24:25], v[28:29], off offset:192
.LBB160_32:                             ;   in Loop: Header=BB160_7 Depth=1
	s_wait_xcnt 0x0
	s_or_b32 exec_lo, exec_lo, s7
	s_and_saveexec_b32 s7, s33
	s_cbranch_execz .LBB160_36
; %bb.33:                               ;   in Loop: Header=BB160_7 Depth=1
	s_wait_dscnt 0x0
	ds_load_b64 v[28:29], v39 offset:256
	s_and_not1_b32 vcc_lo, exec_lo, s9
	s_cbranch_vccnz .LBB160_67
; %bb.34:                               ;   in Loop: Header=BB160_7 Depth=1
	v_lshl_add_u64 v[42:43], v[14:15], 3, v[26:27]
	s_wait_dscnt 0x0
	global_store_b64 v[42:43], v[28:29], off
	s_cbranch_execnz .LBB160_36
.LBB160_35:                             ;   in Loop: Header=BB160_7 Depth=1
	s_wait_dscnt 0x0
	global_store_b64 v[24:25], v[28:29], off offset:256
.LBB160_36:                             ;   in Loop: Header=BB160_7 Depth=1
	s_wait_xcnt 0x0
	s_or_b32 exec_lo, exec_lo, s7
	s_and_saveexec_b32 s7, s8
	s_cbranch_execz .LBB160_40
; %bb.37:                               ;   in Loop: Header=BB160_7 Depth=1
	s_wait_dscnt 0x0
	ds_load_b64 v[28:29], v39 offset:320
	s_and_not1_b32 vcc_lo, exec_lo, s9
	s_cbranch_vccnz .LBB160_68
; %bb.38:                               ;   in Loop: Header=BB160_7 Depth=1
	v_lshl_add_u64 v[42:43], v[16:17], 3, v[26:27]
	s_wait_dscnt 0x0
	global_store_b64 v[42:43], v[28:29], off
	s_cbranch_execnz .LBB160_40
.LBB160_39:                             ;   in Loop: Header=BB160_7 Depth=1
	s_wait_dscnt 0x0
	global_store_b64 v[24:25], v[28:29], off offset:320
.LBB160_40:                             ;   in Loop: Header=BB160_7 Depth=1
	s_wait_xcnt 0x0
	s_or_b32 exec_lo, exec_lo, s7
	s_and_saveexec_b32 s7, s34
	s_cbranch_execz .LBB160_44
; %bb.41:                               ;   in Loop: Header=BB160_7 Depth=1
	s_wait_dscnt 0x0
	ds_load_b64 v[28:29], v39 offset:384
	s_and_not1_b32 vcc_lo, exec_lo, s9
	s_cbranch_vccnz .LBB160_69
; %bb.42:                               ;   in Loop: Header=BB160_7 Depth=1
	v_lshl_add_u64 v[42:43], v[18:19], 3, v[26:27]
	s_wait_dscnt 0x0
	global_store_b64 v[42:43], v[28:29], off
	s_cbranch_execnz .LBB160_44
.LBB160_43:                             ;   in Loop: Header=BB160_7 Depth=1
	s_wait_dscnt 0x0
	global_store_b64 v[24:25], v[28:29], off offset:384
.LBB160_44:                             ;   in Loop: Header=BB160_7 Depth=1
	s_wait_xcnt 0x0
	s_or_b32 exec_lo, exec_lo, s7
	s_and_saveexec_b32 s7, s35
	s_cbranch_execz .LBB160_48
; %bb.45:                               ;   in Loop: Header=BB160_7 Depth=1
	s_wait_dscnt 0x0
	ds_load_b64 v[28:29], v39 offset:448
	s_and_not1_b32 vcc_lo, exec_lo, s9
	s_cbranch_vccnz .LBB160_70
; %bb.46:                               ;   in Loop: Header=BB160_7 Depth=1
	v_lshl_add_u64 v[26:27], v[20:21], 3, v[26:27]
	s_wait_dscnt 0x0
	global_store_b64 v[26:27], v[28:29], off
	s_cbranch_execnz .LBB160_48
.LBB160_47:                             ;   in Loop: Header=BB160_7 Depth=1
	s_wait_dscnt 0x0
	global_store_b64 v[24:25], v[28:29], off offset:448
.LBB160_48:                             ;   in Loop: Header=BB160_7 Depth=1
	s_wait_xcnt 0x0
	s_or_b32 exec_lo, exec_lo, s7
	s_mov_b32 s7, 1
.LBB160_49:                             ;   in Loop: Header=BB160_7 Depth=1
	s_wait_storecnt_dscnt 0x0
	s_barrier_signal -1
	s_barrier_wait -1
	ds_store_b32 v33, v41
	s_wait_dscnt 0x0
	s_barrier_signal -1
	s_barrier_wait -1
	s_and_saveexec_b32 s11, s0
	s_cbranch_execz .LBB160_51
; %bb.50:                               ;   in Loop: Header=BB160_7 Depth=1
	ds_load_2addr_stride64_b32 v[24:25], v33 offset1:1
	s_wait_dscnt 0x0
	v_min_i32_e32 v2, v25, v24
	ds_store_b32 v33, v2
.LBB160_51:                             ;   in Loop: Header=BB160_7 Depth=1
	s_or_b32 exec_lo, exec_lo, s11
	s_wait_dscnt 0x0
	s_barrier_signal -1
	s_barrier_wait -1
	s_and_saveexec_b32 s11, s1
	s_cbranch_execz .LBB160_53
; %bb.52:                               ;   in Loop: Header=BB160_7 Depth=1
	ds_load_2addr_b32 v[24:25], v33 offset1:32
	s_wait_dscnt 0x0
	v_min_i32_e32 v2, v25, v24
	ds_store_b32 v33, v2
.LBB160_53:                             ;   in Loop: Header=BB160_7 Depth=1
	s_or_b32 exec_lo, exec_lo, s11
	s_wait_dscnt 0x0
	s_barrier_signal -1
	s_barrier_wait -1
	s_and_saveexec_b32 s11, s2
	s_cbranch_execz .LBB160_55
; %bb.54:                               ;   in Loop: Header=BB160_7 Depth=1
	ds_load_2addr_b32 v[24:25], v33 offset1:16
	s_wait_dscnt 0x0
	v_min_i32_e32 v2, v25, v24
	ds_store_b32 v33, v2
.LBB160_55:                             ;   in Loop: Header=BB160_7 Depth=1
	;; [unrolled: 12-line block ×5, first 2 shown]
	s_or_b32 exec_lo, exec_lo, s11
	s_wait_dscnt 0x0
	s_barrier_signal -1
	s_barrier_wait -1
	s_and_saveexec_b32 s11, s6
	s_cbranch_execz .LBB160_6
; %bb.62:                               ;   in Loop: Header=BB160_7 Depth=1
	ds_load_b64 v[24:25], v3
	s_wait_dscnt 0x0
	v_min_i32_e32 v2, v25, v24
	ds_store_b32 v3, v2
	s_branch .LBB160_6
.LBB160_63:                             ;   in Loop: Header=BB160_7 Depth=1
	s_branch .LBB160_19
.LBB160_64:                             ;   in Loop: Header=BB160_7 Depth=1
	s_branch .LBB160_23
.LBB160_65:                             ;   in Loop: Header=BB160_7 Depth=1
	s_branch .LBB160_27
.LBB160_66:                             ;   in Loop: Header=BB160_7 Depth=1
	s_branch .LBB160_31
.LBB160_67:                             ;   in Loop: Header=BB160_7 Depth=1
	s_branch .LBB160_35
.LBB160_68:                             ;   in Loop: Header=BB160_7 Depth=1
	s_branch .LBB160_39
.LBB160_69:                             ;   in Loop: Header=BB160_7 Depth=1
	s_branch .LBB160_43
.LBB160_70:                             ;   in Loop: Header=BB160_7 Depth=1
	s_branch .LBB160_47
.LBB160_71:
	s_endpgm
	.section	.rodata,"a",@progbits
	.p2align	6, 0x0
	.amdhsa_kernel _ZN9rocsparseL40csr2gebsr_block_per_row_multipass_kernelILj128ELj16ELj64E21rocsparse_complex_numIfEEEv20rocsparse_direction_iiiiii21rocsparse_index_base_PKT2_PKiS9_S4_PS5_PiSB_
		.amdhsa_group_segment_fixed_size 8196
		.amdhsa_private_segment_fixed_size 0
		.amdhsa_kernarg_size 88
		.amdhsa_user_sgpr_count 2
		.amdhsa_user_sgpr_dispatch_ptr 0
		.amdhsa_user_sgpr_queue_ptr 0
		.amdhsa_user_sgpr_kernarg_segment_ptr 1
		.amdhsa_user_sgpr_dispatch_id 0
		.amdhsa_user_sgpr_kernarg_preload_length 0
		.amdhsa_user_sgpr_kernarg_preload_offset 0
		.amdhsa_user_sgpr_private_segment_size 0
		.amdhsa_wavefront_size32 1
		.amdhsa_uses_dynamic_stack 0
		.amdhsa_enable_private_segment 0
		.amdhsa_system_sgpr_workgroup_id_x 1
		.amdhsa_system_sgpr_workgroup_id_y 0
		.amdhsa_system_sgpr_workgroup_id_z 0
		.amdhsa_system_sgpr_workgroup_info 0
		.amdhsa_system_vgpr_workitem_id 0
		.amdhsa_next_free_vgpr 44
		.amdhsa_next_free_sgpr 38
		.amdhsa_named_barrier_count 0
		.amdhsa_reserve_vcc 1
		.amdhsa_float_round_mode_32 0
		.amdhsa_float_round_mode_16_64 0
		.amdhsa_float_denorm_mode_32 3
		.amdhsa_float_denorm_mode_16_64 3
		.amdhsa_fp16_overflow 0
		.amdhsa_memory_ordered 1
		.amdhsa_forward_progress 1
		.amdhsa_inst_pref_size 20
		.amdhsa_round_robin_scheduling 0
		.amdhsa_exception_fp_ieee_invalid_op 0
		.amdhsa_exception_fp_denorm_src 0
		.amdhsa_exception_fp_ieee_div_zero 0
		.amdhsa_exception_fp_ieee_overflow 0
		.amdhsa_exception_fp_ieee_underflow 0
		.amdhsa_exception_fp_ieee_inexact 0
		.amdhsa_exception_int_div_zero 0
	.end_amdhsa_kernel
	.section	.text._ZN9rocsparseL40csr2gebsr_block_per_row_multipass_kernelILj128ELj16ELj64E21rocsparse_complex_numIfEEEv20rocsparse_direction_iiiiii21rocsparse_index_base_PKT2_PKiS9_S4_PS5_PiSB_,"axG",@progbits,_ZN9rocsparseL40csr2gebsr_block_per_row_multipass_kernelILj128ELj16ELj64E21rocsparse_complex_numIfEEEv20rocsparse_direction_iiiiii21rocsparse_index_base_PKT2_PKiS9_S4_PS5_PiSB_,comdat
.Lfunc_end160:
	.size	_ZN9rocsparseL40csr2gebsr_block_per_row_multipass_kernelILj128ELj16ELj64E21rocsparse_complex_numIfEEEv20rocsparse_direction_iiiiii21rocsparse_index_base_PKT2_PKiS9_S4_PS5_PiSB_, .Lfunc_end160-_ZN9rocsparseL40csr2gebsr_block_per_row_multipass_kernelILj128ELj16ELj64E21rocsparse_complex_numIfEEEv20rocsparse_direction_iiiiii21rocsparse_index_base_PKT2_PKiS9_S4_PS5_PiSB_
                                        ; -- End function
	.set _ZN9rocsparseL40csr2gebsr_block_per_row_multipass_kernelILj128ELj16ELj64E21rocsparse_complex_numIfEEEv20rocsparse_direction_iiiiii21rocsparse_index_base_PKT2_PKiS9_S4_PS5_PiSB_.num_vgpr, 44
	.set _ZN9rocsparseL40csr2gebsr_block_per_row_multipass_kernelILj128ELj16ELj64E21rocsparse_complex_numIfEEEv20rocsparse_direction_iiiiii21rocsparse_index_base_PKT2_PKiS9_S4_PS5_PiSB_.num_agpr, 0
	.set _ZN9rocsparseL40csr2gebsr_block_per_row_multipass_kernelILj128ELj16ELj64E21rocsparse_complex_numIfEEEv20rocsparse_direction_iiiiii21rocsparse_index_base_PKT2_PKiS9_S4_PS5_PiSB_.numbered_sgpr, 38
	.set _ZN9rocsparseL40csr2gebsr_block_per_row_multipass_kernelILj128ELj16ELj64E21rocsparse_complex_numIfEEEv20rocsparse_direction_iiiiii21rocsparse_index_base_PKT2_PKiS9_S4_PS5_PiSB_.num_named_barrier, 0
	.set _ZN9rocsparseL40csr2gebsr_block_per_row_multipass_kernelILj128ELj16ELj64E21rocsparse_complex_numIfEEEv20rocsparse_direction_iiiiii21rocsparse_index_base_PKT2_PKiS9_S4_PS5_PiSB_.private_seg_size, 0
	.set _ZN9rocsparseL40csr2gebsr_block_per_row_multipass_kernelILj128ELj16ELj64E21rocsparse_complex_numIfEEEv20rocsparse_direction_iiiiii21rocsparse_index_base_PKT2_PKiS9_S4_PS5_PiSB_.uses_vcc, 1
	.set _ZN9rocsparseL40csr2gebsr_block_per_row_multipass_kernelILj128ELj16ELj64E21rocsparse_complex_numIfEEEv20rocsparse_direction_iiiiii21rocsparse_index_base_PKT2_PKiS9_S4_PS5_PiSB_.uses_flat_scratch, 0
	.set _ZN9rocsparseL40csr2gebsr_block_per_row_multipass_kernelILj128ELj16ELj64E21rocsparse_complex_numIfEEEv20rocsparse_direction_iiiiii21rocsparse_index_base_PKT2_PKiS9_S4_PS5_PiSB_.has_dyn_sized_stack, 0
	.set _ZN9rocsparseL40csr2gebsr_block_per_row_multipass_kernelILj128ELj16ELj64E21rocsparse_complex_numIfEEEv20rocsparse_direction_iiiiii21rocsparse_index_base_PKT2_PKiS9_S4_PS5_PiSB_.has_recursion, 0
	.set _ZN9rocsparseL40csr2gebsr_block_per_row_multipass_kernelILj128ELj16ELj64E21rocsparse_complex_numIfEEEv20rocsparse_direction_iiiiii21rocsparse_index_base_PKT2_PKiS9_S4_PS5_PiSB_.has_indirect_call, 0
	.section	.AMDGPU.csdata,"",@progbits
; Kernel info:
; codeLenInByte = 2472
; TotalNumSgprs: 40
; NumVgprs: 44
; ScratchSize: 0
; MemoryBound: 0
; FloatMode: 240
; IeeeMode: 1
; LDSByteSize: 8196 bytes/workgroup (compile time only)
; SGPRBlocks: 0
; VGPRBlocks: 2
; NumSGPRsForWavesPerEU: 40
; NumVGPRsForWavesPerEU: 44
; NamedBarCnt: 0
; Occupancy: 16
; WaveLimiterHint : 0
; COMPUTE_PGM_RSRC2:SCRATCH_EN: 0
; COMPUTE_PGM_RSRC2:USER_SGPR: 2
; COMPUTE_PGM_RSRC2:TRAP_HANDLER: 0
; COMPUTE_PGM_RSRC2:TGID_X_EN: 1
; COMPUTE_PGM_RSRC2:TGID_Y_EN: 0
; COMPUTE_PGM_RSRC2:TGID_Z_EN: 0
; COMPUTE_PGM_RSRC2:TIDIG_COMP_CNT: 0
	.section	.text._ZN9rocsparseL44csr2gebsr_wavefront_per_row_multipass_kernelILi256ELi32ELi2ELi64E21rocsparse_complex_numIfEEEv20rocsparse_direction_iiiiii21rocsparse_index_base_PKT3_PKiS9_S4_PS5_PiSB_,"axG",@progbits,_ZN9rocsparseL44csr2gebsr_wavefront_per_row_multipass_kernelILi256ELi32ELi2ELi64E21rocsparse_complex_numIfEEEv20rocsparse_direction_iiiiii21rocsparse_index_base_PKT3_PKiS9_S4_PS5_PiSB_,comdat
	.globl	_ZN9rocsparseL44csr2gebsr_wavefront_per_row_multipass_kernelILi256ELi32ELi2ELi64E21rocsparse_complex_numIfEEEv20rocsparse_direction_iiiiii21rocsparse_index_base_PKT3_PKiS9_S4_PS5_PiSB_ ; -- Begin function _ZN9rocsparseL44csr2gebsr_wavefront_per_row_multipass_kernelILi256ELi32ELi2ELi64E21rocsparse_complex_numIfEEEv20rocsparse_direction_iiiiii21rocsparse_index_base_PKT3_PKiS9_S4_PS5_PiSB_
	.p2align	8
	.type	_ZN9rocsparseL44csr2gebsr_wavefront_per_row_multipass_kernelILi256ELi32ELi2ELi64E21rocsparse_complex_numIfEEEv20rocsparse_direction_iiiiii21rocsparse_index_base_PKT3_PKiS9_S4_PS5_PiSB_,@function
_ZN9rocsparseL44csr2gebsr_wavefront_per_row_multipass_kernelILi256ELi32ELi2ELi64E21rocsparse_complex_numIfEEEv20rocsparse_direction_iiiiii21rocsparse_index_base_PKT3_PKiS9_S4_PS5_PiSB_: ; @_ZN9rocsparseL44csr2gebsr_wavefront_per_row_multipass_kernelILi256ELi32ELi2ELi64E21rocsparse_complex_numIfEEEv20rocsparse_direction_iiiiii21rocsparse_index_base_PKT3_PKiS9_S4_PS5_PiSB_
; %bb.0:
	s_clause 0x1
	s_load_b128 s[4:7], s[0:1], 0xc
	s_load_b64 s[12:13], s[0:1], 0x0
	s_bfe_u32 s2, ttmp6, 0x4000c
	s_and_b32 s3, ttmp6, 15
	s_add_co_i32 s2, s2, 1
	s_getreg_b32 s8, hwreg(HW_REG_IB_STS2, 6, 4)
	s_mul_i32 s2, ttmp9, s2
	v_dual_lshrrev_b32 v18, 6, v0 :: v_dual_mov_b32 v2, 0
	s_add_co_i32 s3, s3, s2
	s_cmp_eq_u32 s8, 0
	v_bfe_u32 v3, v0, 1, 5
	s_cselect_b32 s2, ttmp9, s3
	s_clause 0x1
	s_load_b32 s16, s[0:1], 0x1c
	s_load_b64 s[8:9], s[0:1], 0x28
	v_lshl_or_b32 v1, s2, 2, v18
	v_mov_b32_e32 v8, 0
	s_wait_kmcnt 0x0
	s_delay_alu instid0(VALU_DEP_2) | instskip(SKIP_1) | instid1(VALU_DEP_2)
	v_mad_u32 v4, v1, s6, v3
	v_cmp_gt_i32_e32 vcc_lo, s6, v3
	v_cmp_gt_i32_e64 s2, s13, v4
	s_and_b32 s2, vcc_lo, s2
	s_delay_alu instid0(SALU_CYCLE_1)
	s_and_saveexec_b32 s3, s2
	s_cbranch_execz .LBB161_2
; %bb.1:
	global_load_b32 v5, v4, s[8:9] scale_offset
	s_wait_loadcnt 0x0
	v_subrev_nc_u32_e32 v8, s16, v5
.LBB161_2:
	s_or_b32 exec_lo, exec_lo, s3
	v_mov_b32_e32 v19, 0
	s_and_saveexec_b32 s3, s2
	s_cbranch_execz .LBB161_4
; %bb.3:
	global_load_b32 v4, v4, s[8:9] offset:4 scale_offset
	s_wait_loadcnt 0x0
	v_subrev_nc_u32_e32 v19, s16, v4
.LBB161_4:
	s_or_b32 exec_lo, exec_lo, s3
	s_load_b32 s17, s[0:1], 0x38
	s_mov_b32 s3, exec_lo
	v_cmpx_gt_i32_e64 s4, v1
	s_cbranch_execz .LBB161_6
; %bb.5:
	s_load_b64 s[8:9], s[0:1], 0x48
	s_wait_kmcnt 0x0
	global_load_b32 v1, v1, s[8:9] scale_offset
	s_wait_loadcnt 0x0
	v_subrev_nc_u32_e32 v2, s17, v1
.LBB161_6:
	s_or_b32 exec_lo, exec_lo, s3
	s_cmp_lt_i32 s5, 1
	s_cbranch_scc1 .LBB161_24
; %bb.7:
	v_mbcnt_lo_u32_b32 v9, -1, 0
	s_clause 0x3
	s_load_b64 s[2:3], s[0:1], 0x50
	s_load_b64 s[14:15], s[0:1], 0x40
	s_load_b64 s[8:9], s[0:1], 0x20
	s_load_b64 s[10:11], s[0:1], 0x30
	v_and_b32_e32 v5, 0xc0, v0
	v_mul_lo_u32 v10, s7, v3
	v_bfrev_b32_e32 v29, 0.5
	v_dual_lshlrev_b32 v6, 4, v3 :: v_dual_bitop2_b32 v1, 1, v9 bitop3:0x14
	v_lshl_or_b32 v22, v9, 2, 4
	s_mov_b32 s13, 0
	v_mov_b32_e32 v30, 1
	s_wait_xcnt 0x0
	v_cmp_gt_i32_e64 s0, 32, v1
	v_and_b32_e32 v4, 1, v0
	v_lshl_or_b32 v20, v5, 3, v6
	s_delay_alu instid0(VALU_DEP_3) | instskip(NEXT) | instid1(VALU_DEP_3)
	v_dual_ashrrev_i32 v11, 31, v10 :: v_dual_cndmask_b32 v1, v9, v1, s0
	v_mul_lo_u32 v0, s6, v4
	v_lshlrev_b32_e32 v12, 3, v4
	v_cmp_gt_u32_e64 s0, s7, v4
	s_wait_kmcnt 0x0
	v_lshl_add_u64 v[10:11], v[10:11], 3, s[14:15]
	v_dual_lshlrev_b32 v21, 2, v1 :: v_dual_mov_b32 v1, 0
	v_or_b32_e32 v23, v20, v12
	s_and_b32 s4, vcc_lo, s0
	s_cmp_lg_u32 s12, 0
	s_mov_b32 s12, s6
	v_mov_b32_e32 v5, v1
	v_lshl_add_u64 v[6:7], v[0:1], 3, s[14:15]
	v_dual_lshlrev_b32 v0, 3, v3 :: v_dual_bitop2_b32 v3, 16, v9 bitop3:0x14
	v_mov_b32_e32 v13, v1
	s_cselect_b32 s18, -1, 0
	s_abs_i32 s6, s7
	s_delay_alu instid0(VALU_DEP_2)
	v_add_nc_u64_e32 v[6:7], v[6:7], v[0:1]
	v_or_b32_e32 v0, 32, v9
	s_cvt_f32_u32 s14, s6
	v_add_nc_u64_e32 v[10:11], v[10:11], v[12:13]
	s_ashr_i32 s1, s7, 31
	s_mov_b32 s0, s7
	v_cmp_gt_i32_e32 vcc_lo, 32, v0
	v_rcp_iflag_f32_e32 v14, s14
	v_cndmask_b32_e32 v0, v9, v0, vcc_lo
	v_cmp_gt_i32_e32 vcc_lo, 32, v3
	s_delay_alu instid0(TRANS32_DEP_1) | instskip(NEXT) | instid1(VALU_DEP_3)
	v_readfirstlane_b32 s14, v14
	v_dual_cndmask_b32 v3, v9, v3 :: v_dual_lshlrev_b32 v24, 2, v0
	v_xor_b32_e32 v0, 8, v9
	s_mul_f32 s14, s14, 0x4f7ffffe
	s_delay_alu instid0(VALU_DEP_2) | instskip(NEXT) | instid1(VALU_DEP_2)
	v_dual_lshlrev_b32 v25, 2, v3 :: v_dual_bitop2_b32 v3, 4, v9 bitop3:0x14
	v_cmp_gt_i32_e32 vcc_lo, 32, v0
	v_xor_b32_e32 v12, 2, v9
	s_cvt_u32_f32 s19, s14
	s_sub_co_i32 s14, 0, s6
	v_cndmask_b32_e32 v0, v9, v0, vcc_lo
	v_cmp_gt_i32_e32 vcc_lo, 32, v3
	s_mul_i32 s14, s14, s19
	s_delay_alu instid0(SALU_CYCLE_1)
	s_mul_hi_u32 s20, s19, s14
	s_mul_u64 s[14:15], s[0:1], s[12:13]
	v_cndmask_b32_e32 v3, v9, v3, vcc_lo
	v_cmp_gt_i32_e32 vcc_lo, 32, v12
	s_add_co_i32 s12, s19, s20
	s_mov_b32 s19, s13
	v_cndmask_b32_e32 v9, v9, v12, vcc_lo
	v_mov_b64_e32 v[12:13], 0
	v_dual_lshlrev_b32 v26, 2, v0 :: v_dual_lshlrev_b32 v27, 2, v3
	s_delay_alu instid0(VALU_DEP_3)
	v_dual_mov_b32 v3, 0 :: v_dual_lshlrev_b32 v28, 2, v9
	s_branch .LBB161_10
.LBB161_8:                              ;   in Loop: Header=BB161_10 Depth=1
	s_wait_xcnt 0x0
	s_or_b32 exec_lo, exec_lo, s20
	v_mov_b32_e32 v0, 1
.LBB161_9:                              ;   in Loop: Header=BB161_10 Depth=1
	s_or_b32 exec_lo, exec_lo, s0
	ds_bpermute_b32 v3, v24, v31
	s_wait_storecnt_dscnt 0x0
	v_dual_add_nc_u32 v2, v0, v2 :: v_dual_min_i32 v3, v3, v31
	ds_bpermute_b32 v9, v25, v3
	s_wait_dscnt 0x0
	v_min_i32_e32 v3, v9, v3
	ds_bpermute_b32 v9, v26, v3
	s_wait_dscnt 0x0
	v_min_i32_e32 v3, v9, v3
	;; [unrolled: 3-line block ×5, first 2 shown]
	ds_bpermute_b32 v3, v29, v3
	s_wait_dscnt 0x0
	v_cmp_le_i32_e32 vcc_lo, s5, v3
	s_or_b32 s19, vcc_lo, s19
	s_delay_alu instid0(SALU_CYCLE_1)
	s_and_not1_b32 exec_lo, exec_lo, s19
	s_cbranch_execz .LBB161_24
.LBB161_10:                             ; =>This Loop Header: Depth=1
                                        ;     Child Loop BB161_13 Depth 2
	v_dual_mov_b32 v31, s5 :: v_dual_add_nc_u32 v16, v8, v4
	v_mov_b32_e32 v32, v19
	s_mov_b32 s20, exec_lo
	ds_store_b8 v18, v1 offset:2048
	ds_store_b64 v23, v[12:13]
	s_wait_dscnt 0x0
	v_cmpx_lt_i32_e64 v16, v19
	s_cbranch_execz .LBB161_18
; %bb.11:                               ;   in Loop: Header=BB161_10 Depth=1
	v_dual_ashrrev_i32 v9, 31, v8 :: v_dual_mov_b32 v31, s5
	v_mul_lo_u32 v17, v3, s7
	v_mov_b32_e32 v32, v19
	s_mov_b32 s21, 0
	s_delay_alu instid0(VALU_DEP_3) | instskip(NEXT) | instid1(VALU_DEP_1)
	v_add_nc_u64_e32 v[14:15], v[4:5], v[8:9]
	v_lshl_add_u64 v[8:9], v[14:15], 2, s[10:11]
	v_lshl_add_u64 v[14:15], v[14:15], 3, s[8:9]
	s_branch .LBB161_13
.LBB161_12:                             ;   in Loop: Header=BB161_13 Depth=2
	s_wait_xcnt 0x0
	s_or_b32 exec_lo, exec_lo, s0
	v_add_nc_u32_e32 v16, 2, v16
	s_xor_b32 s22, vcc_lo, -1
	v_add_nc_u64_e32 v[8:9], 8, v[8:9]
	v_add_nc_u64_e32 v[14:15], 16, v[14:15]
	s_delay_alu instid0(VALU_DEP_3) | instskip(SKIP_1) | instid1(SALU_CYCLE_1)
	v_cmp_ge_i32_e64 s0, v16, v19
	s_or_b32 s0, s22, s0
	s_and_b32 s0, exec_lo, s0
	s_delay_alu instid0(SALU_CYCLE_1) | instskip(NEXT) | instid1(SALU_CYCLE_1)
	s_or_b32 s21, s0, s21
	s_and_not1_b32 exec_lo, exec_lo, s21
	s_cbranch_execz .LBB161_17
.LBB161_13:                             ;   Parent Loop BB161_10 Depth=1
                                        ; =>  This Inner Loop Header: Depth=2
	global_load_b32 v0, v[8:9], off
	s_wait_loadcnt 0x0
	v_subrev_nc_u32_e32 v33, s16, v0
	s_delay_alu instid0(VALU_DEP_1) | instskip(NEXT) | instid1(VALU_DEP_1)
	v_sub_nc_u32_e32 v0, 0, v33
	v_max_i32_e32 v0, v33, v0
	s_delay_alu instid0(VALU_DEP_1) | instskip(NEXT) | instid1(VALU_DEP_1)
	v_mul_u64_e32 v[34:35], s[12:13], v[0:1]
	v_mul_lo_u32 v34, v35, s6
	s_delay_alu instid0(VALU_DEP_1) | instskip(NEXT) | instid1(VALU_DEP_1)
	v_dual_sub_nc_u32 v0, v0, v34 :: v_dual_add_nc_u32 v34, 1, v35
	v_cmp_le_u32_e32 vcc_lo, s6, v0
	s_delay_alu instid0(VALU_DEP_2) | instskip(SKIP_1) | instid1(VALU_DEP_1)
	v_dual_cndmask_b32 v34, v35, v34 :: v_dual_ashrrev_i32 v35, 31, v33
	v_subrev_nc_u32_e32 v36, s6, v0
	v_dual_cndmask_b32 v0, v0, v36, vcc_lo :: v_dual_add_nc_u32 v36, 1, v34
	s_delay_alu instid0(VALU_DEP_1) | instskip(NEXT) | instid1(VALU_DEP_2)
	v_cmp_le_u32_e32 vcc_lo, s6, v0
	v_dual_cndmask_b32 v0, v34, v36, vcc_lo :: v_dual_bitop2_b32 v35, s1, v35 bitop3:0x14
	s_delay_alu instid0(VALU_DEP_1) | instskip(NEXT) | instid1(VALU_DEP_1)
	v_xor_b32_e32 v0, v0, v35
	v_sub_nc_u32_e32 v34, v0, v35
	v_mov_b32_e32 v0, v32
	s_delay_alu instid0(VALU_DEP_2) | instskip(SKIP_3) | instid1(SALU_CYCLE_1)
	v_cmp_ne_u32_e64 s0, v34, v3
	v_cmp_eq_u32_e32 vcc_lo, v34, v3
	s_wait_xcnt 0x0
	s_and_saveexec_b32 s22, s0
	s_xor_b32 s0, exec_lo, s22
; %bb.14:                               ;   in Loop: Header=BB161_13 Depth=2
	v_min_i32_e32 v31, v34, v31
                                        ; implicit-def: $vgpr33
                                        ; implicit-def: $vgpr0
; %bb.15:                               ;   in Loop: Header=BB161_13 Depth=2
	s_or_saveexec_b32 s0, s0
	v_mov_b32_e32 v32, v16
	s_xor_b32 exec_lo, exec_lo, s0
	s_cbranch_execz .LBB161_12
; %bb.16:                               ;   in Loop: Header=BB161_13 Depth=2
	global_load_b64 v[34:35], v[14:15], off
	v_sub_nc_u32_e32 v32, v33, v17
	s_delay_alu instid0(VALU_DEP_1)
	v_lshl_add_u32 v33, v32, 3, v20
	v_mov_b32_e32 v32, v0
	ds_store_b8 v18, v30 offset:2048
	s_wait_loadcnt 0x0
	ds_store_b64 v33, v[34:35]
	s_branch .LBB161_12
.LBB161_17:                             ;   in Loop: Header=BB161_10 Depth=1
	s_or_b32 exec_lo, exec_lo, s21
.LBB161_18:                             ;   in Loop: Header=BB161_10 Depth=1
	s_delay_alu instid0(SALU_CYCLE_1)
	s_or_b32 exec_lo, exec_lo, s20
	ds_bpermute_b32 v0, v21, v32
	s_wait_dscnt 0x0
	ds_load_u8 v9, v18 offset:2048
	v_min_i32_e32 v0, v0, v32
	ds_bpermute_b32 v8, v22, v0
	s_wait_dscnt 0x1
	v_and_b32_e32 v0, 1, v9
	s_delay_alu instid0(VALU_DEP_1)
	v_cmp_eq_u32_e32 vcc_lo, 1, v0
	v_mov_b32_e32 v0, 0
	s_and_saveexec_b32 s0, vcc_lo
	s_cbranch_execz .LBB161_9
; %bb.19:                               ;   in Loop: Header=BB161_10 Depth=1
	v_add_nc_u32_e32 v0, s17, v3
	global_store_b32 v2, v0, s[2:3] scale_offset
	s_wait_xcnt 0x0
	s_and_saveexec_b32 s20, s4
	s_cbranch_execz .LBB161_8
; %bb.20:                               ;   in Loop: Header=BB161_10 Depth=1
	v_ashrrev_i32_e32 v3, 31, v2
	ds_load_b64 v[16:17], v23
	s_and_b32 vcc_lo, exec_lo, s18
	v_mul_u64_e32 v[14:15], s[14:15], v[2:3]
	s_cbranch_vccz .LBB161_22
; %bb.21:                               ;   in Loop: Header=BB161_10 Depth=1
	s_delay_alu instid0(VALU_DEP_1)
	v_lshl_add_u64 v[32:33], v[14:15], 3, v[6:7]
	s_wait_dscnt 0x0
	global_store_b64 v[32:33], v[16:17], off
	s_cbranch_execnz .LBB161_8
	s_branch .LBB161_23
.LBB161_22:                             ;   in Loop: Header=BB161_10 Depth=1
.LBB161_23:                             ;   in Loop: Header=BB161_10 Depth=1
	s_delay_alu instid0(VALU_DEP_1)
	v_lshl_add_u64 v[14:15], v[14:15], 3, v[10:11]
	s_wait_dscnt 0x0
	global_store_b64 v[14:15], v[16:17], off
	s_branch .LBB161_8
.LBB161_24:
	s_endpgm
	.section	.rodata,"a",@progbits
	.p2align	6, 0x0
	.amdhsa_kernel _ZN9rocsparseL44csr2gebsr_wavefront_per_row_multipass_kernelILi256ELi32ELi2ELi64E21rocsparse_complex_numIfEEEv20rocsparse_direction_iiiiii21rocsparse_index_base_PKT3_PKiS9_S4_PS5_PiSB_
		.amdhsa_group_segment_fixed_size 2052
		.amdhsa_private_segment_fixed_size 0
		.amdhsa_kernarg_size 88
		.amdhsa_user_sgpr_count 2
		.amdhsa_user_sgpr_dispatch_ptr 0
		.amdhsa_user_sgpr_queue_ptr 0
		.amdhsa_user_sgpr_kernarg_segment_ptr 1
		.amdhsa_user_sgpr_dispatch_id 0
		.amdhsa_user_sgpr_kernarg_preload_length 0
		.amdhsa_user_sgpr_kernarg_preload_offset 0
		.amdhsa_user_sgpr_private_segment_size 0
		.amdhsa_wavefront_size32 1
		.amdhsa_uses_dynamic_stack 0
		.amdhsa_enable_private_segment 0
		.amdhsa_system_sgpr_workgroup_id_x 1
		.amdhsa_system_sgpr_workgroup_id_y 0
		.amdhsa_system_sgpr_workgroup_id_z 0
		.amdhsa_system_sgpr_workgroup_info 0
		.amdhsa_system_vgpr_workitem_id 0
		.amdhsa_next_free_vgpr 37
		.amdhsa_next_free_sgpr 23
		.amdhsa_named_barrier_count 0
		.amdhsa_reserve_vcc 1
		.amdhsa_float_round_mode_32 0
		.amdhsa_float_round_mode_16_64 0
		.amdhsa_float_denorm_mode_32 3
		.amdhsa_float_denorm_mode_16_64 3
		.amdhsa_fp16_overflow 0
		.amdhsa_memory_ordered 1
		.amdhsa_forward_progress 1
		.amdhsa_inst_pref_size 12
		.amdhsa_round_robin_scheduling 0
		.amdhsa_exception_fp_ieee_invalid_op 0
		.amdhsa_exception_fp_denorm_src 0
		.amdhsa_exception_fp_ieee_div_zero 0
		.amdhsa_exception_fp_ieee_overflow 0
		.amdhsa_exception_fp_ieee_underflow 0
		.amdhsa_exception_fp_ieee_inexact 0
		.amdhsa_exception_int_div_zero 0
	.end_amdhsa_kernel
	.section	.text._ZN9rocsparseL44csr2gebsr_wavefront_per_row_multipass_kernelILi256ELi32ELi2ELi64E21rocsparse_complex_numIfEEEv20rocsparse_direction_iiiiii21rocsparse_index_base_PKT3_PKiS9_S4_PS5_PiSB_,"axG",@progbits,_ZN9rocsparseL44csr2gebsr_wavefront_per_row_multipass_kernelILi256ELi32ELi2ELi64E21rocsparse_complex_numIfEEEv20rocsparse_direction_iiiiii21rocsparse_index_base_PKT3_PKiS9_S4_PS5_PiSB_,comdat
.Lfunc_end161:
	.size	_ZN9rocsparseL44csr2gebsr_wavefront_per_row_multipass_kernelILi256ELi32ELi2ELi64E21rocsparse_complex_numIfEEEv20rocsparse_direction_iiiiii21rocsparse_index_base_PKT3_PKiS9_S4_PS5_PiSB_, .Lfunc_end161-_ZN9rocsparseL44csr2gebsr_wavefront_per_row_multipass_kernelILi256ELi32ELi2ELi64E21rocsparse_complex_numIfEEEv20rocsparse_direction_iiiiii21rocsparse_index_base_PKT3_PKiS9_S4_PS5_PiSB_
                                        ; -- End function
	.set _ZN9rocsparseL44csr2gebsr_wavefront_per_row_multipass_kernelILi256ELi32ELi2ELi64E21rocsparse_complex_numIfEEEv20rocsparse_direction_iiiiii21rocsparse_index_base_PKT3_PKiS9_S4_PS5_PiSB_.num_vgpr, 37
	.set _ZN9rocsparseL44csr2gebsr_wavefront_per_row_multipass_kernelILi256ELi32ELi2ELi64E21rocsparse_complex_numIfEEEv20rocsparse_direction_iiiiii21rocsparse_index_base_PKT3_PKiS9_S4_PS5_PiSB_.num_agpr, 0
	.set _ZN9rocsparseL44csr2gebsr_wavefront_per_row_multipass_kernelILi256ELi32ELi2ELi64E21rocsparse_complex_numIfEEEv20rocsparse_direction_iiiiii21rocsparse_index_base_PKT3_PKiS9_S4_PS5_PiSB_.numbered_sgpr, 23
	.set _ZN9rocsparseL44csr2gebsr_wavefront_per_row_multipass_kernelILi256ELi32ELi2ELi64E21rocsparse_complex_numIfEEEv20rocsparse_direction_iiiiii21rocsparse_index_base_PKT3_PKiS9_S4_PS5_PiSB_.num_named_barrier, 0
	.set _ZN9rocsparseL44csr2gebsr_wavefront_per_row_multipass_kernelILi256ELi32ELi2ELi64E21rocsparse_complex_numIfEEEv20rocsparse_direction_iiiiii21rocsparse_index_base_PKT3_PKiS9_S4_PS5_PiSB_.private_seg_size, 0
	.set _ZN9rocsparseL44csr2gebsr_wavefront_per_row_multipass_kernelILi256ELi32ELi2ELi64E21rocsparse_complex_numIfEEEv20rocsparse_direction_iiiiii21rocsparse_index_base_PKT3_PKiS9_S4_PS5_PiSB_.uses_vcc, 1
	.set _ZN9rocsparseL44csr2gebsr_wavefront_per_row_multipass_kernelILi256ELi32ELi2ELi64E21rocsparse_complex_numIfEEEv20rocsparse_direction_iiiiii21rocsparse_index_base_PKT3_PKiS9_S4_PS5_PiSB_.uses_flat_scratch, 0
	.set _ZN9rocsparseL44csr2gebsr_wavefront_per_row_multipass_kernelILi256ELi32ELi2ELi64E21rocsparse_complex_numIfEEEv20rocsparse_direction_iiiiii21rocsparse_index_base_PKT3_PKiS9_S4_PS5_PiSB_.has_dyn_sized_stack, 0
	.set _ZN9rocsparseL44csr2gebsr_wavefront_per_row_multipass_kernelILi256ELi32ELi2ELi64E21rocsparse_complex_numIfEEEv20rocsparse_direction_iiiiii21rocsparse_index_base_PKT3_PKiS9_S4_PS5_PiSB_.has_recursion, 0
	.set _ZN9rocsparseL44csr2gebsr_wavefront_per_row_multipass_kernelILi256ELi32ELi2ELi64E21rocsparse_complex_numIfEEEv20rocsparse_direction_iiiiii21rocsparse_index_base_PKT3_PKiS9_S4_PS5_PiSB_.has_indirect_call, 0
	.section	.AMDGPU.csdata,"",@progbits
; Kernel info:
; codeLenInByte = 1436
; TotalNumSgprs: 25
; NumVgprs: 37
; ScratchSize: 0
; MemoryBound: 0
; FloatMode: 240
; IeeeMode: 1
; LDSByteSize: 2052 bytes/workgroup (compile time only)
; SGPRBlocks: 0
; VGPRBlocks: 2
; NumSGPRsForWavesPerEU: 25
; NumVGPRsForWavesPerEU: 37
; NamedBarCnt: 0
; Occupancy: 16
; WaveLimiterHint : 0
; COMPUTE_PGM_RSRC2:SCRATCH_EN: 0
; COMPUTE_PGM_RSRC2:USER_SGPR: 2
; COMPUTE_PGM_RSRC2:TRAP_HANDLER: 0
; COMPUTE_PGM_RSRC2:TGID_X_EN: 1
; COMPUTE_PGM_RSRC2:TGID_Y_EN: 0
; COMPUTE_PGM_RSRC2:TGID_Z_EN: 0
; COMPUTE_PGM_RSRC2:TIDIG_COMP_CNT: 0
	.section	.text._ZN9rocsparseL44csr2gebsr_wavefront_per_row_multipass_kernelILi256ELi32ELi2ELi32E21rocsparse_complex_numIfEEEv20rocsparse_direction_iiiiii21rocsparse_index_base_PKT3_PKiS9_S4_PS5_PiSB_,"axG",@progbits,_ZN9rocsparseL44csr2gebsr_wavefront_per_row_multipass_kernelILi256ELi32ELi2ELi32E21rocsparse_complex_numIfEEEv20rocsparse_direction_iiiiii21rocsparse_index_base_PKT3_PKiS9_S4_PS5_PiSB_,comdat
	.globl	_ZN9rocsparseL44csr2gebsr_wavefront_per_row_multipass_kernelILi256ELi32ELi2ELi32E21rocsparse_complex_numIfEEEv20rocsparse_direction_iiiiii21rocsparse_index_base_PKT3_PKiS9_S4_PS5_PiSB_ ; -- Begin function _ZN9rocsparseL44csr2gebsr_wavefront_per_row_multipass_kernelILi256ELi32ELi2ELi32E21rocsparse_complex_numIfEEEv20rocsparse_direction_iiiiii21rocsparse_index_base_PKT3_PKiS9_S4_PS5_PiSB_
	.p2align	8
	.type	_ZN9rocsparseL44csr2gebsr_wavefront_per_row_multipass_kernelILi256ELi32ELi2ELi32E21rocsparse_complex_numIfEEEv20rocsparse_direction_iiiiii21rocsparse_index_base_PKT3_PKiS9_S4_PS5_PiSB_,@function
_ZN9rocsparseL44csr2gebsr_wavefront_per_row_multipass_kernelILi256ELi32ELi2ELi32E21rocsparse_complex_numIfEEEv20rocsparse_direction_iiiiii21rocsparse_index_base_PKT3_PKiS9_S4_PS5_PiSB_: ; @_ZN9rocsparseL44csr2gebsr_wavefront_per_row_multipass_kernelILi256ELi32ELi2ELi32E21rocsparse_complex_numIfEEEv20rocsparse_direction_iiiiii21rocsparse_index_base_PKT3_PKiS9_S4_PS5_PiSB_
; %bb.0:
	s_clause 0x1
	s_load_b128 s[4:7], s[0:1], 0xc
	s_load_b64 s[12:13], s[0:1], 0x0
	s_bfe_u32 s2, ttmp6, 0x4000c
	s_and_b32 s3, ttmp6, 15
	s_add_co_i32 s2, s2, 1
	s_getreg_b32 s8, hwreg(HW_REG_IB_STS2, 6, 4)
	s_mul_i32 s2, ttmp9, s2
	v_dual_lshrrev_b32 v20, 5, v0 :: v_dual_bitop2_b32 v1, 31, v0 bitop3:0x40
	s_add_co_i32 s3, s3, s2
	s_cmp_eq_u32 s8, 0
	s_clause 0x1
	s_load_b32 s18, s[0:1], 0x1c
	s_load_b64 s[8:9], s[0:1], 0x28
	s_cselect_b32 s2, ttmp9, s3
	v_dual_mov_b32 v4, 0 :: v_dual_mov_b32 v6, 0
	v_lshl_or_b32 v2, s2, 3, v20
	s_wait_kmcnt 0x0
	s_delay_alu instid0(VALU_DEP_1) | instskip(SKIP_1) | instid1(VALU_DEP_2)
	v_mad_u32 v3, v2, s6, v1
	v_cmp_gt_i32_e32 vcc_lo, s6, v1
	v_cmp_gt_i32_e64 s2, s13, v3
	s_and_b32 s2, vcc_lo, s2
	s_delay_alu instid0(SALU_CYCLE_1)
	s_and_saveexec_b32 s3, s2
	s_cbranch_execz .LBB162_2
; %bb.1:
	global_load_b32 v5, v3, s[8:9] scale_offset
	s_wait_loadcnt 0x0
	v_subrev_nc_u32_e32 v6, s18, v5
.LBB162_2:
	s_or_b32 exec_lo, exec_lo, s3
	v_mov_b32_e32 v21, 0
	s_and_saveexec_b32 s3, s2
	s_cbranch_execz .LBB162_4
; %bb.3:
	global_load_b32 v3, v3, s[8:9] offset:4 scale_offset
	s_wait_loadcnt 0x0
	v_subrev_nc_u32_e32 v21, s18, v3
.LBB162_4:
	s_or_b32 exec_lo, exec_lo, s3
	s_load_b32 s19, s[0:1], 0x38
	s_mov_b32 s3, exec_lo
	v_cmpx_gt_i32_e64 s4, v2
	s_cbranch_execz .LBB162_6
; %bb.5:
	s_load_b64 s[8:9], s[0:1], 0x48
	s_wait_kmcnt 0x0
	global_load_b32 v2, v2, s[8:9] scale_offset
	s_wait_loadcnt 0x0
	v_subrev_nc_u32_e32 v4, s19, v2
.LBB162_6:
	s_or_b32 exec_lo, exec_lo, s3
	s_cmp_lt_i32 s5, 1
	s_cbranch_scc1 .LBB162_29
; %bb.7:
	v_dual_lshlrev_b32 v22, 4, v0 :: v_dual_lshlrev_b32 v8, 3, v1
	v_mul_lo_u32 v0, s7, v1
	v_mbcnt_lo_u32_b32 v2, -1, 0
	s_clause 0x3
	s_load_b64 s[16:17], s[0:1], 0x40
	s_load_b64 s[2:3], s[0:1], 0x50
	;; [unrolled: 1-line block ×4, first 2 shown]
	s_cmp_lg_u32 s12, 0
	s_mov_b32 s13, 0
	s_cselect_b32 s4, -1, 0
	s_wait_xcnt 0x0
	s_ashr_i32 s1, s7, 31
	v_xor_b32_e32 v3, 16, v2
	s_mov_b32 s12, s6
	s_mov_b32 s0, s7
	s_cmp_lg_u32 s7, 0
	s_mul_u64 s[14:15], s[0:1], s[12:13]
	s_cselect_b32 s0, -1, 0
	v_ashrrev_i32_e32 v1, 31, v0
	s_and_b32 s6, vcc_lo, s0
	v_cmp_gt_i32_e64 s0, 32, v3
	s_cmp_gt_u32 s7, 1
	v_xor_b32_e32 v5, 8, v2
	s_cselect_b32 s21, -1, 0
	s_abs_i32 s20, s7
	v_cndmask_b32_e64 v3, v2, v3, s0
	s_cvt_f32_u32 s0, s20
	s_wait_kmcnt 0x0
	v_lshl_add_u64 v[12:13], v[0:1], 3, s[16:17]
	v_dual_mov_b32 v9, 0 :: v_dual_bitop2_b32 v0, 4, v2 bitop3:0x14
	v_dual_lshlrev_b32 v23, 2, v2 :: v_dual_lshlrev_b32 v24, 2, v3
	v_rcp_iflag_f32_e32 v1, s0
	v_cmp_gt_i32_e64 s0, 32, v5
	s_delay_alu instid0(VALU_DEP_3) | instskip(SKIP_1) | instid1(VALU_DEP_3)
	v_add_nc_u64_e32 v[10:11], s[16:17], v[8:9]
	v_dual_mov_b32 v29, 0x7c :: v_dual_mov_b32 v30, 1
	v_dual_mov_b32 v18, 0 :: v_dual_cndmask_b32 v3, v2, v5, s0
	v_xor_b32_e32 v5, 2, v2
	v_cmp_gt_i32_e64 s0, 32, v0
	v_xor_b32_e32 v7, 1, v2
	v_readfirstlane_b32 s16, v1
	s_and_b32 s21, vcc_lo, s21
	s_mov_b32 s17, s13
	v_cndmask_b32_e64 v0, v2, v0, s0
	v_cmp_gt_i32_e64 s0, 32, v5
	v_dual_lshlrev_b32 v25, 2, v3 :: v_dual_mov_b32 v3, v9
	s_mov_b32 s22, s13
	v_dual_lshlrev_b32 v26, 2, v0 :: v_dual_cndmask_b32 v1, v2, v5, s0
	v_cmp_gt_i32_e64 s0, 32, v7
	s_delay_alu instid0(VALU_DEP_1) | instskip(SKIP_3) | instid1(SALU_CYCLE_1)
	v_dual_mov_b32 v0, v9 :: v_dual_cndmask_b32 v2, v2, v7, s0
	s_mul_f32 s0, s16, 0x4f7ffffe
	s_sub_co_i32 s16, 0, s20
	v_dual_lshlrev_b32 v27, 2, v1 :: v_dual_mov_b32 v1, v9
	s_cvt_u32_f32 s0, s0
	v_dual_lshlrev_b32 v28, 2, v2 :: v_dual_mov_b32 v2, v9
	s_delay_alu instid0(SALU_CYCLE_2) | instskip(NEXT) | instid1(SALU_CYCLE_1)
	s_mul_i32 s16, s16, s0
	s_mul_hi_u32 s16, s0, s16
	s_delay_alu instid0(SALU_CYCLE_1)
	s_add_co_i32 s16, s0, s16
	s_branch .LBB162_10
.LBB162_8:                              ;   in Loop: Header=BB162_10 Depth=1
	s_wait_xcnt 0x0
	s_or_b32 exec_lo, exec_lo, s23
	v_mov_b32_e32 v5, 1
.LBB162_9:                              ;   in Loop: Header=BB162_10 Depth=1
	s_or_b32 exec_lo, exec_lo, s0
	ds_bpermute_b32 v8, v24, v7
	s_wait_storecnt_dscnt 0x0
	v_dual_add_nc_u32 v4, v5, v4 :: v_dual_min_i32 v7, v8, v7
	ds_bpermute_b32 v8, v25, v7
	s_wait_dscnt 0x0
	v_min_i32_e32 v7, v8, v7
	ds_bpermute_b32 v8, v26, v7
	s_wait_dscnt 0x0
	v_min_i32_e32 v7, v8, v7
	;; [unrolled: 3-line block ×4, first 2 shown]
	ds_bpermute_b32 v18, v29, v7
	s_wait_dscnt 0x0
	v_cmp_le_i32_e32 vcc_lo, s5, v18
	s_or_b32 s22, vcc_lo, s22
	s_delay_alu instid0(SALU_CYCLE_1)
	s_and_not1_b32 exec_lo, exec_lo, s22
	s_cbranch_execz .LBB162_29
.LBB162_10:                             ; =>This Loop Header: Depth=1
                                        ;     Child Loop BB162_13 Depth 2
	v_dual_mov_b32 v7, s5 :: v_dual_mov_b32 v19, v21
	s_mov_b32 s23, exec_lo
	ds_store_b8 v20, v9 offset:4096
	ds_store_b128 v22, v[0:3]
	s_wait_dscnt 0x0
	v_cmpx_lt_i32_e64 v6, v21
	s_cbranch_execz .LBB162_18
; %bb.11:                               ;   in Loop: Header=BB162_10 Depth=1
	v_mul_lo_u32 v5, v18, s7
	v_dual_ashrrev_i32 v7, 31, v6 :: v_dual_mov_b32 v19, v21
	s_mov_b32 s24, 0
	s_delay_alu instid0(VALU_DEP_1)
	v_lshl_add_u64 v[14:15], v[6:7], 2, s[10:11]
	v_lshl_add_u64 v[16:17], v[6:7], 3, s[8:9]
	v_mov_b32_e32 v7, s5
	s_branch .LBB162_13
.LBB162_12:                             ;   in Loop: Header=BB162_13 Depth=2
	s_wait_xcnt 0x0
	s_or_b32 exec_lo, exec_lo, s0
	v_add_nc_u32_e32 v6, 1, v6
	s_xor_b32 s25, vcc_lo, -1
	v_add_nc_u64_e32 v[14:15], 4, v[14:15]
	v_add_nc_u64_e32 v[16:17], 8, v[16:17]
	s_delay_alu instid0(VALU_DEP_3) | instskip(SKIP_1) | instid1(SALU_CYCLE_1)
	v_cmp_ge_i32_e64 s0, v6, v21
	s_or_b32 s0, s25, s0
	s_and_b32 s0, exec_lo, s0
	s_delay_alu instid0(SALU_CYCLE_1) | instskip(NEXT) | instid1(SALU_CYCLE_1)
	s_or_b32 s24, s0, s24
	s_and_not1_b32 exec_lo, exec_lo, s24
	s_cbranch_execz .LBB162_17
.LBB162_13:                             ;   Parent Loop BB162_10 Depth=1
                                        ; =>  This Inner Loop Header: Depth=2
	global_load_b32 v8, v[14:15], off
	s_wait_loadcnt 0x0
	v_subrev_nc_u32_e32 v31, s18, v8
	s_delay_alu instid0(VALU_DEP_1) | instskip(NEXT) | instid1(VALU_DEP_1)
	v_sub_nc_u32_e32 v8, 0, v31
	v_max_i32_e32 v8, v31, v8
	s_delay_alu instid0(VALU_DEP_1) | instskip(NEXT) | instid1(VALU_DEP_1)
	v_mul_u64_e32 v[32:33], s[16:17], v[8:9]
	v_mul_lo_u32 v32, v33, s20
	s_delay_alu instid0(VALU_DEP_1) | instskip(NEXT) | instid1(VALU_DEP_1)
	v_dual_sub_nc_u32 v8, v8, v32 :: v_dual_add_nc_u32 v32, 1, v33
	v_cmp_le_u32_e32 vcc_lo, s20, v8
	s_delay_alu instid0(VALU_DEP_2) | instskip(SKIP_1) | instid1(VALU_DEP_1)
	v_cndmask_b32_e32 v32, v33, v32, vcc_lo
	v_subrev_nc_u32_e32 v34, s20, v8
	v_dual_cndmask_b32 v8, v8, v34 :: v_dual_ashrrev_i32 v33, 31, v31
	s_delay_alu instid0(VALU_DEP_3) | instskip(NEXT) | instid1(VALU_DEP_2)
	v_add_nc_u32_e32 v34, 1, v32
	v_cmp_le_u32_e32 vcc_lo, s20, v8
	s_delay_alu instid0(VALU_DEP_2) | instskip(NEXT) | instid1(VALU_DEP_1)
	v_dual_cndmask_b32 v8, v32, v34, vcc_lo :: v_dual_bitop2_b32 v33, s1, v33 bitop3:0x14
	v_xor_b32_e32 v8, v8, v33
	s_delay_alu instid0(VALU_DEP_1) | instskip(NEXT) | instid1(VALU_DEP_1)
	v_dual_sub_nc_u32 v32, v8, v33 :: v_dual_mov_b32 v8, v19
	v_cmp_ne_u32_e64 s0, v32, v18
	v_cmp_eq_u32_e32 vcc_lo, v32, v18
	s_wait_xcnt 0x0
	s_and_saveexec_b32 s25, s0
	s_delay_alu instid0(SALU_CYCLE_1)
	s_xor_b32 s0, exec_lo, s25
; %bb.14:                               ;   in Loop: Header=BB162_13 Depth=2
	v_min_i32_e32 v7, v32, v7
                                        ; implicit-def: $vgpr31
                                        ; implicit-def: $vgpr8
; %bb.15:                               ;   in Loop: Header=BB162_13 Depth=2
	s_or_saveexec_b32 s0, s0
	v_mov_b32_e32 v19, v6
	s_xor_b32 exec_lo, exec_lo, s0
	s_cbranch_execz .LBB162_12
; %bb.16:                               ;   in Loop: Header=BB162_13 Depth=2
	global_load_b64 v[32:33], v[16:17], off
	v_sub_nc_u32_e32 v19, v31, v5
	s_delay_alu instid0(VALU_DEP_1)
	v_lshl_add_u32 v31, v19, 3, v22
	v_mov_b32_e32 v19, v8
	ds_store_b8 v20, v30 offset:4096
	s_wait_loadcnt 0x0
	ds_store_b64 v31, v[32:33]
	s_branch .LBB162_12
.LBB162_17:                             ;   in Loop: Header=BB162_10 Depth=1
	s_or_b32 exec_lo, exec_lo, s24
.LBB162_18:                             ;   in Loop: Header=BB162_10 Depth=1
	s_delay_alu instid0(SALU_CYCLE_1)
	s_or_b32 exec_lo, exec_lo, s23
	s_wait_dscnt 0x0
	ds_load_u8 v5, v20 offset:4096
	ds_bpermute_b32 v6, v23, v19
	s_wait_dscnt 0x1
	v_and_b32_e32 v5, 1, v5
	s_delay_alu instid0(VALU_DEP_1)
	v_cmp_eq_u32_e32 vcc_lo, 1, v5
	v_mov_b32_e32 v5, 0
	s_and_saveexec_b32 s0, vcc_lo
	s_cbranch_execz .LBB162_9
; %bb.19:                               ;   in Loop: Header=BB162_10 Depth=1
	v_ashrrev_i32_e32 v5, 31, v4
	s_delay_alu instid0(VALU_DEP_1) | instskip(SKIP_3) | instid1(VALU_DEP_1)
	v_mul_u64_e32 v[14:15], s[14:15], v[4:5]
	v_add_nc_u32_e32 v5, s19, v18
	global_store_b32 v4, v5, s[2:3] scale_offset
	v_lshlrev_b64_e32 v[14:15], 3, v[14:15]
	v_add_nc_u64_e32 v[16:17], v[10:11], v[14:15]
	v_add_nc_u64_e32 v[14:15], v[12:13], v[14:15]
	s_wait_xcnt 0x0
	s_and_saveexec_b32 s23, s6
	s_cbranch_execz .LBB162_23
; %bb.20:                               ;   in Loop: Header=BB162_10 Depth=1
	ds_load_b64 v[18:19], v22
	s_and_b32 vcc_lo, exec_lo, s4
	s_cbranch_vccz .LBB162_26
; %bb.21:                               ;   in Loop: Header=BB162_10 Depth=1
	s_wait_dscnt 0x0
	global_store_b64 v[16:17], v[18:19], off
	s_cbranch_execnz .LBB162_23
.LBB162_22:                             ;   in Loop: Header=BB162_10 Depth=1
	s_wait_dscnt 0x0
	global_store_b64 v[14:15], v[18:19], off
.LBB162_23:                             ;   in Loop: Header=BB162_10 Depth=1
	s_wait_xcnt 0x0
	s_or_b32 exec_lo, exec_lo, s23
	s_and_saveexec_b32 s23, s21
	s_cbranch_execz .LBB162_8
; %bb.24:                               ;   in Loop: Header=BB162_10 Depth=1
	s_wait_dscnt 0x0
	ds_load_b64 v[18:19], v22 offset:8
	s_and_not1_b32 vcc_lo, exec_lo, s4
	s_cbranch_vccnz .LBB162_27
; %bb.25:                               ;   in Loop: Header=BB162_10 Depth=1
	v_lshl_add_u64 v[16:17], s[12:13], 3, v[16:17]
	s_wait_dscnt 0x0
	global_store_b64 v[16:17], v[18:19], off
	s_cbranch_execnz .LBB162_8
	s_branch .LBB162_28
.LBB162_26:                             ;   in Loop: Header=BB162_10 Depth=1
	s_branch .LBB162_22
.LBB162_27:                             ;   in Loop: Header=BB162_10 Depth=1
.LBB162_28:                             ;   in Loop: Header=BB162_10 Depth=1
	s_wait_dscnt 0x0
	global_store_b64 v[14:15], v[18:19], off offset:8
	s_branch .LBB162_8
.LBB162_29:
	s_endpgm
	.section	.rodata,"a",@progbits
	.p2align	6, 0x0
	.amdhsa_kernel _ZN9rocsparseL44csr2gebsr_wavefront_per_row_multipass_kernelILi256ELi32ELi2ELi32E21rocsparse_complex_numIfEEEv20rocsparse_direction_iiiiii21rocsparse_index_base_PKT3_PKiS9_S4_PS5_PiSB_
		.amdhsa_group_segment_fixed_size 4104
		.amdhsa_private_segment_fixed_size 0
		.amdhsa_kernarg_size 88
		.amdhsa_user_sgpr_count 2
		.amdhsa_user_sgpr_dispatch_ptr 0
		.amdhsa_user_sgpr_queue_ptr 0
		.amdhsa_user_sgpr_kernarg_segment_ptr 1
		.amdhsa_user_sgpr_dispatch_id 0
		.amdhsa_user_sgpr_kernarg_preload_length 0
		.amdhsa_user_sgpr_kernarg_preload_offset 0
		.amdhsa_user_sgpr_private_segment_size 0
		.amdhsa_wavefront_size32 1
		.amdhsa_uses_dynamic_stack 0
		.amdhsa_enable_private_segment 0
		.amdhsa_system_sgpr_workgroup_id_x 1
		.amdhsa_system_sgpr_workgroup_id_y 0
		.amdhsa_system_sgpr_workgroup_id_z 0
		.amdhsa_system_sgpr_workgroup_info 0
		.amdhsa_system_vgpr_workitem_id 0
		.amdhsa_next_free_vgpr 35
		.amdhsa_next_free_sgpr 26
		.amdhsa_named_barrier_count 0
		.amdhsa_reserve_vcc 1
		.amdhsa_float_round_mode_32 0
		.amdhsa_float_round_mode_16_64 0
		.amdhsa_float_denorm_mode_32 3
		.amdhsa_float_denorm_mode_16_64 3
		.amdhsa_fp16_overflow 0
		.amdhsa_memory_ordered 1
		.amdhsa_forward_progress 1
		.amdhsa_inst_pref_size 12
		.amdhsa_round_robin_scheduling 0
		.amdhsa_exception_fp_ieee_invalid_op 0
		.amdhsa_exception_fp_denorm_src 0
		.amdhsa_exception_fp_ieee_div_zero 0
		.amdhsa_exception_fp_ieee_overflow 0
		.amdhsa_exception_fp_ieee_underflow 0
		.amdhsa_exception_fp_ieee_inexact 0
		.amdhsa_exception_int_div_zero 0
	.end_amdhsa_kernel
	.section	.text._ZN9rocsparseL44csr2gebsr_wavefront_per_row_multipass_kernelILi256ELi32ELi2ELi32E21rocsparse_complex_numIfEEEv20rocsparse_direction_iiiiii21rocsparse_index_base_PKT3_PKiS9_S4_PS5_PiSB_,"axG",@progbits,_ZN9rocsparseL44csr2gebsr_wavefront_per_row_multipass_kernelILi256ELi32ELi2ELi32E21rocsparse_complex_numIfEEEv20rocsparse_direction_iiiiii21rocsparse_index_base_PKT3_PKiS9_S4_PS5_PiSB_,comdat
.Lfunc_end162:
	.size	_ZN9rocsparseL44csr2gebsr_wavefront_per_row_multipass_kernelILi256ELi32ELi2ELi32E21rocsparse_complex_numIfEEEv20rocsparse_direction_iiiiii21rocsparse_index_base_PKT3_PKiS9_S4_PS5_PiSB_, .Lfunc_end162-_ZN9rocsparseL44csr2gebsr_wavefront_per_row_multipass_kernelILi256ELi32ELi2ELi32E21rocsparse_complex_numIfEEEv20rocsparse_direction_iiiiii21rocsparse_index_base_PKT3_PKiS9_S4_PS5_PiSB_
                                        ; -- End function
	.set _ZN9rocsparseL44csr2gebsr_wavefront_per_row_multipass_kernelILi256ELi32ELi2ELi32E21rocsparse_complex_numIfEEEv20rocsparse_direction_iiiiii21rocsparse_index_base_PKT3_PKiS9_S4_PS5_PiSB_.num_vgpr, 35
	.set _ZN9rocsparseL44csr2gebsr_wavefront_per_row_multipass_kernelILi256ELi32ELi2ELi32E21rocsparse_complex_numIfEEEv20rocsparse_direction_iiiiii21rocsparse_index_base_PKT3_PKiS9_S4_PS5_PiSB_.num_agpr, 0
	.set _ZN9rocsparseL44csr2gebsr_wavefront_per_row_multipass_kernelILi256ELi32ELi2ELi32E21rocsparse_complex_numIfEEEv20rocsparse_direction_iiiiii21rocsparse_index_base_PKT3_PKiS9_S4_PS5_PiSB_.numbered_sgpr, 26
	.set _ZN9rocsparseL44csr2gebsr_wavefront_per_row_multipass_kernelILi256ELi32ELi2ELi32E21rocsparse_complex_numIfEEEv20rocsparse_direction_iiiiii21rocsparse_index_base_PKT3_PKiS9_S4_PS5_PiSB_.num_named_barrier, 0
	.set _ZN9rocsparseL44csr2gebsr_wavefront_per_row_multipass_kernelILi256ELi32ELi2ELi32E21rocsparse_complex_numIfEEEv20rocsparse_direction_iiiiii21rocsparse_index_base_PKT3_PKiS9_S4_PS5_PiSB_.private_seg_size, 0
	.set _ZN9rocsparseL44csr2gebsr_wavefront_per_row_multipass_kernelILi256ELi32ELi2ELi32E21rocsparse_complex_numIfEEEv20rocsparse_direction_iiiiii21rocsparse_index_base_PKT3_PKiS9_S4_PS5_PiSB_.uses_vcc, 1
	.set _ZN9rocsparseL44csr2gebsr_wavefront_per_row_multipass_kernelILi256ELi32ELi2ELi32E21rocsparse_complex_numIfEEEv20rocsparse_direction_iiiiii21rocsparse_index_base_PKT3_PKiS9_S4_PS5_PiSB_.uses_flat_scratch, 0
	.set _ZN9rocsparseL44csr2gebsr_wavefront_per_row_multipass_kernelILi256ELi32ELi2ELi32E21rocsparse_complex_numIfEEEv20rocsparse_direction_iiiiii21rocsparse_index_base_PKT3_PKiS9_S4_PS5_PiSB_.has_dyn_sized_stack, 0
	.set _ZN9rocsparseL44csr2gebsr_wavefront_per_row_multipass_kernelILi256ELi32ELi2ELi32E21rocsparse_complex_numIfEEEv20rocsparse_direction_iiiiii21rocsparse_index_base_PKT3_PKiS9_S4_PS5_PiSB_.has_recursion, 0
	.set _ZN9rocsparseL44csr2gebsr_wavefront_per_row_multipass_kernelILi256ELi32ELi2ELi32E21rocsparse_complex_numIfEEEv20rocsparse_direction_iiiiii21rocsparse_index_base_PKT3_PKiS9_S4_PS5_PiSB_.has_indirect_call, 0
	.section	.AMDGPU.csdata,"",@progbits
; Kernel info:
; codeLenInByte = 1468
; TotalNumSgprs: 28
; NumVgprs: 35
; ScratchSize: 0
; MemoryBound: 0
; FloatMode: 240
; IeeeMode: 1
; LDSByteSize: 4104 bytes/workgroup (compile time only)
; SGPRBlocks: 0
; VGPRBlocks: 2
; NumSGPRsForWavesPerEU: 28
; NumVGPRsForWavesPerEU: 35
; NamedBarCnt: 0
; Occupancy: 16
; WaveLimiterHint : 0
; COMPUTE_PGM_RSRC2:SCRATCH_EN: 0
; COMPUTE_PGM_RSRC2:USER_SGPR: 2
; COMPUTE_PGM_RSRC2:TRAP_HANDLER: 0
; COMPUTE_PGM_RSRC2:TGID_X_EN: 1
; COMPUTE_PGM_RSRC2:TGID_Y_EN: 0
; COMPUTE_PGM_RSRC2:TGID_Z_EN: 0
; COMPUTE_PGM_RSRC2:TIDIG_COMP_CNT: 0
	.section	.text._ZN9rocsparseL44csr2gebsr_wavefront_per_row_multipass_kernelILi256ELi32ELi4ELi64E21rocsparse_complex_numIfEEEv20rocsparse_direction_iiiiii21rocsparse_index_base_PKT3_PKiS9_S4_PS5_PiSB_,"axG",@progbits,_ZN9rocsparseL44csr2gebsr_wavefront_per_row_multipass_kernelILi256ELi32ELi4ELi64E21rocsparse_complex_numIfEEEv20rocsparse_direction_iiiiii21rocsparse_index_base_PKT3_PKiS9_S4_PS5_PiSB_,comdat
	.globl	_ZN9rocsparseL44csr2gebsr_wavefront_per_row_multipass_kernelILi256ELi32ELi4ELi64E21rocsparse_complex_numIfEEEv20rocsparse_direction_iiiiii21rocsparse_index_base_PKT3_PKiS9_S4_PS5_PiSB_ ; -- Begin function _ZN9rocsparseL44csr2gebsr_wavefront_per_row_multipass_kernelILi256ELi32ELi4ELi64E21rocsparse_complex_numIfEEEv20rocsparse_direction_iiiiii21rocsparse_index_base_PKT3_PKiS9_S4_PS5_PiSB_
	.p2align	8
	.type	_ZN9rocsparseL44csr2gebsr_wavefront_per_row_multipass_kernelILi256ELi32ELi4ELi64E21rocsparse_complex_numIfEEEv20rocsparse_direction_iiiiii21rocsparse_index_base_PKT3_PKiS9_S4_PS5_PiSB_,@function
_ZN9rocsparseL44csr2gebsr_wavefront_per_row_multipass_kernelILi256ELi32ELi4ELi64E21rocsparse_complex_numIfEEEv20rocsparse_direction_iiiiii21rocsparse_index_base_PKT3_PKiS9_S4_PS5_PiSB_: ; @_ZN9rocsparseL44csr2gebsr_wavefront_per_row_multipass_kernelILi256ELi32ELi4ELi64E21rocsparse_complex_numIfEEEv20rocsparse_direction_iiiiii21rocsparse_index_base_PKT3_PKiS9_S4_PS5_PiSB_
; %bb.0:
	s_clause 0x1
	s_load_b128 s[4:7], s[0:1], 0xc
	s_load_b64 s[12:13], s[0:1], 0x0
	s_bfe_u32 s2, ttmp6, 0x4000c
	s_and_b32 s3, ttmp6, 15
	s_add_co_i32 s2, s2, 1
	s_getreg_b32 s8, hwreg(HW_REG_IB_STS2, 6, 4)
	s_mul_i32 s2, ttmp9, s2
	v_dual_lshrrev_b32 v20, 6, v0 :: v_dual_mov_b32 v2, 0
	s_add_co_i32 s3, s3, s2
	s_cmp_eq_u32 s8, 0
	v_bfe_u32 v3, v0, 1, 5
	s_cselect_b32 s2, ttmp9, s3
	s_clause 0x1
	s_load_b32 s18, s[0:1], 0x1c
	s_load_b64 s[8:9], s[0:1], 0x28
	v_lshl_or_b32 v1, s2, 2, v20
	v_mov_b32_e32 v18, 0
	s_wait_kmcnt 0x0
	s_delay_alu instid0(VALU_DEP_2) | instskip(SKIP_1) | instid1(VALU_DEP_2)
	v_mad_u32 v4, v1, s6, v3
	v_cmp_gt_i32_e32 vcc_lo, s6, v3
	v_cmp_gt_i32_e64 s2, s13, v4
	s_and_b32 s2, vcc_lo, s2
	s_delay_alu instid0(SALU_CYCLE_1)
	s_and_saveexec_b32 s3, s2
	s_cbranch_execz .LBB163_2
; %bb.1:
	global_load_b32 v5, v4, s[8:9] scale_offset
	s_wait_loadcnt 0x0
	v_subrev_nc_u32_e32 v18, s18, v5
.LBB163_2:
	s_or_b32 exec_lo, exec_lo, s3
	v_mov_b32_e32 v21, 0
	s_and_saveexec_b32 s3, s2
	s_cbranch_execz .LBB163_4
; %bb.3:
	global_load_b32 v4, v4, s[8:9] offset:4 scale_offset
	s_wait_loadcnt 0x0
	v_subrev_nc_u32_e32 v21, s18, v4
.LBB163_4:
	s_or_b32 exec_lo, exec_lo, s3
	s_load_b32 s19, s[0:1], 0x38
	s_mov_b32 s3, exec_lo
	v_cmpx_gt_i32_e64 s4, v1
	s_cbranch_execz .LBB163_6
; %bb.5:
	s_load_b64 s[8:9], s[0:1], 0x48
	s_wait_kmcnt 0x0
	global_load_b32 v1, v1, s[8:9] scale_offset
	s_wait_loadcnt 0x0
	v_subrev_nc_u32_e32 v2, s19, v1
.LBB163_6:
	s_or_b32 exec_lo, exec_lo, s3
	s_cmp_lt_i32 s5, 1
	s_cbranch_scc1 .LBB163_31
; %bb.7:
	v_mbcnt_lo_u32_b32 v10, -1, 0
	s_clause 0x3
	s_load_b64 s[2:3], s[0:1], 0x50
	s_load_b64 s[20:21], s[0:1], 0x40
	s_load_b64 s[8:9], s[0:1], 0x20
	s_load_b64 s[10:11], s[0:1], 0x30
	v_mul_lo_u32 v4, s7, v3
	s_cmp_lg_u32 s12, 0
	s_mov_b32 s13, 0
	v_xor_b32_e32 v1, 1, v10
	v_dual_lshlrev_b32 v0, 5, v3 :: v_dual_bitop2_b32 v22, 1, v0 bitop3:0x40
	s_cselect_b32 s4, -1, 0
	s_mov_b32 s12, s6
	s_wait_xcnt 0x0
	v_cmp_gt_i32_e64 s0, 32, v1
	s_ashr_i32 s15, s7, 31
	v_lshl_or_b32 v23, v20, 10, v0
	v_dual_lshlrev_b32 v0, 3, v3 :: v_dual_bitop2_b32 v3, 16, v10 bitop3:0x14
	v_dual_cndmask_b32 v1, v10, v1, s0 :: v_dual_lshlrev_b32 v6, 3, v22
	s_mov_b32 s14, s7
	v_lshl_or_b32 v25, v10, 2, 4
	s_mul_u64 s[16:17], s[14:15], s[12:13]
	s_delay_alu instid0(VALU_DEP_2) | instskip(SKIP_4) | instid1(VALU_DEP_3)
	v_dual_mov_b32 v1, 0 :: v_dual_lshlrev_b32 v24, 2, v1
	v_or_b32_e32 v11, 32, v10
	v_dual_ashrrev_i32 v5, 31, v4 :: v_dual_bitop2_b32 v26, v23, v6 bitop3:0x54
	s_abs_i32 s14, s7
	v_mov_b64_e32 v[12:13], 0
	v_cmp_gt_i32_e64 s0, 32, v11
	v_mov_b32_e32 v7, v1
	s_wait_kmcnt 0x0
	v_lshl_add_u64 v[8:9], v[4:5], 3, s[20:21]
	v_add_nc_u64_e32 v[4:5], s[20:21], v[0:1]
	s_cvt_f32_u32 s1, s14
	v_cndmask_b32_e64 v11, v10, v11, s0
	v_cmp_gt_i32_e64 s0, 32, v3
	v_add_nc_u64_e32 v[6:7], v[8:9], v[6:7]
	v_xor_b32_e32 v0, 8, v10
	v_rcp_iflag_f32_e32 v9, s1
	v_lshlrev_b32_e32 v27, 2, v11
	v_cndmask_b32_e64 v3, v10, v3, s0
	v_bfrev_b32_e32 v32, 0.5
	v_cmp_gt_i32_e64 s0, 32, v0
	v_dual_mov_b32 v11, v1 :: v_dual_bitop2_b32 v8, 2, v10 bitop3:0x14
	s_delay_alu instid0(VALU_DEP_4) | instskip(NEXT) | instid1(VALU_DEP_3)
	v_dual_lshlrev_b32 v28, 2, v3 :: v_dual_bitop2_b32 v33, -2, v22 bitop3:0x54
	v_dual_cndmask_b32 v0, v10, v0, s0 :: v_dual_bitop2_b32 v3, 4, v10 bitop3:0x14
	v_dual_mov_b32 v34, 1 :: v_dual_mov_b32 v36, 0
	s_delay_alu instid0(VALU_DEP_2) | instskip(NEXT) | instid1(VALU_DEP_1)
	v_cmp_gt_i32_e64 s0, 32, v3
	v_cndmask_b32_e64 v3, v10, v3, s0
	v_cmp_gt_i32_e64 s0, 32, v8
	s_delay_alu instid0(VALU_DEP_1) | instskip(SKIP_3) | instid1(VALU_DEP_4)
	v_dual_lshlrev_b32 v30, 2, v3 :: v_dual_cndmask_b32 v10, v10, v8, s0
	v_mul_lo_u32 v8, v22, s6
	v_readfirstlane_b32 s0, v9
	v_dual_lshlrev_b32 v29, 2, v0 :: v_dual_bitop2_b32 v0, 2, v22 bitop3:0x54
	v_dual_mov_b32 v9, v1 :: v_dual_lshlrev_b32 v31, 2, v10
	s_mul_f32 s12, s0, 0x4f7ffffe
	v_cmp_gt_u32_e64 s0, s7, v22
	s_delay_alu instid0(VALU_DEP_3) | instskip(NEXT) | instid1(SALU_CYCLE_1)
	v_cmp_gt_u32_e64 s1, s7, v0
	s_cvt_u32_f32 s12, s12
	v_lshl_add_u32 v10, s6, 1, v8
	s_sub_co_i32 s6, 0, s14
	s_and_b32 s1, vcc_lo, s1
	s_mul_i32 s20, s6, s12
	s_and_b32 s6, s0, vcc_lo
	s_mul_hi_u32 s0, s12, s20
	s_mov_b32 s20, s13
	s_add_co_i32 s12, s12, s0
	s_branch .LBB163_10
.LBB163_8:                              ;   in Loop: Header=BB163_10 Depth=1
	s_wait_xcnt 0x0
	s_or_b32 exec_lo, exec_lo, s21
	v_mov_b32_e32 v0, 1
.LBB163_9:                              ;   in Loop: Header=BB163_10 Depth=1
	s_or_b32 exec_lo, exec_lo, s0
	ds_bpermute_b32 v3, v27, v35
	s_wait_storecnt_dscnt 0x0
	v_dual_add_nc_u32 v2, v0, v2 :: v_dual_min_i32 v3, v3, v35
	ds_bpermute_b32 v14, v28, v3
	s_wait_dscnt 0x0
	v_min_i32_e32 v3, v14, v3
	ds_bpermute_b32 v14, v29, v3
	s_wait_dscnt 0x0
	v_min_i32_e32 v3, v14, v3
	;; [unrolled: 3-line block ×5, first 2 shown]
	ds_bpermute_b32 v36, v32, v3
	s_wait_dscnt 0x0
	v_cmp_le_i32_e32 vcc_lo, s5, v36
	s_or_b32 s20, vcc_lo, s20
	s_delay_alu instid0(SALU_CYCLE_1)
	s_and_not1_b32 exec_lo, exec_lo, s20
	s_cbranch_execz .LBB163_31
.LBB163_10:                             ; =>This Loop Header: Depth=1
                                        ;     Child Loop BB163_11 Depth 2
                                        ;     Child Loop BB163_15 Depth 2
	v_dual_mov_b32 v0, v26 :: v_dual_mov_b32 v3, v33
	s_mov_b32 s0, 0
	ds_store_b8 v20, v1 offset:4096
.LBB163_11:                             ;   Parent Loop BB163_10 Depth=1
                                        ; =>  This Inner Loop Header: Depth=2
	v_add_co_u32 v3, s21, v3, 2
	s_xor_b32 s21, s21, -1
	ds_store_b64 v0, v[12:13]
	v_add_nc_u32_e32 v0, 16, v0
	s_and_b32 s21, exec_lo, s21
	s_delay_alu instid0(SALU_CYCLE_1) | instskip(NEXT) | instid1(SALU_CYCLE_1)
	s_or_b32 s0, s21, s0
	s_and_not1_b32 exec_lo, exec_lo, s0
	s_cbranch_execnz .LBB163_11
; %bb.12:                               ;   in Loop: Header=BB163_10 Depth=1
	s_or_b32 exec_lo, exec_lo, s0
	v_dual_mov_b32 v35, s5 :: v_dual_add_nc_u32 v14, v18, v22
	v_mov_b32_e32 v15, v21
	s_mov_b32 s21, exec_lo
	s_wait_dscnt 0x0
	s_delay_alu instid0(VALU_DEP_2)
	v_cmpx_lt_i32_e64 v14, v21
	s_cbranch_execz .LBB163_20
; %bb.13:                               ;   in Loop: Header=BB163_10 Depth=1
	v_mul_lo_u32 v3, v36, s7
	v_dual_ashrrev_i32 v15, 31, v14 :: v_dual_mov_b32 v35, s5
	s_mov_b32 s22, 0
	s_delay_alu instid0(VALU_DEP_1)
	v_lshl_add_u64 v[16:17], v[14:15], 2, s[10:11]
	v_lshl_add_u64 v[18:19], v[14:15], 3, s[8:9]
	v_mov_b32_e32 v15, v21
	s_branch .LBB163_15
.LBB163_14:                             ;   in Loop: Header=BB163_15 Depth=2
	s_wait_xcnt 0x0
	s_or_b32 exec_lo, exec_lo, s0
	v_add_nc_u32_e32 v14, 2, v14
	s_xor_b32 s23, vcc_lo, -1
	v_add_nc_u64_e32 v[16:17], 8, v[16:17]
	v_add_nc_u64_e32 v[18:19], 16, v[18:19]
	s_delay_alu instid0(VALU_DEP_3) | instskip(SKIP_1) | instid1(SALU_CYCLE_1)
	v_cmp_ge_i32_e64 s0, v14, v21
	s_or_b32 s0, s23, s0
	s_and_b32 s0, exec_lo, s0
	s_delay_alu instid0(SALU_CYCLE_1) | instskip(NEXT) | instid1(SALU_CYCLE_1)
	s_or_b32 s22, s0, s22
	s_and_not1_b32 exec_lo, exec_lo, s22
	s_cbranch_execz .LBB163_19
.LBB163_15:                             ;   Parent Loop BB163_10 Depth=1
                                        ; =>  This Inner Loop Header: Depth=2
	global_load_b32 v0, v[16:17], off
	s_wait_loadcnt 0x0
	v_subrev_nc_u32_e32 v37, s18, v0
	s_delay_alu instid0(VALU_DEP_1) | instskip(NEXT) | instid1(VALU_DEP_1)
	v_sub_nc_u32_e32 v0, 0, v37
	v_max_i32_e32 v0, v37, v0
	s_delay_alu instid0(VALU_DEP_1) | instskip(NEXT) | instid1(VALU_DEP_1)
	v_mul_u64_e32 v[38:39], s[12:13], v[0:1]
	v_mul_lo_u32 v38, v39, s14
	s_delay_alu instid0(VALU_DEP_1) | instskip(NEXT) | instid1(VALU_DEP_1)
	v_dual_sub_nc_u32 v0, v0, v38 :: v_dual_add_nc_u32 v38, 1, v39
	v_cmp_le_u32_e32 vcc_lo, s14, v0
	s_delay_alu instid0(VALU_DEP_2) | instskip(SKIP_1) | instid1(VALU_DEP_1)
	v_dual_cndmask_b32 v38, v39, v38 :: v_dual_ashrrev_i32 v39, 31, v37
	v_subrev_nc_u32_e32 v40, s14, v0
	v_dual_cndmask_b32 v0, v0, v40, vcc_lo :: v_dual_add_nc_u32 v40, 1, v38
	s_delay_alu instid0(VALU_DEP_1) | instskip(NEXT) | instid1(VALU_DEP_2)
	v_cmp_le_u32_e32 vcc_lo, s14, v0
	v_dual_cndmask_b32 v0, v38, v40, vcc_lo :: v_dual_bitop2_b32 v39, s15, v39 bitop3:0x14
	s_delay_alu instid0(VALU_DEP_1) | instskip(NEXT) | instid1(VALU_DEP_1)
	v_xor_b32_e32 v0, v0, v39
	v_dual_sub_nc_u32 v38, v0, v39 :: v_dual_mov_b32 v0, v15
	s_delay_alu instid0(VALU_DEP_1) | instskip(SKIP_3) | instid1(SALU_CYCLE_1)
	v_cmp_ne_u32_e64 s0, v38, v36
	v_cmp_eq_u32_e32 vcc_lo, v38, v36
	s_wait_xcnt 0x0
	s_and_saveexec_b32 s23, s0
	s_xor_b32 s0, exec_lo, s23
; %bb.16:                               ;   in Loop: Header=BB163_15 Depth=2
	v_min_i32_e32 v35, v38, v35
                                        ; implicit-def: $vgpr37
                                        ; implicit-def: $vgpr0
; %bb.17:                               ;   in Loop: Header=BB163_15 Depth=2
	s_or_saveexec_b32 s0, s0
	v_mov_b32_e32 v15, v14
	s_xor_b32 exec_lo, exec_lo, s0
	s_cbranch_execz .LBB163_14
; %bb.18:                               ;   in Loop: Header=BB163_15 Depth=2
	global_load_b64 v[38:39], v[18:19], off
	v_sub_nc_u32_e32 v15, v37, v3
	s_delay_alu instid0(VALU_DEP_1)
	v_lshl_add_u32 v37, v15, 3, v23
	v_mov_b32_e32 v15, v0
	ds_store_b8 v20, v34 offset:4096
	s_wait_loadcnt 0x0
	ds_store_b64 v37, v[38:39]
	s_branch .LBB163_14
.LBB163_19:                             ;   in Loop: Header=BB163_10 Depth=1
	s_or_b32 exec_lo, exec_lo, s22
.LBB163_20:                             ;   in Loop: Header=BB163_10 Depth=1
	s_delay_alu instid0(SALU_CYCLE_1)
	s_or_b32 exec_lo, exec_lo, s21
	ds_bpermute_b32 v0, v24, v15
	s_wait_dscnt 0x0
	ds_load_u8 v3, v20 offset:4096
	v_min_i32_e32 v0, v0, v15
	ds_bpermute_b32 v18, v25, v0
	s_wait_dscnt 0x1
	v_and_b32_e32 v0, 1, v3
	s_delay_alu instid0(VALU_DEP_1)
	v_cmp_eq_u32_e32 vcc_lo, 1, v0
	v_mov_b32_e32 v0, 0
	s_and_saveexec_b32 s0, vcc_lo
	s_cbranch_execz .LBB163_9
; %bb.21:                               ;   in Loop: Header=BB163_10 Depth=1
	v_dual_ashrrev_i32 v3, 31, v2 :: v_dual_add_nc_u32 v0, s19, v36
	s_delay_alu instid0(VALU_DEP_1) | instskip(SKIP_2) | instid1(VALU_DEP_1)
	v_mul_u64_e32 v[14:15], s[16:17], v[2:3]
	global_store_b32 v2, v0, s[2:3] scale_offset
	v_lshlrev_b64_e32 v[14:15], 3, v[14:15]
	v_add_nc_u64_e32 v[16:17], v[4:5], v[14:15]
	v_add_nc_u64_e32 v[14:15], v[6:7], v[14:15]
	s_wait_xcnt 0x0
	s_and_saveexec_b32 s21, s6
	s_cbranch_execz .LBB163_25
; %bb.22:                               ;   in Loop: Header=BB163_10 Depth=1
	s_and_b32 vcc_lo, exec_lo, s4
	s_cbranch_vccz .LBB163_28
; %bb.23:                               ;   in Loop: Header=BB163_10 Depth=1
	ds_load_b64 v[36:37], v26
	v_lshl_add_u64 v[38:39], v[8:9], 3, v[16:17]
	s_wait_dscnt 0x0
	global_store_b64 v[38:39], v[36:37], off
	s_cbranch_execnz .LBB163_25
.LBB163_24:                             ;   in Loop: Header=BB163_10 Depth=1
	s_wait_xcnt 0x0
	ds_load_b64 v[36:37], v26
	s_wait_dscnt 0x0
	global_store_b64 v[14:15], v[36:37], off
.LBB163_25:                             ;   in Loop: Header=BB163_10 Depth=1
	s_wait_xcnt 0x0
	s_or_b32 exec_lo, exec_lo, s21
	s_and_saveexec_b32 s21, s1
	s_cbranch_execz .LBB163_8
; %bb.26:                               ;   in Loop: Header=BB163_10 Depth=1
	s_and_not1_b32 vcc_lo, exec_lo, s4
	s_cbranch_vccnz .LBB163_29
; %bb.27:                               ;   in Loop: Header=BB163_10 Depth=1
	ds_load_b64 v[36:37], v26 offset:16
	v_lshl_add_u64 v[16:17], v[10:11], 3, v[16:17]
	s_wait_dscnt 0x0
	global_store_b64 v[16:17], v[36:37], off
	s_cbranch_execnz .LBB163_8
	s_branch .LBB163_30
.LBB163_28:                             ;   in Loop: Header=BB163_10 Depth=1
	s_branch .LBB163_24
.LBB163_29:                             ;   in Loop: Header=BB163_10 Depth=1
.LBB163_30:                             ;   in Loop: Header=BB163_10 Depth=1
	s_wait_xcnt 0x0
	ds_load_b64 v[16:17], v26 offset:16
	s_wait_dscnt 0x0
	global_store_b64 v[14:15], v[16:17], off offset:16
	s_branch .LBB163_8
.LBB163_31:
	s_endpgm
	.section	.rodata,"a",@progbits
	.p2align	6, 0x0
	.amdhsa_kernel _ZN9rocsparseL44csr2gebsr_wavefront_per_row_multipass_kernelILi256ELi32ELi4ELi64E21rocsparse_complex_numIfEEEv20rocsparse_direction_iiiiii21rocsparse_index_base_PKT3_PKiS9_S4_PS5_PiSB_
		.amdhsa_group_segment_fixed_size 4100
		.amdhsa_private_segment_fixed_size 0
		.amdhsa_kernarg_size 88
		.amdhsa_user_sgpr_count 2
		.amdhsa_user_sgpr_dispatch_ptr 0
		.amdhsa_user_sgpr_queue_ptr 0
		.amdhsa_user_sgpr_kernarg_segment_ptr 1
		.amdhsa_user_sgpr_dispatch_id 0
		.amdhsa_user_sgpr_kernarg_preload_length 0
		.amdhsa_user_sgpr_kernarg_preload_offset 0
		.amdhsa_user_sgpr_private_segment_size 0
		.amdhsa_wavefront_size32 1
		.amdhsa_uses_dynamic_stack 0
		.amdhsa_enable_private_segment 0
		.amdhsa_system_sgpr_workgroup_id_x 1
		.amdhsa_system_sgpr_workgroup_id_y 0
		.amdhsa_system_sgpr_workgroup_id_z 0
		.amdhsa_system_sgpr_workgroup_info 0
		.amdhsa_system_vgpr_workitem_id 0
		.amdhsa_next_free_vgpr 41
		.amdhsa_next_free_sgpr 24
		.amdhsa_named_barrier_count 0
		.amdhsa_reserve_vcc 1
		.amdhsa_float_round_mode_32 0
		.amdhsa_float_round_mode_16_64 0
		.amdhsa_float_denorm_mode_32 3
		.amdhsa_float_denorm_mode_16_64 3
		.amdhsa_fp16_overflow 0
		.amdhsa_memory_ordered 1
		.amdhsa_forward_progress 1
		.amdhsa_inst_pref_size 13
		.amdhsa_round_robin_scheduling 0
		.amdhsa_exception_fp_ieee_invalid_op 0
		.amdhsa_exception_fp_denorm_src 0
		.amdhsa_exception_fp_ieee_div_zero 0
		.amdhsa_exception_fp_ieee_overflow 0
		.amdhsa_exception_fp_ieee_underflow 0
		.amdhsa_exception_fp_ieee_inexact 0
		.amdhsa_exception_int_div_zero 0
	.end_amdhsa_kernel
	.section	.text._ZN9rocsparseL44csr2gebsr_wavefront_per_row_multipass_kernelILi256ELi32ELi4ELi64E21rocsparse_complex_numIfEEEv20rocsparse_direction_iiiiii21rocsparse_index_base_PKT3_PKiS9_S4_PS5_PiSB_,"axG",@progbits,_ZN9rocsparseL44csr2gebsr_wavefront_per_row_multipass_kernelILi256ELi32ELi4ELi64E21rocsparse_complex_numIfEEEv20rocsparse_direction_iiiiii21rocsparse_index_base_PKT3_PKiS9_S4_PS5_PiSB_,comdat
.Lfunc_end163:
	.size	_ZN9rocsparseL44csr2gebsr_wavefront_per_row_multipass_kernelILi256ELi32ELi4ELi64E21rocsparse_complex_numIfEEEv20rocsparse_direction_iiiiii21rocsparse_index_base_PKT3_PKiS9_S4_PS5_PiSB_, .Lfunc_end163-_ZN9rocsparseL44csr2gebsr_wavefront_per_row_multipass_kernelILi256ELi32ELi4ELi64E21rocsparse_complex_numIfEEEv20rocsparse_direction_iiiiii21rocsparse_index_base_PKT3_PKiS9_S4_PS5_PiSB_
                                        ; -- End function
	.set _ZN9rocsparseL44csr2gebsr_wavefront_per_row_multipass_kernelILi256ELi32ELi4ELi64E21rocsparse_complex_numIfEEEv20rocsparse_direction_iiiiii21rocsparse_index_base_PKT3_PKiS9_S4_PS5_PiSB_.num_vgpr, 41
	.set _ZN9rocsparseL44csr2gebsr_wavefront_per_row_multipass_kernelILi256ELi32ELi4ELi64E21rocsparse_complex_numIfEEEv20rocsparse_direction_iiiiii21rocsparse_index_base_PKT3_PKiS9_S4_PS5_PiSB_.num_agpr, 0
	.set _ZN9rocsparseL44csr2gebsr_wavefront_per_row_multipass_kernelILi256ELi32ELi4ELi64E21rocsparse_complex_numIfEEEv20rocsparse_direction_iiiiii21rocsparse_index_base_PKT3_PKiS9_S4_PS5_PiSB_.numbered_sgpr, 24
	.set _ZN9rocsparseL44csr2gebsr_wavefront_per_row_multipass_kernelILi256ELi32ELi4ELi64E21rocsparse_complex_numIfEEEv20rocsparse_direction_iiiiii21rocsparse_index_base_PKT3_PKiS9_S4_PS5_PiSB_.num_named_barrier, 0
	.set _ZN9rocsparseL44csr2gebsr_wavefront_per_row_multipass_kernelILi256ELi32ELi4ELi64E21rocsparse_complex_numIfEEEv20rocsparse_direction_iiiiii21rocsparse_index_base_PKT3_PKiS9_S4_PS5_PiSB_.private_seg_size, 0
	.set _ZN9rocsparseL44csr2gebsr_wavefront_per_row_multipass_kernelILi256ELi32ELi4ELi64E21rocsparse_complex_numIfEEEv20rocsparse_direction_iiiiii21rocsparse_index_base_PKT3_PKiS9_S4_PS5_PiSB_.uses_vcc, 1
	.set _ZN9rocsparseL44csr2gebsr_wavefront_per_row_multipass_kernelILi256ELi32ELi4ELi64E21rocsparse_complex_numIfEEEv20rocsparse_direction_iiiiii21rocsparse_index_base_PKT3_PKiS9_S4_PS5_PiSB_.uses_flat_scratch, 0
	.set _ZN9rocsparseL44csr2gebsr_wavefront_per_row_multipass_kernelILi256ELi32ELi4ELi64E21rocsparse_complex_numIfEEEv20rocsparse_direction_iiiiii21rocsparse_index_base_PKT3_PKiS9_S4_PS5_PiSB_.has_dyn_sized_stack, 0
	.set _ZN9rocsparseL44csr2gebsr_wavefront_per_row_multipass_kernelILi256ELi32ELi4ELi64E21rocsparse_complex_numIfEEEv20rocsparse_direction_iiiiii21rocsparse_index_base_PKT3_PKiS9_S4_PS5_PiSB_.has_recursion, 0
	.set _ZN9rocsparseL44csr2gebsr_wavefront_per_row_multipass_kernelILi256ELi32ELi4ELi64E21rocsparse_complex_numIfEEEv20rocsparse_direction_iiiiii21rocsparse_index_base_PKT3_PKiS9_S4_PS5_PiSB_.has_indirect_call, 0
	.section	.AMDGPU.csdata,"",@progbits
; Kernel info:
; codeLenInByte = 1664
; TotalNumSgprs: 26
; NumVgprs: 41
; ScratchSize: 0
; MemoryBound: 0
; FloatMode: 240
; IeeeMode: 1
; LDSByteSize: 4100 bytes/workgroup (compile time only)
; SGPRBlocks: 0
; VGPRBlocks: 2
; NumSGPRsForWavesPerEU: 26
; NumVGPRsForWavesPerEU: 41
; NamedBarCnt: 0
; Occupancy: 16
; WaveLimiterHint : 0
; COMPUTE_PGM_RSRC2:SCRATCH_EN: 0
; COMPUTE_PGM_RSRC2:USER_SGPR: 2
; COMPUTE_PGM_RSRC2:TRAP_HANDLER: 0
; COMPUTE_PGM_RSRC2:TGID_X_EN: 1
; COMPUTE_PGM_RSRC2:TGID_Y_EN: 0
; COMPUTE_PGM_RSRC2:TGID_Z_EN: 0
; COMPUTE_PGM_RSRC2:TIDIG_COMP_CNT: 0
	.section	.text._ZN9rocsparseL44csr2gebsr_wavefront_per_row_multipass_kernelILi256ELi32ELi4ELi32E21rocsparse_complex_numIfEEEv20rocsparse_direction_iiiiii21rocsparse_index_base_PKT3_PKiS9_S4_PS5_PiSB_,"axG",@progbits,_ZN9rocsparseL44csr2gebsr_wavefront_per_row_multipass_kernelILi256ELi32ELi4ELi32E21rocsparse_complex_numIfEEEv20rocsparse_direction_iiiiii21rocsparse_index_base_PKT3_PKiS9_S4_PS5_PiSB_,comdat
	.globl	_ZN9rocsparseL44csr2gebsr_wavefront_per_row_multipass_kernelILi256ELi32ELi4ELi32E21rocsparse_complex_numIfEEEv20rocsparse_direction_iiiiii21rocsparse_index_base_PKT3_PKiS9_S4_PS5_PiSB_ ; -- Begin function _ZN9rocsparseL44csr2gebsr_wavefront_per_row_multipass_kernelILi256ELi32ELi4ELi32E21rocsparse_complex_numIfEEEv20rocsparse_direction_iiiiii21rocsparse_index_base_PKT3_PKiS9_S4_PS5_PiSB_
	.p2align	8
	.type	_ZN9rocsparseL44csr2gebsr_wavefront_per_row_multipass_kernelILi256ELi32ELi4ELi32E21rocsparse_complex_numIfEEEv20rocsparse_direction_iiiiii21rocsparse_index_base_PKT3_PKiS9_S4_PS5_PiSB_,@function
_ZN9rocsparseL44csr2gebsr_wavefront_per_row_multipass_kernelILi256ELi32ELi4ELi32E21rocsparse_complex_numIfEEEv20rocsparse_direction_iiiiii21rocsparse_index_base_PKT3_PKiS9_S4_PS5_PiSB_: ; @_ZN9rocsparseL44csr2gebsr_wavefront_per_row_multipass_kernelILi256ELi32ELi4ELi32E21rocsparse_complex_numIfEEEv20rocsparse_direction_iiiiii21rocsparse_index_base_PKT3_PKiS9_S4_PS5_PiSB_
; %bb.0:
	s_clause 0x1
	s_load_b128 s[4:7], s[0:1], 0xc
	s_load_b64 s[12:13], s[0:1], 0x0
	s_bfe_u32 s2, ttmp6, 0x4000c
	s_and_b32 s3, ttmp6, 15
	s_add_co_i32 s2, s2, 1
	s_getreg_b32 s8, hwreg(HW_REG_IB_STS2, 6, 4)
	s_mul_i32 s2, ttmp9, s2
	v_dual_lshrrev_b32 v20, 5, v0 :: v_dual_bitop2_b32 v1, 31, v0 bitop3:0x40
	s_add_co_i32 s3, s3, s2
	s_cmp_eq_u32 s8, 0
	s_clause 0x1
	s_load_b32 s22, s[0:1], 0x1c
	s_load_b64 s[8:9], s[0:1], 0x28
	s_cselect_b32 s2, ttmp9, s3
	v_dual_mov_b32 v4, 0 :: v_dual_mov_b32 v6, 0
	v_lshl_or_b32 v2, s2, 3, v20
	s_wait_kmcnt 0x0
	s_delay_alu instid0(VALU_DEP_1) | instskip(SKIP_1) | instid1(VALU_DEP_2)
	v_mad_u32 v3, v2, s6, v1
	v_cmp_gt_i32_e32 vcc_lo, s6, v1
	v_cmp_gt_i32_e64 s2, s13, v3
	s_and_b32 s2, vcc_lo, s2
	s_delay_alu instid0(SALU_CYCLE_1)
	s_and_saveexec_b32 s3, s2
	s_cbranch_execz .LBB164_2
; %bb.1:
	global_load_b32 v5, v3, s[8:9] scale_offset
	s_wait_loadcnt 0x0
	v_subrev_nc_u32_e32 v6, s22, v5
.LBB164_2:
	s_or_b32 exec_lo, exec_lo, s3
	v_mov_b32_e32 v21, 0
	s_and_saveexec_b32 s3, s2
	s_cbranch_execz .LBB164_4
; %bb.3:
	global_load_b32 v3, v3, s[8:9] offset:4 scale_offset
	s_wait_loadcnt 0x0
	v_subrev_nc_u32_e32 v21, s22, v3
.LBB164_4:
	s_or_b32 exec_lo, exec_lo, s3
	s_load_b32 s23, s[0:1], 0x38
	s_mov_b32 s3, exec_lo
	v_cmpx_gt_i32_e64 s4, v2
	s_cbranch_execz .LBB164_6
; %bb.5:
	s_load_b64 s[8:9], s[0:1], 0x48
	s_wait_kmcnt 0x0
	global_load_b32 v2, v2, s[8:9] scale_offset
	s_wait_loadcnt 0x0
	v_subrev_nc_u32_e32 v4, s23, v2
.LBB164_6:
	s_or_b32 exec_lo, exec_lo, s3
	s_cmp_lt_i32 s5, 1
	s_cbranch_scc1 .LBB164_39
; %bb.7:
	s_clause 0x3
	s_load_b64 s[16:17], s[0:1], 0x40
	s_load_b64 s[2:3], s[0:1], 0x50
	;; [unrolled: 1-line block ×4, first 2 shown]
	v_dual_lshlrev_b32 v22, 5, v0 :: v_dual_lshlrev_b32 v8, 3, v1
	v_mul_lo_u32 v0, s7, v1
	v_mbcnt_lo_u32_b32 v2, -1, 0
	s_cmp_lg_u32 s12, 0
	s_mov_b32 s13, 0
	s_cselect_b32 s4, -1, 0
	s_wait_xcnt 0x0
	s_ashr_i32 s1, s7, 31
	v_xor_b32_e32 v3, 16, v2
	s_mov_b32 s12, s6
	s_mov_b32 s0, s7
	s_cmp_lg_u32 s7, 0
	s_mul_u64 s[14:15], s[0:1], s[12:13]
	s_cselect_b32 s0, -1, 0
	v_ashrrev_i32_e32 v1, 31, v0
	s_and_b32 s24, vcc_lo, s0
	v_cmp_gt_i32_e64 s0, 32, v3
	s_cmp_gt_u32 s7, 1
	v_dual_mov_b32 v9, 0 :: v_dual_lshlrev_b32 v23, 2, v2
	s_cselect_b32 s18, -1, 0
	v_cndmask_b32_e64 v3, v2, v3, s0
	s_and_b32 s25, vcc_lo, s18
	s_wait_kmcnt 0x0
	v_lshl_add_u64 v[12:13], v[0:1], 3, s[16:17]
	v_xor_b32_e32 v0, 8, v2
	s_cmp_gt_u32 s7, 2
	v_dual_lshlrev_b32 v24, 2, v3 :: v_dual_bitop2_b32 v1, 4, v2 bitop3:0x14
	s_cselect_b32 s0, -1, 0
	v_add_nc_u64_e32 v[10:11], s[16:17], v[8:9]
	s_and_b32 s26, vcc_lo, s0
	v_cmp_gt_i32_e64 s0, 32, v0
	s_lshl_b32 s16, s6, 1
	s_cmp_gt_u32 s7, 3
	v_xor_b32_e32 v3, 2, v2
	s_cselect_b32 s18, -1, 0
	v_cndmask_b32_e64 v0, v2, v0, s0
	v_cmp_gt_i32_e64 s0, 32, v1
	s_abs_i32 s27, s7
	v_xor_b32_e32 v5, 1, v2
	s_cvt_f32_u32 s17, s27
	s_mov_b32 s36, s13
	v_cndmask_b32_e64 v1, v2, v1, s0
	v_cmp_gt_i32_e64 s0, 32, v3
	v_rcp_iflag_f32_e32 v7, s17
	s_mov_b32 s37, s13
	s_mov_b32 s38, s13
	;; [unrolled: 1-line block ×3, first 2 shown]
	v_cndmask_b32_e64 v3, v2, v3, s0
	v_cmp_gt_i32_e64 s0, 32, v5
	v_dual_lshlrev_b32 v25, 2, v0 :: v_dual_lshlrev_b32 v26, 2, v1
	s_and_b32 s28, vcc_lo, s18
	s_mul_i32 s18, s6, 3
	v_cndmask_b32_e64 v2, v2, v5, s0
	v_readfirstlane_b32 s0, v7
	v_lshlrev_b32_e32 v27, 2, v3
	s_sub_co_i32 s6, 0, s27
	v_dual_mov_b32 v29, 0x7c :: v_dual_mov_b32 v30, 1
	s_mul_f32 s0, s0, 0x4f7ffffe
	v_lshlrev_b32_e32 v28, 2, v2
	v_mov_b64_e32 v[0:1], s[36:37]
	v_mov_b64_e32 v[2:3], s[38:39]
	s_cvt_u32_f32 s0, s0
	v_mov_b32_e32 v18, 0
	s_mov_b32 s17, s13
	s_mov_b32 s19, s13
	s_mul_i32 s6, s6, s0
	s_mov_b32 s21, s13
	s_mul_hi_u32 s6, s0, s6
	s_delay_alu instid0(SALU_CYCLE_1)
	s_add_co_i32 s20, s0, s6
	s_mov_b32 s6, s13
	s_branch .LBB164_10
.LBB164_8:                              ;   in Loop: Header=BB164_10 Depth=1
	s_wait_xcnt 0x0
	s_or_b32 exec_lo, exec_lo, s29
	v_mov_b32_e32 v5, 1
.LBB164_9:                              ;   in Loop: Header=BB164_10 Depth=1
	s_or_b32 exec_lo, exec_lo, s0
	ds_bpermute_b32 v8, v24, v7
	s_wait_storecnt_dscnt 0x0
	v_dual_add_nc_u32 v4, v5, v4 :: v_dual_min_i32 v7, v8, v7
	ds_bpermute_b32 v8, v25, v7
	s_wait_dscnt 0x0
	v_min_i32_e32 v7, v8, v7
	ds_bpermute_b32 v8, v26, v7
	s_wait_dscnt 0x0
	v_min_i32_e32 v7, v8, v7
	;; [unrolled: 3-line block ×4, first 2 shown]
	ds_bpermute_b32 v18, v29, v7
	s_wait_dscnt 0x0
	v_cmp_le_i32_e32 vcc_lo, s5, v18
	s_or_b32 s6, vcc_lo, s6
	s_delay_alu instid0(SALU_CYCLE_1)
	s_and_not1_b32 exec_lo, exec_lo, s6
	s_cbranch_execz .LBB164_39
.LBB164_10:                             ; =>This Loop Header: Depth=1
                                        ;     Child Loop BB164_13 Depth 2
	v_dual_mov_b32 v7, s5 :: v_dual_mov_b32 v19, v21
	s_mov_b32 s29, exec_lo
	ds_store_b8 v20, v9 offset:8192
	ds_store_b128 v22, v[0:3]
	ds_store_b128 v22, v[0:3] offset:16
	s_wait_dscnt 0x0
	v_cmpx_lt_i32_e64 v6, v21
	s_cbranch_execz .LBB164_18
; %bb.11:                               ;   in Loop: Header=BB164_10 Depth=1
	v_mul_lo_u32 v5, v18, s7
	v_dual_ashrrev_i32 v7, 31, v6 :: v_dual_mov_b32 v19, v21
	s_mov_b32 s30, 0
	s_delay_alu instid0(VALU_DEP_1)
	v_lshl_add_u64 v[14:15], v[6:7], 2, s[10:11]
	v_lshl_add_u64 v[16:17], v[6:7], 3, s[8:9]
	v_mov_b32_e32 v7, s5
	s_branch .LBB164_13
.LBB164_12:                             ;   in Loop: Header=BB164_13 Depth=2
	s_wait_xcnt 0x0
	s_or_b32 exec_lo, exec_lo, s0
	v_add_nc_u32_e32 v6, 1, v6
	s_xor_b32 s31, vcc_lo, -1
	v_add_nc_u64_e32 v[14:15], 4, v[14:15]
	v_add_nc_u64_e32 v[16:17], 8, v[16:17]
	s_delay_alu instid0(VALU_DEP_3) | instskip(SKIP_1) | instid1(SALU_CYCLE_1)
	v_cmp_ge_i32_e64 s0, v6, v21
	s_or_b32 s0, s31, s0
	s_and_b32 s0, exec_lo, s0
	s_delay_alu instid0(SALU_CYCLE_1) | instskip(NEXT) | instid1(SALU_CYCLE_1)
	s_or_b32 s30, s0, s30
	s_and_not1_b32 exec_lo, exec_lo, s30
	s_cbranch_execz .LBB164_17
.LBB164_13:                             ;   Parent Loop BB164_10 Depth=1
                                        ; =>  This Inner Loop Header: Depth=2
	global_load_b32 v8, v[14:15], off
	s_wait_loadcnt 0x0
	v_subrev_nc_u32_e32 v31, s22, v8
	s_delay_alu instid0(VALU_DEP_1) | instskip(NEXT) | instid1(VALU_DEP_1)
	v_sub_nc_u32_e32 v8, 0, v31
	v_max_i32_e32 v8, v31, v8
	s_delay_alu instid0(VALU_DEP_1) | instskip(NEXT) | instid1(VALU_DEP_1)
	v_mul_u64_e32 v[32:33], s[20:21], v[8:9]
	v_mul_lo_u32 v32, v33, s27
	s_delay_alu instid0(VALU_DEP_1) | instskip(NEXT) | instid1(VALU_DEP_1)
	v_dual_sub_nc_u32 v8, v8, v32 :: v_dual_add_nc_u32 v32, 1, v33
	v_cmp_le_u32_e32 vcc_lo, s27, v8
	s_delay_alu instid0(VALU_DEP_2) | instskip(SKIP_1) | instid1(VALU_DEP_1)
	v_cndmask_b32_e32 v32, v33, v32, vcc_lo
	v_subrev_nc_u32_e32 v34, s27, v8
	v_dual_cndmask_b32 v8, v8, v34 :: v_dual_ashrrev_i32 v33, 31, v31
	s_delay_alu instid0(VALU_DEP_3) | instskip(NEXT) | instid1(VALU_DEP_2)
	v_add_nc_u32_e32 v34, 1, v32
	v_cmp_le_u32_e32 vcc_lo, s27, v8
	s_delay_alu instid0(VALU_DEP_2) | instskip(NEXT) | instid1(VALU_DEP_1)
	v_dual_cndmask_b32 v8, v32, v34, vcc_lo :: v_dual_bitop2_b32 v33, s1, v33 bitop3:0x14
	v_xor_b32_e32 v8, v8, v33
	s_delay_alu instid0(VALU_DEP_1) | instskip(NEXT) | instid1(VALU_DEP_1)
	v_dual_sub_nc_u32 v32, v8, v33 :: v_dual_mov_b32 v8, v19
	v_cmp_ne_u32_e64 s0, v32, v18
	v_cmp_eq_u32_e32 vcc_lo, v32, v18
	s_wait_xcnt 0x0
	s_and_saveexec_b32 s31, s0
	s_delay_alu instid0(SALU_CYCLE_1)
	s_xor_b32 s0, exec_lo, s31
; %bb.14:                               ;   in Loop: Header=BB164_13 Depth=2
	v_min_i32_e32 v7, v32, v7
                                        ; implicit-def: $vgpr31
                                        ; implicit-def: $vgpr8
; %bb.15:                               ;   in Loop: Header=BB164_13 Depth=2
	s_or_saveexec_b32 s0, s0
	v_mov_b32_e32 v19, v6
	s_xor_b32 exec_lo, exec_lo, s0
	s_cbranch_execz .LBB164_12
; %bb.16:                               ;   in Loop: Header=BB164_13 Depth=2
	global_load_b64 v[32:33], v[16:17], off
	v_sub_nc_u32_e32 v19, v31, v5
	s_delay_alu instid0(VALU_DEP_1)
	v_lshl_add_u32 v31, v19, 3, v22
	v_mov_b32_e32 v19, v8
	ds_store_b8 v20, v30 offset:8192
	s_wait_loadcnt 0x0
	ds_store_b64 v31, v[32:33]
	s_branch .LBB164_12
.LBB164_17:                             ;   in Loop: Header=BB164_10 Depth=1
	s_or_b32 exec_lo, exec_lo, s30
.LBB164_18:                             ;   in Loop: Header=BB164_10 Depth=1
	s_delay_alu instid0(SALU_CYCLE_1)
	s_or_b32 exec_lo, exec_lo, s29
	s_wait_dscnt 0x0
	ds_load_u8 v5, v20 offset:8192
	ds_bpermute_b32 v6, v23, v19
	s_wait_dscnt 0x1
	v_and_b32_e32 v5, 1, v5
	s_delay_alu instid0(VALU_DEP_1)
	v_cmp_eq_u32_e32 vcc_lo, 1, v5
	v_mov_b32_e32 v5, 0
	s_and_saveexec_b32 s0, vcc_lo
	s_cbranch_execz .LBB164_9
; %bb.19:                               ;   in Loop: Header=BB164_10 Depth=1
	v_ashrrev_i32_e32 v5, 31, v4
	s_delay_alu instid0(VALU_DEP_1) | instskip(SKIP_3) | instid1(VALU_DEP_1)
	v_mul_u64_e32 v[14:15], s[14:15], v[4:5]
	v_add_nc_u32_e32 v5, s23, v18
	global_store_b32 v4, v5, s[2:3] scale_offset
	v_lshlrev_b64_e32 v[14:15], 3, v[14:15]
	v_add_nc_u64_e32 v[16:17], v[10:11], v[14:15]
	v_add_nc_u64_e32 v[14:15], v[12:13], v[14:15]
	s_wait_xcnt 0x0
	s_and_saveexec_b32 s29, s24
	s_cbranch_execz .LBB164_23
; %bb.20:                               ;   in Loop: Header=BB164_10 Depth=1
	ds_load_b64 v[18:19], v22
	s_and_b32 vcc_lo, exec_lo, s4
	s_cbranch_vccz .LBB164_34
; %bb.21:                               ;   in Loop: Header=BB164_10 Depth=1
	s_wait_dscnt 0x0
	global_store_b64 v[16:17], v[18:19], off
	s_cbranch_execnz .LBB164_23
.LBB164_22:                             ;   in Loop: Header=BB164_10 Depth=1
	s_wait_dscnt 0x0
	global_store_b64 v[14:15], v[18:19], off
.LBB164_23:                             ;   in Loop: Header=BB164_10 Depth=1
	s_wait_xcnt 0x0
	s_or_b32 exec_lo, exec_lo, s29
	s_and_saveexec_b32 s29, s25
	s_cbranch_execz .LBB164_27
; %bb.24:                               ;   in Loop: Header=BB164_10 Depth=1
	s_wait_dscnt 0x0
	ds_load_b64 v[18:19], v22 offset:8
	s_and_not1_b32 vcc_lo, exec_lo, s4
	s_cbranch_vccnz .LBB164_35
; %bb.25:                               ;   in Loop: Header=BB164_10 Depth=1
	v_lshl_add_u64 v[32:33], s[12:13], 3, v[16:17]
	s_wait_dscnt 0x0
	global_store_b64 v[32:33], v[18:19], off
	s_cbranch_execnz .LBB164_27
.LBB164_26:                             ;   in Loop: Header=BB164_10 Depth=1
	s_wait_dscnt 0x0
	global_store_b64 v[14:15], v[18:19], off offset:8
.LBB164_27:                             ;   in Loop: Header=BB164_10 Depth=1
	s_wait_xcnt 0x0
	s_or_b32 exec_lo, exec_lo, s29
	s_and_saveexec_b32 s29, s26
	s_cbranch_execz .LBB164_31
; %bb.28:                               ;   in Loop: Header=BB164_10 Depth=1
	s_wait_dscnt 0x0
	ds_load_b64 v[18:19], v22 offset:16
	s_and_not1_b32 vcc_lo, exec_lo, s4
	s_cbranch_vccnz .LBB164_36
; %bb.29:                               ;   in Loop: Header=BB164_10 Depth=1
	v_lshl_add_u64 v[32:33], s[16:17], 3, v[16:17]
	s_wait_dscnt 0x0
	global_store_b64 v[32:33], v[18:19], off
	s_cbranch_execnz .LBB164_31
.LBB164_30:                             ;   in Loop: Header=BB164_10 Depth=1
	s_wait_dscnt 0x0
	global_store_b64 v[14:15], v[18:19], off offset:16
.LBB164_31:                             ;   in Loop: Header=BB164_10 Depth=1
	s_wait_xcnt 0x0
	s_or_b32 exec_lo, exec_lo, s29
	s_and_saveexec_b32 s29, s28
	s_cbranch_execz .LBB164_8
; %bb.32:                               ;   in Loop: Header=BB164_10 Depth=1
	s_wait_dscnt 0x0
	ds_load_b64 v[18:19], v22 offset:24
	s_and_not1_b32 vcc_lo, exec_lo, s4
	s_cbranch_vccnz .LBB164_37
; %bb.33:                               ;   in Loop: Header=BB164_10 Depth=1
	v_lshl_add_u64 v[16:17], s[18:19], 3, v[16:17]
	s_wait_dscnt 0x0
	global_store_b64 v[16:17], v[18:19], off
	s_cbranch_execnz .LBB164_8
	s_branch .LBB164_38
.LBB164_34:                             ;   in Loop: Header=BB164_10 Depth=1
	s_branch .LBB164_22
.LBB164_35:                             ;   in Loop: Header=BB164_10 Depth=1
	s_branch .LBB164_26
.LBB164_36:                             ;   in Loop: Header=BB164_10 Depth=1
	s_branch .LBB164_30
.LBB164_37:                             ;   in Loop: Header=BB164_10 Depth=1
.LBB164_38:                             ;   in Loop: Header=BB164_10 Depth=1
	s_wait_dscnt 0x0
	global_store_b64 v[14:15], v[18:19], off offset:24
	s_branch .LBB164_8
.LBB164_39:
	s_endpgm
	.section	.rodata,"a",@progbits
	.p2align	6, 0x0
	.amdhsa_kernel _ZN9rocsparseL44csr2gebsr_wavefront_per_row_multipass_kernelILi256ELi32ELi4ELi32E21rocsparse_complex_numIfEEEv20rocsparse_direction_iiiiii21rocsparse_index_base_PKT3_PKiS9_S4_PS5_PiSB_
		.amdhsa_group_segment_fixed_size 8200
		.amdhsa_private_segment_fixed_size 0
		.amdhsa_kernarg_size 88
		.amdhsa_user_sgpr_count 2
		.amdhsa_user_sgpr_dispatch_ptr 0
		.amdhsa_user_sgpr_queue_ptr 0
		.amdhsa_user_sgpr_kernarg_segment_ptr 1
		.amdhsa_user_sgpr_dispatch_id 0
		.amdhsa_user_sgpr_kernarg_preload_length 0
		.amdhsa_user_sgpr_kernarg_preload_offset 0
		.amdhsa_user_sgpr_private_segment_size 0
		.amdhsa_wavefront_size32 1
		.amdhsa_uses_dynamic_stack 0
		.amdhsa_enable_private_segment 0
		.amdhsa_system_sgpr_workgroup_id_x 1
		.amdhsa_system_sgpr_workgroup_id_y 0
		.amdhsa_system_sgpr_workgroup_id_z 0
		.amdhsa_system_sgpr_workgroup_info 0
		.amdhsa_system_vgpr_workitem_id 0
		.amdhsa_next_free_vgpr 35
		.amdhsa_next_free_sgpr 40
		.amdhsa_named_barrier_count 0
		.amdhsa_reserve_vcc 1
		.amdhsa_float_round_mode_32 0
		.amdhsa_float_round_mode_16_64 0
		.amdhsa_float_denorm_mode_32 3
		.amdhsa_float_denorm_mode_16_64 3
		.amdhsa_fp16_overflow 0
		.amdhsa_memory_ordered 1
		.amdhsa_forward_progress 1
		.amdhsa_inst_pref_size 14
		.amdhsa_round_robin_scheduling 0
		.amdhsa_exception_fp_ieee_invalid_op 0
		.amdhsa_exception_fp_denorm_src 0
		.amdhsa_exception_fp_ieee_div_zero 0
		.amdhsa_exception_fp_ieee_overflow 0
		.amdhsa_exception_fp_ieee_underflow 0
		.amdhsa_exception_fp_ieee_inexact 0
		.amdhsa_exception_int_div_zero 0
	.end_amdhsa_kernel
	.section	.text._ZN9rocsparseL44csr2gebsr_wavefront_per_row_multipass_kernelILi256ELi32ELi4ELi32E21rocsparse_complex_numIfEEEv20rocsparse_direction_iiiiii21rocsparse_index_base_PKT3_PKiS9_S4_PS5_PiSB_,"axG",@progbits,_ZN9rocsparseL44csr2gebsr_wavefront_per_row_multipass_kernelILi256ELi32ELi4ELi32E21rocsparse_complex_numIfEEEv20rocsparse_direction_iiiiii21rocsparse_index_base_PKT3_PKiS9_S4_PS5_PiSB_,comdat
.Lfunc_end164:
	.size	_ZN9rocsparseL44csr2gebsr_wavefront_per_row_multipass_kernelILi256ELi32ELi4ELi32E21rocsparse_complex_numIfEEEv20rocsparse_direction_iiiiii21rocsparse_index_base_PKT3_PKiS9_S4_PS5_PiSB_, .Lfunc_end164-_ZN9rocsparseL44csr2gebsr_wavefront_per_row_multipass_kernelILi256ELi32ELi4ELi32E21rocsparse_complex_numIfEEEv20rocsparse_direction_iiiiii21rocsparse_index_base_PKT3_PKiS9_S4_PS5_PiSB_
                                        ; -- End function
	.set _ZN9rocsparseL44csr2gebsr_wavefront_per_row_multipass_kernelILi256ELi32ELi4ELi32E21rocsparse_complex_numIfEEEv20rocsparse_direction_iiiiii21rocsparse_index_base_PKT3_PKiS9_S4_PS5_PiSB_.num_vgpr, 35
	.set _ZN9rocsparseL44csr2gebsr_wavefront_per_row_multipass_kernelILi256ELi32ELi4ELi32E21rocsparse_complex_numIfEEEv20rocsparse_direction_iiiiii21rocsparse_index_base_PKT3_PKiS9_S4_PS5_PiSB_.num_agpr, 0
	.set _ZN9rocsparseL44csr2gebsr_wavefront_per_row_multipass_kernelILi256ELi32ELi4ELi32E21rocsparse_complex_numIfEEEv20rocsparse_direction_iiiiii21rocsparse_index_base_PKT3_PKiS9_S4_PS5_PiSB_.numbered_sgpr, 40
	.set _ZN9rocsparseL44csr2gebsr_wavefront_per_row_multipass_kernelILi256ELi32ELi4ELi32E21rocsparse_complex_numIfEEEv20rocsparse_direction_iiiiii21rocsparse_index_base_PKT3_PKiS9_S4_PS5_PiSB_.num_named_barrier, 0
	.set _ZN9rocsparseL44csr2gebsr_wavefront_per_row_multipass_kernelILi256ELi32ELi4ELi32E21rocsparse_complex_numIfEEEv20rocsparse_direction_iiiiii21rocsparse_index_base_PKT3_PKiS9_S4_PS5_PiSB_.private_seg_size, 0
	.set _ZN9rocsparseL44csr2gebsr_wavefront_per_row_multipass_kernelILi256ELi32ELi4ELi32E21rocsparse_complex_numIfEEEv20rocsparse_direction_iiiiii21rocsparse_index_base_PKT3_PKiS9_S4_PS5_PiSB_.uses_vcc, 1
	.set _ZN9rocsparseL44csr2gebsr_wavefront_per_row_multipass_kernelILi256ELi32ELi4ELi32E21rocsparse_complex_numIfEEEv20rocsparse_direction_iiiiii21rocsparse_index_base_PKT3_PKiS9_S4_PS5_PiSB_.uses_flat_scratch, 0
	.set _ZN9rocsparseL44csr2gebsr_wavefront_per_row_multipass_kernelILi256ELi32ELi4ELi32E21rocsparse_complex_numIfEEEv20rocsparse_direction_iiiiii21rocsparse_index_base_PKT3_PKiS9_S4_PS5_PiSB_.has_dyn_sized_stack, 0
	.set _ZN9rocsparseL44csr2gebsr_wavefront_per_row_multipass_kernelILi256ELi32ELi4ELi32E21rocsparse_complex_numIfEEEv20rocsparse_direction_iiiiii21rocsparse_index_base_PKT3_PKiS9_S4_PS5_PiSB_.has_recursion, 0
	.set _ZN9rocsparseL44csr2gebsr_wavefront_per_row_multipass_kernelILi256ELi32ELi4ELi32E21rocsparse_complex_numIfEEEv20rocsparse_direction_iiiiii21rocsparse_index_base_PKT3_PKiS9_S4_PS5_PiSB_.has_indirect_call, 0
	.section	.AMDGPU.csdata,"",@progbits
; Kernel info:
; codeLenInByte = 1672
; TotalNumSgprs: 42
; NumVgprs: 35
; ScratchSize: 0
; MemoryBound: 0
; FloatMode: 240
; IeeeMode: 1
; LDSByteSize: 8200 bytes/workgroup (compile time only)
; SGPRBlocks: 0
; VGPRBlocks: 2
; NumSGPRsForWavesPerEU: 42
; NumVGPRsForWavesPerEU: 35
; NamedBarCnt: 0
; Occupancy: 16
; WaveLimiterHint : 0
; COMPUTE_PGM_RSRC2:SCRATCH_EN: 0
; COMPUTE_PGM_RSRC2:USER_SGPR: 2
; COMPUTE_PGM_RSRC2:TRAP_HANDLER: 0
; COMPUTE_PGM_RSRC2:TGID_X_EN: 1
; COMPUTE_PGM_RSRC2:TGID_Y_EN: 0
; COMPUTE_PGM_RSRC2:TGID_Z_EN: 0
; COMPUTE_PGM_RSRC2:TIDIG_COMP_CNT: 0
	.section	.text._ZN9rocsparseL44csr2gebsr_wavefront_per_row_multipass_kernelILi256ELi32ELi8ELi64E21rocsparse_complex_numIfEEEv20rocsparse_direction_iiiiii21rocsparse_index_base_PKT3_PKiS9_S4_PS5_PiSB_,"axG",@progbits,_ZN9rocsparseL44csr2gebsr_wavefront_per_row_multipass_kernelILi256ELi32ELi8ELi64E21rocsparse_complex_numIfEEEv20rocsparse_direction_iiiiii21rocsparse_index_base_PKT3_PKiS9_S4_PS5_PiSB_,comdat
	.globl	_ZN9rocsparseL44csr2gebsr_wavefront_per_row_multipass_kernelILi256ELi32ELi8ELi64E21rocsparse_complex_numIfEEEv20rocsparse_direction_iiiiii21rocsparse_index_base_PKT3_PKiS9_S4_PS5_PiSB_ ; -- Begin function _ZN9rocsparseL44csr2gebsr_wavefront_per_row_multipass_kernelILi256ELi32ELi8ELi64E21rocsparse_complex_numIfEEEv20rocsparse_direction_iiiiii21rocsparse_index_base_PKT3_PKiS9_S4_PS5_PiSB_
	.p2align	8
	.type	_ZN9rocsparseL44csr2gebsr_wavefront_per_row_multipass_kernelILi256ELi32ELi8ELi64E21rocsparse_complex_numIfEEEv20rocsparse_direction_iiiiii21rocsparse_index_base_PKT3_PKiS9_S4_PS5_PiSB_,@function
_ZN9rocsparseL44csr2gebsr_wavefront_per_row_multipass_kernelILi256ELi32ELi8ELi64E21rocsparse_complex_numIfEEEv20rocsparse_direction_iiiiii21rocsparse_index_base_PKT3_PKiS9_S4_PS5_PiSB_: ; @_ZN9rocsparseL44csr2gebsr_wavefront_per_row_multipass_kernelILi256ELi32ELi8ELi64E21rocsparse_complex_numIfEEEv20rocsparse_direction_iiiiii21rocsparse_index_base_PKT3_PKiS9_S4_PS5_PiSB_
; %bb.0:
	s_clause 0x1
	s_load_b128 s[4:7], s[0:1], 0xc
	s_load_b64 s[14:15], s[0:1], 0x0
	s_bfe_u32 s2, ttmp6, 0x4000c
	s_and_b32 s3, ttmp6, 15
	s_add_co_i32 s2, s2, 1
	s_getreg_b32 s8, hwreg(HW_REG_IB_STS2, 6, 4)
	s_mul_i32 s2, ttmp9, s2
	v_dual_lshrrev_b32 v24, 6, v0 :: v_dual_mov_b32 v2, 0
	s_add_co_i32 s3, s3, s2
	s_cmp_eq_u32 s8, 0
	v_bfe_u32 v3, v0, 1, 5
	s_cselect_b32 s2, ttmp9, s3
	s_clause 0x1
	s_load_b32 s20, s[0:1], 0x1c
	s_load_b64 s[8:9], s[0:1], 0x28
	v_lshl_or_b32 v1, s2, 2, v24
	v_mov_b32_e32 v22, 0
	s_wait_kmcnt 0x0
	s_delay_alu instid0(VALU_DEP_2) | instskip(SKIP_1) | instid1(VALU_DEP_2)
	v_mad_u32 v4, v1, s6, v3
	v_cmp_gt_i32_e32 vcc_lo, s6, v3
	v_cmp_gt_i32_e64 s2, s15, v4
	s_and_b32 s2, vcc_lo, s2
	s_delay_alu instid0(SALU_CYCLE_1)
	s_and_saveexec_b32 s3, s2
	s_cbranch_execz .LBB165_2
; %bb.1:
	global_load_b32 v5, v4, s[8:9] scale_offset
	s_wait_loadcnt 0x0
	v_subrev_nc_u32_e32 v22, s20, v5
.LBB165_2:
	s_or_b32 exec_lo, exec_lo, s3
	v_mov_b32_e32 v25, 0
	s_and_saveexec_b32 s3, s2
	s_cbranch_execz .LBB165_4
; %bb.3:
	global_load_b32 v4, v4, s[8:9] offset:4 scale_offset
	s_wait_loadcnt 0x0
	v_subrev_nc_u32_e32 v25, s20, v4
.LBB165_4:
	s_or_b32 exec_lo, exec_lo, s3
	s_load_b32 s21, s[0:1], 0x38
	s_mov_b32 s3, exec_lo
	v_cmpx_gt_i32_e64 s4, v1
	s_cbranch_execz .LBB165_6
; %bb.5:
	s_load_b64 s[8:9], s[0:1], 0x48
	s_wait_kmcnt 0x0
	global_load_b32 v1, v1, s[8:9] scale_offset
	s_wait_loadcnt 0x0
	v_subrev_nc_u32_e32 v2, s21, v1
.LBB165_6:
	s_or_b32 exec_lo, exec_lo, s3
	s_cmp_lt_i32 s5, 1
	s_cbranch_scc1 .LBB165_41
; %bb.7:
	v_mbcnt_lo_u32_b32 v10, -1, 0
	s_clause 0x3
	s_load_b64 s[8:9], s[0:1], 0x50
	s_load_b64 s[2:3], s[0:1], 0x40
	;; [unrolled: 1-line block ×4, first 2 shown]
	v_mul_lo_u32 v4, s7, v3
	s_cmp_lg_u32 s14, 0
	s_mov_b32 s15, 0
	v_xor_b32_e32 v1, 1, v10
	v_dual_lshlrev_b32 v0, 6, v3 :: v_dual_bitop2_b32 v26, 1, v0 bitop3:0x40
	s_cselect_b32 s4, -1, 0
	s_mov_b32 s14, s6
	s_wait_xcnt 0x0
	v_cmp_gt_i32_e64 s0, 32, v1
	s_ashr_i32 s17, s7, 31
	v_lshl_or_b32 v27, v24, 11, v0
	s_mov_b32 s16, s7
	v_lshl_or_b32 v29, v10, 2, 4
	v_dual_cndmask_b32 v1, v10, v1, s0 :: v_dual_lshlrev_b32 v6, 3, v26
	s_mul_u64 s[18:19], s[16:17], s[14:15]
	s_abs_i32 s16, s7
	v_mov_b64_e32 v[16:17], 0
	s_delay_alu instid0(VALU_DEP_2) | instskip(SKIP_2) | instid1(VALU_DEP_3)
	v_dual_mov_b32 v1, 0 :: v_dual_lshlrev_b32 v28, 2, v1
	v_or_b32_e32 v11, 32, v10
	v_dual_ashrrev_i32 v5, 31, v4 :: v_dual_bitop2_b32 v30, v27, v6 bitop3:0x54
	v_dual_mov_b32 v7, v1 :: v_dual_lshlrev_b32 v0, 3, v3
	s_delay_alu instid0(VALU_DEP_3)
	v_cmp_gt_i32_e64 s0, 32, v11
	s_cvt_f32_u32 s1, s16
	s_wait_kmcnt 0x0
	v_lshl_add_u64 v[8:9], v[4:5], 3, s[2:3]
	v_add_nc_u64_e32 v[4:5], s[2:3], v[0:1]
	v_dual_cndmask_b32 v3, v10, v11, s0 :: v_dual_bitop2_b32 v0, 16, v10 bitop3:0x14
	v_mov_b32_e32 v11, v1
	s_delay_alu instid0(VALU_DEP_4) | instskip(SKIP_1) | instid1(VALU_DEP_4)
	v_add_nc_u64_e32 v[6:7], v[8:9], v[6:7]
	v_bfrev_b32_e32 v36, 0.5
	v_cmp_gt_i32_e64 s0, 32, v0
	v_dual_lshlrev_b32 v31, 2, v3 :: v_dual_bitop2_b32 v3, 8, v10 bitop3:0x14
	v_xor_b32_e32 v8, 4, v10
	v_dual_mov_b32 v38, 1 :: v_dual_bitop2_b32 v37, -2, v26 bitop3:0x54
	s_delay_alu instid0(VALU_DEP_4) | instskip(NEXT) | instid1(VALU_DEP_4)
	v_cndmask_b32_e64 v0, v10, v0, s0
	v_cmp_gt_i32_e64 s0, 32, v3
	v_dual_mov_b32 v40, 0 :: v_dual_bitop2_b32 v9, 2, v10 bitop3:0x14
	s_mov_b32 s22, s15
	v_dual_mov_b32 v13, v1 :: v_dual_cndmask_b32 v3, v10, v3, s0
	v_cmp_gt_i32_e64 s0, 32, v8
	v_dual_mov_b32 v15, v1 :: v_dual_lshlrev_b32 v32, 2, v0
	s_delay_alu instid0(VALU_DEP_2) | instskip(SKIP_2) | instid1(VALU_DEP_1)
	v_dual_lshlrev_b32 v33, 2, v3 :: v_dual_cndmask_b32 v8, v10, v8, s0
	v_cmp_gt_i32_e64 s0, 32, v9
	v_rcp_iflag_f32_e32 v3, s1
	v_dual_cndmask_b32 v0, v10, v9, s0 :: v_dual_lshlrev_b32 v34, 2, v8
	v_mul_lo_u32 v8, v26, s6
	s_lshl_b32 s6, s6, 1
	s_delay_alu instid0(TRANS32_DEP_1) | instskip(NEXT) | instid1(VALU_DEP_3)
	v_readfirstlane_b32 s3, v3
	v_dual_lshlrev_b32 v35, 2, v0 :: v_dual_mov_b32 v9, v1
	v_or_b32_e32 v0, 2, v26
	v_cmp_gt_u32_e64 s0, s7, v26
	s_mul_f32 s14, s3, 0x4f7ffffe
	v_or_b32_e32 v3, 6, v26
	v_cmp_gt_u32_e64 s1, s7, v0
	v_dual_add_nc_u32 v10, s6, v8 :: v_dual_bitop2_b32 v0, 4, v26 bitop3:0x54
	s_cvt_u32_f32 s14, s14
	v_cmp_gt_u32_e64 s3, s7, v3
	s_and_b32 s1, vcc_lo, s1
	v_add_nc_u32_e32 v12, s6, v10
	v_cmp_gt_u32_e64 s2, s7, v0
	s_and_b32 s3, vcc_lo, s3
	v_add_nc_u32_e32 v14, s6, v12
	s_and_b32 s6, s0, vcc_lo
	s_sub_co_i32 s0, 0, s16
	s_and_b32 s2, vcc_lo, s2
	s_mul_i32 s0, s0, s14
	s_delay_alu instid0(SALU_CYCLE_1) | instskip(NEXT) | instid1(SALU_CYCLE_1)
	s_mul_hi_u32 s0, s14, s0
	s_add_co_i32 s14, s14, s0
	s_branch .LBB165_10
.LBB165_8:                              ;   in Loop: Header=BB165_10 Depth=1
	s_wait_xcnt 0x0
	s_or_b32 exec_lo, exec_lo, s23
	v_mov_b32_e32 v0, 1
.LBB165_9:                              ;   in Loop: Header=BB165_10 Depth=1
	s_or_b32 exec_lo, exec_lo, s0
	ds_bpermute_b32 v3, v31, v39
	s_wait_storecnt_dscnt 0x0
	v_dual_add_nc_u32 v2, v0, v2 :: v_dual_min_i32 v3, v3, v39
	ds_bpermute_b32 v18, v32, v3
	s_wait_dscnt 0x0
	v_min_i32_e32 v3, v18, v3
	ds_bpermute_b32 v18, v33, v3
	s_wait_dscnt 0x0
	v_min_i32_e32 v3, v18, v3
	;; [unrolled: 3-line block ×5, first 2 shown]
	ds_bpermute_b32 v40, v36, v3
	s_wait_dscnt 0x0
	v_cmp_le_i32_e32 vcc_lo, s5, v40
	s_or_b32 s22, vcc_lo, s22
	s_delay_alu instid0(SALU_CYCLE_1)
	s_and_not1_b32 exec_lo, exec_lo, s22
	s_cbranch_execz .LBB165_41
.LBB165_10:                             ; =>This Loop Header: Depth=1
                                        ;     Child Loop BB165_11 Depth 2
                                        ;     Child Loop BB165_15 Depth 2
	v_dual_mov_b32 v0, v30 :: v_dual_mov_b32 v3, v37
	s_mov_b32 s0, 0
	ds_store_b8 v24, v1 offset:8192
.LBB165_11:                             ;   Parent Loop BB165_10 Depth=1
                                        ; =>  This Inner Loop Header: Depth=2
	v_add_nc_u32_e32 v3, 2, v3
	ds_store_b64 v0, v[16:17]
	v_add_nc_u32_e32 v0, 16, v0
	v_cmp_lt_u32_e32 vcc_lo, 5, v3
	s_or_b32 s0, vcc_lo, s0
	s_delay_alu instid0(SALU_CYCLE_1)
	s_and_not1_b32 exec_lo, exec_lo, s0
	s_cbranch_execnz .LBB165_11
; %bb.12:                               ;   in Loop: Header=BB165_10 Depth=1
	s_or_b32 exec_lo, exec_lo, s0
	v_dual_mov_b32 v39, s5 :: v_dual_add_nc_u32 v18, v22, v26
	v_mov_b32_e32 v19, v25
	s_mov_b32 s23, exec_lo
	s_wait_dscnt 0x0
	s_delay_alu instid0(VALU_DEP_2)
	v_cmpx_lt_i32_e64 v18, v25
	s_cbranch_execz .LBB165_20
; %bb.13:                               ;   in Loop: Header=BB165_10 Depth=1
	v_mul_lo_u32 v3, v40, s7
	v_dual_ashrrev_i32 v19, 31, v18 :: v_dual_mov_b32 v39, s5
	s_mov_b32 s24, 0
	s_delay_alu instid0(VALU_DEP_1)
	v_lshl_add_u64 v[20:21], v[18:19], 2, s[12:13]
	v_lshl_add_u64 v[22:23], v[18:19], 3, s[10:11]
	v_mov_b32_e32 v19, v25
	s_branch .LBB165_15
.LBB165_14:                             ;   in Loop: Header=BB165_15 Depth=2
	s_wait_xcnt 0x0
	s_or_b32 exec_lo, exec_lo, s0
	v_add_nc_u32_e32 v18, 2, v18
	s_xor_b32 s25, vcc_lo, -1
	v_add_nc_u64_e32 v[20:21], 8, v[20:21]
	v_add_nc_u64_e32 v[22:23], 16, v[22:23]
	s_delay_alu instid0(VALU_DEP_3) | instskip(SKIP_1) | instid1(SALU_CYCLE_1)
	v_cmp_ge_i32_e64 s0, v18, v25
	s_or_b32 s0, s25, s0
	s_and_b32 s0, exec_lo, s0
	s_delay_alu instid0(SALU_CYCLE_1) | instskip(NEXT) | instid1(SALU_CYCLE_1)
	s_or_b32 s24, s0, s24
	s_and_not1_b32 exec_lo, exec_lo, s24
	s_cbranch_execz .LBB165_19
.LBB165_15:                             ;   Parent Loop BB165_10 Depth=1
                                        ; =>  This Inner Loop Header: Depth=2
	global_load_b32 v0, v[20:21], off
	s_wait_loadcnt 0x0
	v_subrev_nc_u32_e32 v41, s20, v0
	s_delay_alu instid0(VALU_DEP_1) | instskip(NEXT) | instid1(VALU_DEP_1)
	v_sub_nc_u32_e32 v0, 0, v41
	v_max_i32_e32 v0, v41, v0
	s_delay_alu instid0(VALU_DEP_1) | instskip(NEXT) | instid1(VALU_DEP_1)
	v_mul_u64_e32 v[42:43], s[14:15], v[0:1]
	v_mul_lo_u32 v42, v43, s16
	s_delay_alu instid0(VALU_DEP_1) | instskip(NEXT) | instid1(VALU_DEP_1)
	v_dual_sub_nc_u32 v0, v0, v42 :: v_dual_add_nc_u32 v42, 1, v43
	v_cmp_le_u32_e32 vcc_lo, s16, v0
	s_delay_alu instid0(VALU_DEP_2) | instskip(SKIP_1) | instid1(VALU_DEP_1)
	v_dual_cndmask_b32 v42, v43, v42 :: v_dual_ashrrev_i32 v43, 31, v41
	v_subrev_nc_u32_e32 v44, s16, v0
	v_dual_cndmask_b32 v0, v0, v44, vcc_lo :: v_dual_add_nc_u32 v44, 1, v42
	s_delay_alu instid0(VALU_DEP_1) | instskip(NEXT) | instid1(VALU_DEP_2)
	v_cmp_le_u32_e32 vcc_lo, s16, v0
	v_dual_cndmask_b32 v0, v42, v44, vcc_lo :: v_dual_bitop2_b32 v43, s17, v43 bitop3:0x14
	s_delay_alu instid0(VALU_DEP_1) | instskip(NEXT) | instid1(VALU_DEP_1)
	v_xor_b32_e32 v0, v0, v43
	v_dual_sub_nc_u32 v42, v0, v43 :: v_dual_mov_b32 v0, v19
	s_delay_alu instid0(VALU_DEP_1) | instskip(SKIP_3) | instid1(SALU_CYCLE_1)
	v_cmp_ne_u32_e64 s0, v42, v40
	v_cmp_eq_u32_e32 vcc_lo, v42, v40
	s_wait_xcnt 0x0
	s_and_saveexec_b32 s25, s0
	s_xor_b32 s0, exec_lo, s25
; %bb.16:                               ;   in Loop: Header=BB165_15 Depth=2
	v_min_i32_e32 v39, v42, v39
                                        ; implicit-def: $vgpr41
                                        ; implicit-def: $vgpr0
; %bb.17:                               ;   in Loop: Header=BB165_15 Depth=2
	s_or_saveexec_b32 s0, s0
	v_mov_b32_e32 v19, v18
	s_xor_b32 exec_lo, exec_lo, s0
	s_cbranch_execz .LBB165_14
; %bb.18:                               ;   in Loop: Header=BB165_15 Depth=2
	global_load_b64 v[42:43], v[22:23], off
	v_sub_nc_u32_e32 v19, v41, v3
	s_delay_alu instid0(VALU_DEP_1)
	v_lshl_add_u32 v41, v19, 3, v27
	v_mov_b32_e32 v19, v0
	ds_store_b8 v24, v38 offset:8192
	s_wait_loadcnt 0x0
	ds_store_b64 v41, v[42:43]
	s_branch .LBB165_14
.LBB165_19:                             ;   in Loop: Header=BB165_10 Depth=1
	s_or_b32 exec_lo, exec_lo, s24
.LBB165_20:                             ;   in Loop: Header=BB165_10 Depth=1
	s_delay_alu instid0(SALU_CYCLE_1)
	s_or_b32 exec_lo, exec_lo, s23
	ds_bpermute_b32 v0, v28, v19
	s_wait_dscnt 0x0
	ds_load_u8 v3, v24 offset:8192
	v_min_i32_e32 v0, v0, v19
	ds_bpermute_b32 v22, v29, v0
	s_wait_dscnt 0x1
	v_and_b32_e32 v0, 1, v3
	s_delay_alu instid0(VALU_DEP_1)
	v_cmp_eq_u32_e32 vcc_lo, 1, v0
	v_mov_b32_e32 v0, 0
	s_and_saveexec_b32 s0, vcc_lo
	s_cbranch_execz .LBB165_9
; %bb.21:                               ;   in Loop: Header=BB165_10 Depth=1
	v_dual_ashrrev_i32 v3, 31, v2 :: v_dual_add_nc_u32 v0, s21, v40
	s_delay_alu instid0(VALU_DEP_1) | instskip(SKIP_2) | instid1(VALU_DEP_1)
	v_mul_u64_e32 v[18:19], s[18:19], v[2:3]
	global_store_b32 v2, v0, s[8:9] scale_offset
	v_lshlrev_b64_e32 v[18:19], 3, v[18:19]
	v_add_nc_u64_e32 v[20:21], v[4:5], v[18:19]
	v_add_nc_u64_e32 v[18:19], v[6:7], v[18:19]
	s_wait_xcnt 0x0
	s_and_saveexec_b32 s23, s6
	s_cbranch_execz .LBB165_25
; %bb.22:                               ;   in Loop: Header=BB165_10 Depth=1
	s_and_b32 vcc_lo, exec_lo, s4
	s_cbranch_vccz .LBB165_36
; %bb.23:                               ;   in Loop: Header=BB165_10 Depth=1
	ds_load_b64 v[40:41], v30
	v_lshl_add_u64 v[42:43], v[8:9], 3, v[20:21]
	s_wait_dscnt 0x0
	global_store_b64 v[42:43], v[40:41], off
	s_cbranch_execnz .LBB165_25
.LBB165_24:                             ;   in Loop: Header=BB165_10 Depth=1
	s_wait_xcnt 0x0
	ds_load_b64 v[40:41], v30
	s_wait_dscnt 0x0
	global_store_b64 v[18:19], v[40:41], off
.LBB165_25:                             ;   in Loop: Header=BB165_10 Depth=1
	s_wait_xcnt 0x0
	s_or_b32 exec_lo, exec_lo, s23
	s_and_saveexec_b32 s23, s1
	s_cbranch_execz .LBB165_29
; %bb.26:                               ;   in Loop: Header=BB165_10 Depth=1
	s_and_not1_b32 vcc_lo, exec_lo, s4
	s_cbranch_vccnz .LBB165_37
; %bb.27:                               ;   in Loop: Header=BB165_10 Depth=1
	ds_load_b64 v[40:41], v30 offset:16
	v_lshl_add_u64 v[42:43], v[10:11], 3, v[20:21]
	s_wait_dscnt 0x0
	global_store_b64 v[42:43], v[40:41], off
	s_cbranch_execnz .LBB165_29
.LBB165_28:                             ;   in Loop: Header=BB165_10 Depth=1
	s_wait_xcnt 0x0
	ds_load_b64 v[40:41], v30 offset:16
	s_wait_dscnt 0x0
	global_store_b64 v[18:19], v[40:41], off offset:16
.LBB165_29:                             ;   in Loop: Header=BB165_10 Depth=1
	s_wait_xcnt 0x0
	s_or_b32 exec_lo, exec_lo, s23
	s_and_saveexec_b32 s23, s2
	s_cbranch_execz .LBB165_33
; %bb.30:                               ;   in Loop: Header=BB165_10 Depth=1
	s_and_not1_b32 vcc_lo, exec_lo, s4
	s_cbranch_vccnz .LBB165_38
; %bb.31:                               ;   in Loop: Header=BB165_10 Depth=1
	ds_load_b64 v[40:41], v30 offset:32
	v_lshl_add_u64 v[42:43], v[12:13], 3, v[20:21]
	s_wait_dscnt 0x0
	global_store_b64 v[42:43], v[40:41], off
	s_cbranch_execnz .LBB165_33
.LBB165_32:                             ;   in Loop: Header=BB165_10 Depth=1
	s_wait_xcnt 0x0
	ds_load_b64 v[40:41], v30 offset:32
	s_wait_dscnt 0x0
	global_store_b64 v[18:19], v[40:41], off offset:32
.LBB165_33:                             ;   in Loop: Header=BB165_10 Depth=1
	s_wait_xcnt 0x0
	s_or_b32 exec_lo, exec_lo, s23
	s_and_saveexec_b32 s23, s3
	s_cbranch_execz .LBB165_8
; %bb.34:                               ;   in Loop: Header=BB165_10 Depth=1
	s_and_not1_b32 vcc_lo, exec_lo, s4
	s_cbranch_vccnz .LBB165_39
; %bb.35:                               ;   in Loop: Header=BB165_10 Depth=1
	ds_load_b64 v[40:41], v30 offset:48
	v_lshl_add_u64 v[20:21], v[14:15], 3, v[20:21]
	s_wait_dscnt 0x0
	global_store_b64 v[20:21], v[40:41], off
	s_cbranch_execnz .LBB165_8
	s_branch .LBB165_40
.LBB165_36:                             ;   in Loop: Header=BB165_10 Depth=1
	s_branch .LBB165_24
.LBB165_37:                             ;   in Loop: Header=BB165_10 Depth=1
	s_branch .LBB165_28
.LBB165_38:                             ;   in Loop: Header=BB165_10 Depth=1
	s_branch .LBB165_32
.LBB165_39:                             ;   in Loop: Header=BB165_10 Depth=1
.LBB165_40:                             ;   in Loop: Header=BB165_10 Depth=1
	s_wait_xcnt 0x0
	ds_load_b64 v[20:21], v30 offset:48
	s_wait_dscnt 0x0
	global_store_b64 v[18:19], v[20:21], off offset:48
	s_branch .LBB165_8
.LBB165_41:
	s_endpgm
	.section	.rodata,"a",@progbits
	.p2align	6, 0x0
	.amdhsa_kernel _ZN9rocsparseL44csr2gebsr_wavefront_per_row_multipass_kernelILi256ELi32ELi8ELi64E21rocsparse_complex_numIfEEEv20rocsparse_direction_iiiiii21rocsparse_index_base_PKT3_PKiS9_S4_PS5_PiSB_
		.amdhsa_group_segment_fixed_size 8196
		.amdhsa_private_segment_fixed_size 0
		.amdhsa_kernarg_size 88
		.amdhsa_user_sgpr_count 2
		.amdhsa_user_sgpr_dispatch_ptr 0
		.amdhsa_user_sgpr_queue_ptr 0
		.amdhsa_user_sgpr_kernarg_segment_ptr 1
		.amdhsa_user_sgpr_dispatch_id 0
		.amdhsa_user_sgpr_kernarg_preload_length 0
		.amdhsa_user_sgpr_kernarg_preload_offset 0
		.amdhsa_user_sgpr_private_segment_size 0
		.amdhsa_wavefront_size32 1
		.amdhsa_uses_dynamic_stack 0
		.amdhsa_enable_private_segment 0
		.amdhsa_system_sgpr_workgroup_id_x 1
		.amdhsa_system_sgpr_workgroup_id_y 0
		.amdhsa_system_sgpr_workgroup_id_z 0
		.amdhsa_system_sgpr_workgroup_info 0
		.amdhsa_system_vgpr_workitem_id 0
		.amdhsa_next_free_vgpr 45
		.amdhsa_next_free_sgpr 26
		.amdhsa_named_barrier_count 0
		.amdhsa_reserve_vcc 1
		.amdhsa_float_round_mode_32 0
		.amdhsa_float_round_mode_16_64 0
		.amdhsa_float_denorm_mode_32 3
		.amdhsa_float_denorm_mode_16_64 3
		.amdhsa_fp16_overflow 0
		.amdhsa_memory_ordered 1
		.amdhsa_forward_progress 1
		.amdhsa_inst_pref_size 15
		.amdhsa_round_robin_scheduling 0
		.amdhsa_exception_fp_ieee_invalid_op 0
		.amdhsa_exception_fp_denorm_src 0
		.amdhsa_exception_fp_ieee_div_zero 0
		.amdhsa_exception_fp_ieee_overflow 0
		.amdhsa_exception_fp_ieee_underflow 0
		.amdhsa_exception_fp_ieee_inexact 0
		.amdhsa_exception_int_div_zero 0
	.end_amdhsa_kernel
	.section	.text._ZN9rocsparseL44csr2gebsr_wavefront_per_row_multipass_kernelILi256ELi32ELi8ELi64E21rocsparse_complex_numIfEEEv20rocsparse_direction_iiiiii21rocsparse_index_base_PKT3_PKiS9_S4_PS5_PiSB_,"axG",@progbits,_ZN9rocsparseL44csr2gebsr_wavefront_per_row_multipass_kernelILi256ELi32ELi8ELi64E21rocsparse_complex_numIfEEEv20rocsparse_direction_iiiiii21rocsparse_index_base_PKT3_PKiS9_S4_PS5_PiSB_,comdat
.Lfunc_end165:
	.size	_ZN9rocsparseL44csr2gebsr_wavefront_per_row_multipass_kernelILi256ELi32ELi8ELi64E21rocsparse_complex_numIfEEEv20rocsparse_direction_iiiiii21rocsparse_index_base_PKT3_PKiS9_S4_PS5_PiSB_, .Lfunc_end165-_ZN9rocsparseL44csr2gebsr_wavefront_per_row_multipass_kernelILi256ELi32ELi8ELi64E21rocsparse_complex_numIfEEEv20rocsparse_direction_iiiiii21rocsparse_index_base_PKT3_PKiS9_S4_PS5_PiSB_
                                        ; -- End function
	.set _ZN9rocsparseL44csr2gebsr_wavefront_per_row_multipass_kernelILi256ELi32ELi8ELi64E21rocsparse_complex_numIfEEEv20rocsparse_direction_iiiiii21rocsparse_index_base_PKT3_PKiS9_S4_PS5_PiSB_.num_vgpr, 45
	.set _ZN9rocsparseL44csr2gebsr_wavefront_per_row_multipass_kernelILi256ELi32ELi8ELi64E21rocsparse_complex_numIfEEEv20rocsparse_direction_iiiiii21rocsparse_index_base_PKT3_PKiS9_S4_PS5_PiSB_.num_agpr, 0
	.set _ZN9rocsparseL44csr2gebsr_wavefront_per_row_multipass_kernelILi256ELi32ELi8ELi64E21rocsparse_complex_numIfEEEv20rocsparse_direction_iiiiii21rocsparse_index_base_PKT3_PKiS9_S4_PS5_PiSB_.numbered_sgpr, 26
	.set _ZN9rocsparseL44csr2gebsr_wavefront_per_row_multipass_kernelILi256ELi32ELi8ELi64E21rocsparse_complex_numIfEEEv20rocsparse_direction_iiiiii21rocsparse_index_base_PKT3_PKiS9_S4_PS5_PiSB_.num_named_barrier, 0
	.set _ZN9rocsparseL44csr2gebsr_wavefront_per_row_multipass_kernelILi256ELi32ELi8ELi64E21rocsparse_complex_numIfEEEv20rocsparse_direction_iiiiii21rocsparse_index_base_PKT3_PKiS9_S4_PS5_PiSB_.private_seg_size, 0
	.set _ZN9rocsparseL44csr2gebsr_wavefront_per_row_multipass_kernelILi256ELi32ELi8ELi64E21rocsparse_complex_numIfEEEv20rocsparse_direction_iiiiii21rocsparse_index_base_PKT3_PKiS9_S4_PS5_PiSB_.uses_vcc, 1
	.set _ZN9rocsparseL44csr2gebsr_wavefront_per_row_multipass_kernelILi256ELi32ELi8ELi64E21rocsparse_complex_numIfEEEv20rocsparse_direction_iiiiii21rocsparse_index_base_PKT3_PKiS9_S4_PS5_PiSB_.uses_flat_scratch, 0
	.set _ZN9rocsparseL44csr2gebsr_wavefront_per_row_multipass_kernelILi256ELi32ELi8ELi64E21rocsparse_complex_numIfEEEv20rocsparse_direction_iiiiii21rocsparse_index_base_PKT3_PKiS9_S4_PS5_PiSB_.has_dyn_sized_stack, 0
	.set _ZN9rocsparseL44csr2gebsr_wavefront_per_row_multipass_kernelILi256ELi32ELi8ELi64E21rocsparse_complex_numIfEEEv20rocsparse_direction_iiiiii21rocsparse_index_base_PKT3_PKiS9_S4_PS5_PiSB_.has_recursion, 0
	.set _ZN9rocsparseL44csr2gebsr_wavefront_per_row_multipass_kernelILi256ELi32ELi8ELi64E21rocsparse_complex_numIfEEEv20rocsparse_direction_iiiiii21rocsparse_index_base_PKT3_PKiS9_S4_PS5_PiSB_.has_indirect_call, 0
	.section	.AMDGPU.csdata,"",@progbits
; Kernel info:
; codeLenInByte = 1892
; TotalNumSgprs: 28
; NumVgprs: 45
; ScratchSize: 0
; MemoryBound: 0
; FloatMode: 240
; IeeeMode: 1
; LDSByteSize: 8196 bytes/workgroup (compile time only)
; SGPRBlocks: 0
; VGPRBlocks: 2
; NumSGPRsForWavesPerEU: 28
; NumVGPRsForWavesPerEU: 45
; NamedBarCnt: 0
; Occupancy: 16
; WaveLimiterHint : 0
; COMPUTE_PGM_RSRC2:SCRATCH_EN: 0
; COMPUTE_PGM_RSRC2:USER_SGPR: 2
; COMPUTE_PGM_RSRC2:TRAP_HANDLER: 0
; COMPUTE_PGM_RSRC2:TGID_X_EN: 1
; COMPUTE_PGM_RSRC2:TGID_Y_EN: 0
; COMPUTE_PGM_RSRC2:TGID_Z_EN: 0
; COMPUTE_PGM_RSRC2:TIDIG_COMP_CNT: 0
	.section	.text._ZN9rocsparseL44csr2gebsr_wavefront_per_row_multipass_kernelILi256ELi32ELi8ELi32E21rocsparse_complex_numIfEEEv20rocsparse_direction_iiiiii21rocsparse_index_base_PKT3_PKiS9_S4_PS5_PiSB_,"axG",@progbits,_ZN9rocsparseL44csr2gebsr_wavefront_per_row_multipass_kernelILi256ELi32ELi8ELi32E21rocsparse_complex_numIfEEEv20rocsparse_direction_iiiiii21rocsparse_index_base_PKT3_PKiS9_S4_PS5_PiSB_,comdat
	.globl	_ZN9rocsparseL44csr2gebsr_wavefront_per_row_multipass_kernelILi256ELi32ELi8ELi32E21rocsparse_complex_numIfEEEv20rocsparse_direction_iiiiii21rocsparse_index_base_PKT3_PKiS9_S4_PS5_PiSB_ ; -- Begin function _ZN9rocsparseL44csr2gebsr_wavefront_per_row_multipass_kernelILi256ELi32ELi8ELi32E21rocsparse_complex_numIfEEEv20rocsparse_direction_iiiiii21rocsparse_index_base_PKT3_PKiS9_S4_PS5_PiSB_
	.p2align	8
	.type	_ZN9rocsparseL44csr2gebsr_wavefront_per_row_multipass_kernelILi256ELi32ELi8ELi32E21rocsparse_complex_numIfEEEv20rocsparse_direction_iiiiii21rocsparse_index_base_PKT3_PKiS9_S4_PS5_PiSB_,@function
_ZN9rocsparseL44csr2gebsr_wavefront_per_row_multipass_kernelILi256ELi32ELi8ELi32E21rocsparse_complex_numIfEEEv20rocsparse_direction_iiiiii21rocsparse_index_base_PKT3_PKiS9_S4_PS5_PiSB_: ; @_ZN9rocsparseL44csr2gebsr_wavefront_per_row_multipass_kernelILi256ELi32ELi8ELi32E21rocsparse_complex_numIfEEEv20rocsparse_direction_iiiiii21rocsparse_index_base_PKT3_PKiS9_S4_PS5_PiSB_
; %bb.0:
	s_clause 0x1
	s_load_b128 s[4:7], s[0:1], 0xc
	s_load_b64 s[12:13], s[0:1], 0x0
	s_bfe_u32 s2, ttmp6, 0x4000c
	s_and_b32 s3, ttmp6, 15
	s_add_co_i32 s2, s2, 1
	s_getreg_b32 s8, hwreg(HW_REG_IB_STS2, 6, 4)
	s_mul_i32 s2, ttmp9, s2
	v_dual_lshrrev_b32 v20, 5, v0 :: v_dual_bitop2_b32 v1, 31, v0 bitop3:0x40
	s_add_co_i32 s3, s3, s2
	s_cmp_eq_u32 s8, 0
	s_clause 0x1
	s_load_b32 s30, s[0:1], 0x1c
	s_load_b64 s[8:9], s[0:1], 0x28
	s_cselect_b32 s2, ttmp9, s3
	v_dual_mov_b32 v4, 0 :: v_dual_mov_b32 v6, 0
	v_lshl_or_b32 v2, s2, 3, v20
	s_wait_kmcnt 0x0
	s_delay_alu instid0(VALU_DEP_1) | instskip(SKIP_1) | instid1(VALU_DEP_2)
	v_mad_u32 v3, v2, s6, v1
	v_cmp_gt_i32_e32 vcc_lo, s6, v1
	v_cmp_gt_i32_e64 s2, s13, v3
	s_and_b32 s2, vcc_lo, s2
	s_delay_alu instid0(SALU_CYCLE_1)
	s_and_saveexec_b32 s3, s2
	s_cbranch_execz .LBB166_2
; %bb.1:
	global_load_b32 v5, v3, s[8:9] scale_offset
	s_wait_loadcnt 0x0
	v_subrev_nc_u32_e32 v6, s30, v5
.LBB166_2:
	s_or_b32 exec_lo, exec_lo, s3
	v_mov_b32_e32 v21, 0
	s_and_saveexec_b32 s3, s2
	s_cbranch_execz .LBB166_4
; %bb.3:
	global_load_b32 v3, v3, s[8:9] offset:4 scale_offset
	s_wait_loadcnt 0x0
	v_subrev_nc_u32_e32 v21, s30, v3
.LBB166_4:
	s_or_b32 exec_lo, exec_lo, s3
	s_load_b32 s31, s[0:1], 0x38
	s_mov_b32 s3, exec_lo
	v_cmpx_gt_i32_e64 s4, v2
	s_cbranch_execz .LBB166_6
; %bb.5:
	s_load_b64 s[8:9], s[0:1], 0x48
	s_wait_kmcnt 0x0
	global_load_b32 v2, v2, s[8:9] scale_offset
	s_wait_loadcnt 0x0
	v_subrev_nc_u32_e32 v4, s31, v2
.LBB166_6:
	s_or_b32 exec_lo, exec_lo, s3
	s_cmp_lt_i32 s5, 1
	s_cbranch_scc1 .LBB166_59
; %bb.7:
	s_cmp_lg_u32 s12, 0
	s_clause 0x3
	s_load_b64 s[2:3], s[0:1], 0x50
	s_load_b64 s[18:19], s[0:1], 0x40
	s_load_b64 s[8:9], s[0:1], 0x20
	s_load_b64 s[10:11], s[0:1], 0x30
	s_cselect_b32 s4, -1, 0
	s_wait_xcnt 0x0
	s_ashr_i32 s1, s7, 31
	s_cmp_lg_u32 s7, 0
	v_mbcnt_lo_u32_b32 v2, -1, 0
	s_cselect_b32 s14, -1, 0
	v_lshlrev_b32_e32 v22, 6, v0
	v_mul_lo_u32 v0, s7, v1
	s_and_b32 s33, vcc_lo, s14
	s_mov_b32 s13, 0
	s_mov_b32 s12, s6
	;; [unrolled: 1-line block ×3, first 2 shown]
	s_cmp_gt_u32 s7, 1
	s_mul_u64 s[14:15], s[0:1], s[12:13]
	s_cselect_b32 s0, -1, 0
	v_xor_b32_e32 v3, 16, v2
	s_and_b32 s34, vcc_lo, s0
	s_cmp_gt_u32 s7, 2
	v_dual_mov_b32 v9, 0 :: v_dual_lshlrev_b32 v8, 3, v1
	s_cselect_b32 s0, -1, 0
	v_ashrrev_i32_e32 v1, 31, v0
	s_and_b32 s35, vcc_lo, s0
	v_cmp_gt_i32_e64 s0, 32, v3
	s_lshl_b32 s16, s6, 1
	s_cmp_gt_u32 s7, 3
	s_wait_kmcnt 0x0
	v_lshl_add_u64 v[12:13], v[0:1], 3, s[18:19]
	v_dual_cndmask_b32 v3, v2, v3, s0 :: v_dual_bitop2_b32 v0, 8, v2 bitop3:0x14
	s_cselect_b32 s0, -1, 0
	v_xor_b32_e32 v1, 4, v2
	s_and_b32 s36, vcc_lo, s0
	s_cmp_gt_u32 s7, 4
	v_lshlrev_b32_e32 v24, 2, v3
	s_cselect_b32 s0, -1, 0
	v_add_nc_u64_e32 v[10:11], s[18:19], v[8:9]
	s_and_b32 s37, vcc_lo, s0
	v_cmp_gt_i32_e64 s0, 32, v0
	s_lshl_b32 s18, s6, 2
	s_cmp_gt_u32 s7, 5
	v_xor_b32_e32 v5, 1, v2
	s_cselect_b32 s17, -1, 0
	v_cndmask_b32_e64 v0, v2, v0, s0
	v_cmp_gt_i32_e64 s0, 32, v1
	s_and_b32 s38, vcc_lo, s17
	s_cmp_gt_u32 s7, 6
	v_dual_lshlrev_b32 v23, 2, v2 :: v_dual_bitop2_b32 v3, 2, v2 bitop3:0x14
	v_cndmask_b32_e64 v1, v2, v1, s0
	s_cselect_b32 s0, -1, 0
	v_lshlrev_b32_e32 v25, 2, v0
	s_and_b32 s39, vcc_lo, s0
	s_cmp_gt_u32 s7, 7
	v_cmp_gt_i32_e64 s0, 32, v3
	s_cselect_b32 s26, -1, 0
	s_abs_i32 s40, s7
	s_mov_b32 s44, s13
	s_cvt_f32_u32 s17, s40
	v_cndmask_b32_e64 v3, v2, v3, s0
	v_cmp_gt_i32_e64 s0, 32, v5
	s_mov_b32 s45, s13
	v_rcp_iflag_f32_e32 v0, s17
	s_mov_b32 s46, s13
	s_mov_b32 s47, s13
	v_cndmask_b32_e64 v2, v2, v5, s0
	v_dual_lshlrev_b32 v26, 2, v1 :: v_dual_lshlrev_b32 v27, 2, v3
	s_mul_i32 s20, s6, 3
	s_delay_alu instid0(TRANS32_DEP_1) | instskip(NEXT) | instid1(VALU_DEP_3)
	v_readfirstlane_b32 s0, v0
	v_lshlrev_b32_e32 v28, 2, v2
	s_mul_i32 s22, s6, 5
	s_mul_i32 s24, s6, 6
	s_and_b32 s41, vcc_lo, s26
	s_mul_f32 s0, s0, 0x4f7ffffe
	s_mul_i32 s26, s6, 7
	s_sub_co_i32 s6, 0, s40
	v_mov_b64_e32 v[0:1], s[44:45]
	s_cvt_u32_f32 s0, s0
	v_mov_b64_e32 v[2:3], s[46:47]
	v_dual_mov_b32 v29, 0x7c :: v_dual_mov_b32 v30, 1
	s_delay_alu instid0(SALU_CYCLE_1)
	s_mul_i32 s6, s6, s0
	v_mov_b32_e32 v18, 0
	s_mul_hi_u32 s6, s0, s6
	s_mov_b32 s17, s13
	s_mov_b32 s21, s13
	;; [unrolled: 1-line block ×6, first 2 shown]
	s_add_co_i32 s28, s0, s6
	s_mov_b32 s29, s13
	s_mov_b32 s6, s13
	s_branch .LBB166_10
.LBB166_8:                              ;   in Loop: Header=BB166_10 Depth=1
	s_wait_xcnt 0x0
	s_or_b32 exec_lo, exec_lo, s42
	v_mov_b32_e32 v5, 1
.LBB166_9:                              ;   in Loop: Header=BB166_10 Depth=1
	s_or_b32 exec_lo, exec_lo, s0
	ds_bpermute_b32 v8, v24, v7
	s_wait_storecnt_dscnt 0x0
	v_dual_add_nc_u32 v4, v5, v4 :: v_dual_min_i32 v7, v8, v7
	ds_bpermute_b32 v8, v25, v7
	s_wait_dscnt 0x0
	v_min_i32_e32 v7, v8, v7
	ds_bpermute_b32 v8, v26, v7
	s_wait_dscnt 0x0
	v_min_i32_e32 v7, v8, v7
	;; [unrolled: 3-line block ×4, first 2 shown]
	ds_bpermute_b32 v18, v29, v7
	s_wait_dscnt 0x0
	v_cmp_le_i32_e32 vcc_lo, s5, v18
	s_or_b32 s6, vcc_lo, s6
	s_delay_alu instid0(SALU_CYCLE_1)
	s_and_not1_b32 exec_lo, exec_lo, s6
	s_cbranch_execz .LBB166_59
.LBB166_10:                             ; =>This Loop Header: Depth=1
                                        ;     Child Loop BB166_13 Depth 2
	v_dual_mov_b32 v7, s5 :: v_dual_mov_b32 v19, v21
	s_mov_b32 s42, exec_lo
	ds_store_b8 v20, v9 offset:16384
	ds_store_b128 v22, v[0:3]
	ds_store_b128 v22, v[0:3] offset:16
	ds_store_b128 v22, v[0:3] offset:32
	;; [unrolled: 1-line block ×3, first 2 shown]
	s_wait_dscnt 0x0
	v_cmpx_lt_i32_e64 v6, v21
	s_cbranch_execz .LBB166_18
; %bb.11:                               ;   in Loop: Header=BB166_10 Depth=1
	v_mul_lo_u32 v5, v18, s7
	v_dual_ashrrev_i32 v7, 31, v6 :: v_dual_mov_b32 v19, v21
	s_mov_b32 s43, 0
	s_delay_alu instid0(VALU_DEP_1)
	v_lshl_add_u64 v[14:15], v[6:7], 2, s[10:11]
	v_lshl_add_u64 v[16:17], v[6:7], 3, s[8:9]
	v_mov_b32_e32 v7, s5
	s_branch .LBB166_13
.LBB166_12:                             ;   in Loop: Header=BB166_13 Depth=2
	s_wait_xcnt 0x0
	s_or_b32 exec_lo, exec_lo, s0
	v_add_nc_u32_e32 v6, 1, v6
	s_xor_b32 s44, vcc_lo, -1
	v_add_nc_u64_e32 v[14:15], 4, v[14:15]
	v_add_nc_u64_e32 v[16:17], 8, v[16:17]
	s_delay_alu instid0(VALU_DEP_3) | instskip(SKIP_1) | instid1(SALU_CYCLE_1)
	v_cmp_ge_i32_e64 s0, v6, v21
	s_or_b32 s0, s44, s0
	s_and_b32 s0, exec_lo, s0
	s_delay_alu instid0(SALU_CYCLE_1) | instskip(NEXT) | instid1(SALU_CYCLE_1)
	s_or_b32 s43, s0, s43
	s_and_not1_b32 exec_lo, exec_lo, s43
	s_cbranch_execz .LBB166_17
.LBB166_13:                             ;   Parent Loop BB166_10 Depth=1
                                        ; =>  This Inner Loop Header: Depth=2
	global_load_b32 v8, v[14:15], off
	s_wait_loadcnt 0x0
	v_subrev_nc_u32_e32 v31, s30, v8
	s_delay_alu instid0(VALU_DEP_1) | instskip(NEXT) | instid1(VALU_DEP_1)
	v_sub_nc_u32_e32 v8, 0, v31
	v_max_i32_e32 v8, v31, v8
	s_delay_alu instid0(VALU_DEP_1) | instskip(NEXT) | instid1(VALU_DEP_1)
	v_mul_u64_e32 v[32:33], s[28:29], v[8:9]
	v_mul_lo_u32 v32, v33, s40
	s_delay_alu instid0(VALU_DEP_1) | instskip(NEXT) | instid1(VALU_DEP_1)
	v_dual_sub_nc_u32 v8, v8, v32 :: v_dual_add_nc_u32 v32, 1, v33
	v_cmp_le_u32_e32 vcc_lo, s40, v8
	s_delay_alu instid0(VALU_DEP_2) | instskip(SKIP_1) | instid1(VALU_DEP_1)
	v_cndmask_b32_e32 v32, v33, v32, vcc_lo
	v_subrev_nc_u32_e32 v34, s40, v8
	v_dual_cndmask_b32 v8, v8, v34 :: v_dual_ashrrev_i32 v33, 31, v31
	s_delay_alu instid0(VALU_DEP_3) | instskip(NEXT) | instid1(VALU_DEP_2)
	v_add_nc_u32_e32 v34, 1, v32
	v_cmp_le_u32_e32 vcc_lo, s40, v8
	s_delay_alu instid0(VALU_DEP_2) | instskip(NEXT) | instid1(VALU_DEP_1)
	v_dual_cndmask_b32 v8, v32, v34, vcc_lo :: v_dual_bitop2_b32 v33, s1, v33 bitop3:0x14
	v_xor_b32_e32 v8, v8, v33
	s_delay_alu instid0(VALU_DEP_1) | instskip(NEXT) | instid1(VALU_DEP_1)
	v_dual_sub_nc_u32 v32, v8, v33 :: v_dual_mov_b32 v8, v19
	v_cmp_ne_u32_e64 s0, v32, v18
	v_cmp_eq_u32_e32 vcc_lo, v32, v18
	s_wait_xcnt 0x0
	s_and_saveexec_b32 s44, s0
	s_delay_alu instid0(SALU_CYCLE_1)
	s_xor_b32 s0, exec_lo, s44
; %bb.14:                               ;   in Loop: Header=BB166_13 Depth=2
	v_min_i32_e32 v7, v32, v7
                                        ; implicit-def: $vgpr31
                                        ; implicit-def: $vgpr8
; %bb.15:                               ;   in Loop: Header=BB166_13 Depth=2
	s_or_saveexec_b32 s0, s0
	v_mov_b32_e32 v19, v6
	s_xor_b32 exec_lo, exec_lo, s0
	s_cbranch_execz .LBB166_12
; %bb.16:                               ;   in Loop: Header=BB166_13 Depth=2
	global_load_b64 v[32:33], v[16:17], off
	v_sub_nc_u32_e32 v19, v31, v5
	s_delay_alu instid0(VALU_DEP_1)
	v_lshl_add_u32 v31, v19, 3, v22
	v_mov_b32_e32 v19, v8
	ds_store_b8 v20, v30 offset:16384
	s_wait_loadcnt 0x0
	ds_store_b64 v31, v[32:33]
	s_branch .LBB166_12
.LBB166_17:                             ;   in Loop: Header=BB166_10 Depth=1
	s_or_b32 exec_lo, exec_lo, s43
.LBB166_18:                             ;   in Loop: Header=BB166_10 Depth=1
	s_delay_alu instid0(SALU_CYCLE_1)
	s_or_b32 exec_lo, exec_lo, s42
	s_wait_dscnt 0x0
	ds_load_u8 v5, v20 offset:16384
	ds_bpermute_b32 v6, v23, v19
	s_wait_dscnt 0x1
	v_and_b32_e32 v5, 1, v5
	s_delay_alu instid0(VALU_DEP_1)
	v_cmp_eq_u32_e32 vcc_lo, 1, v5
	v_mov_b32_e32 v5, 0
	s_and_saveexec_b32 s0, vcc_lo
	s_cbranch_execz .LBB166_9
; %bb.19:                               ;   in Loop: Header=BB166_10 Depth=1
	v_ashrrev_i32_e32 v5, 31, v4
	s_delay_alu instid0(VALU_DEP_1) | instskip(SKIP_3) | instid1(VALU_DEP_1)
	v_mul_u64_e32 v[14:15], s[14:15], v[4:5]
	v_add_nc_u32_e32 v5, s31, v18
	global_store_b32 v4, v5, s[2:3] scale_offset
	v_lshlrev_b64_e32 v[14:15], 3, v[14:15]
	v_add_nc_u64_e32 v[16:17], v[10:11], v[14:15]
	v_add_nc_u64_e32 v[14:15], v[12:13], v[14:15]
	s_wait_xcnt 0x0
	s_and_saveexec_b32 s42, s33
	s_cbranch_execz .LBB166_23
; %bb.20:                               ;   in Loop: Header=BB166_10 Depth=1
	ds_load_b64 v[18:19], v22
	s_and_b32 vcc_lo, exec_lo, s4
	s_cbranch_vccz .LBB166_50
; %bb.21:                               ;   in Loop: Header=BB166_10 Depth=1
	s_wait_dscnt 0x0
	global_store_b64 v[16:17], v[18:19], off
	s_cbranch_execnz .LBB166_23
.LBB166_22:                             ;   in Loop: Header=BB166_10 Depth=1
	s_wait_dscnt 0x0
	global_store_b64 v[14:15], v[18:19], off
.LBB166_23:                             ;   in Loop: Header=BB166_10 Depth=1
	s_wait_xcnt 0x0
	s_or_b32 exec_lo, exec_lo, s42
	s_and_saveexec_b32 s42, s34
	s_cbranch_execz .LBB166_27
; %bb.24:                               ;   in Loop: Header=BB166_10 Depth=1
	s_wait_dscnt 0x0
	ds_load_b64 v[18:19], v22 offset:8
	s_and_not1_b32 vcc_lo, exec_lo, s4
	s_cbranch_vccnz .LBB166_51
; %bb.25:                               ;   in Loop: Header=BB166_10 Depth=1
	v_lshl_add_u64 v[32:33], s[12:13], 3, v[16:17]
	s_wait_dscnt 0x0
	global_store_b64 v[32:33], v[18:19], off
	s_cbranch_execnz .LBB166_27
.LBB166_26:                             ;   in Loop: Header=BB166_10 Depth=1
	s_wait_dscnt 0x0
	global_store_b64 v[14:15], v[18:19], off offset:8
.LBB166_27:                             ;   in Loop: Header=BB166_10 Depth=1
	s_wait_xcnt 0x0
	s_or_b32 exec_lo, exec_lo, s42
	s_and_saveexec_b32 s42, s35
	s_cbranch_execz .LBB166_31
; %bb.28:                               ;   in Loop: Header=BB166_10 Depth=1
	s_wait_dscnt 0x0
	ds_load_b64 v[18:19], v22 offset:16
	s_and_not1_b32 vcc_lo, exec_lo, s4
	s_cbranch_vccnz .LBB166_52
; %bb.29:                               ;   in Loop: Header=BB166_10 Depth=1
	v_lshl_add_u64 v[32:33], s[16:17], 3, v[16:17]
	s_wait_dscnt 0x0
	global_store_b64 v[32:33], v[18:19], off
	s_cbranch_execnz .LBB166_31
.LBB166_30:                             ;   in Loop: Header=BB166_10 Depth=1
	s_wait_dscnt 0x0
	global_store_b64 v[14:15], v[18:19], off offset:16
.LBB166_31:                             ;   in Loop: Header=BB166_10 Depth=1
	s_wait_xcnt 0x0
	s_or_b32 exec_lo, exec_lo, s42
	s_and_saveexec_b32 s42, s36
	s_cbranch_execz .LBB166_35
; %bb.32:                               ;   in Loop: Header=BB166_10 Depth=1
	s_wait_dscnt 0x0
	ds_load_b64 v[18:19], v22 offset:24
	s_and_not1_b32 vcc_lo, exec_lo, s4
	s_cbranch_vccnz .LBB166_53
; %bb.33:                               ;   in Loop: Header=BB166_10 Depth=1
	v_lshl_add_u64 v[32:33], s[20:21], 3, v[16:17]
	s_wait_dscnt 0x0
	global_store_b64 v[32:33], v[18:19], off
	s_cbranch_execnz .LBB166_35
.LBB166_34:                             ;   in Loop: Header=BB166_10 Depth=1
	s_wait_dscnt 0x0
	global_store_b64 v[14:15], v[18:19], off offset:24
.LBB166_35:                             ;   in Loop: Header=BB166_10 Depth=1
	s_wait_xcnt 0x0
	s_or_b32 exec_lo, exec_lo, s42
	s_and_saveexec_b32 s42, s37
	s_cbranch_execz .LBB166_39
; %bb.36:                               ;   in Loop: Header=BB166_10 Depth=1
	s_wait_dscnt 0x0
	ds_load_b64 v[18:19], v22 offset:32
	s_and_not1_b32 vcc_lo, exec_lo, s4
	s_cbranch_vccnz .LBB166_54
; %bb.37:                               ;   in Loop: Header=BB166_10 Depth=1
	v_lshl_add_u64 v[32:33], s[18:19], 3, v[16:17]
	s_wait_dscnt 0x0
	global_store_b64 v[32:33], v[18:19], off
	s_cbranch_execnz .LBB166_39
.LBB166_38:                             ;   in Loop: Header=BB166_10 Depth=1
	s_wait_dscnt 0x0
	global_store_b64 v[14:15], v[18:19], off offset:32
.LBB166_39:                             ;   in Loop: Header=BB166_10 Depth=1
	s_wait_xcnt 0x0
	s_or_b32 exec_lo, exec_lo, s42
	s_and_saveexec_b32 s42, s38
	s_cbranch_execz .LBB166_43
; %bb.40:                               ;   in Loop: Header=BB166_10 Depth=1
	s_wait_dscnt 0x0
	ds_load_b64 v[18:19], v22 offset:40
	s_and_not1_b32 vcc_lo, exec_lo, s4
	s_cbranch_vccnz .LBB166_55
; %bb.41:                               ;   in Loop: Header=BB166_10 Depth=1
	v_lshl_add_u64 v[32:33], s[22:23], 3, v[16:17]
	s_wait_dscnt 0x0
	global_store_b64 v[32:33], v[18:19], off
	s_cbranch_execnz .LBB166_43
.LBB166_42:                             ;   in Loop: Header=BB166_10 Depth=1
	s_wait_dscnt 0x0
	global_store_b64 v[14:15], v[18:19], off offset:40
.LBB166_43:                             ;   in Loop: Header=BB166_10 Depth=1
	s_wait_xcnt 0x0
	s_or_b32 exec_lo, exec_lo, s42
	s_and_saveexec_b32 s42, s39
	s_cbranch_execz .LBB166_47
; %bb.44:                               ;   in Loop: Header=BB166_10 Depth=1
	s_wait_dscnt 0x0
	ds_load_b64 v[18:19], v22 offset:48
	s_and_not1_b32 vcc_lo, exec_lo, s4
	s_cbranch_vccnz .LBB166_56
; %bb.45:                               ;   in Loop: Header=BB166_10 Depth=1
	v_lshl_add_u64 v[32:33], s[24:25], 3, v[16:17]
	s_wait_dscnt 0x0
	global_store_b64 v[32:33], v[18:19], off
	s_cbranch_execnz .LBB166_47
.LBB166_46:                             ;   in Loop: Header=BB166_10 Depth=1
	s_wait_dscnt 0x0
	global_store_b64 v[14:15], v[18:19], off offset:48
.LBB166_47:                             ;   in Loop: Header=BB166_10 Depth=1
	s_wait_xcnt 0x0
	s_or_b32 exec_lo, exec_lo, s42
	s_and_saveexec_b32 s42, s41
	s_cbranch_execz .LBB166_8
; %bb.48:                               ;   in Loop: Header=BB166_10 Depth=1
	s_wait_dscnt 0x0
	ds_load_b64 v[18:19], v22 offset:56
	s_and_not1_b32 vcc_lo, exec_lo, s4
	s_cbranch_vccnz .LBB166_57
; %bb.49:                               ;   in Loop: Header=BB166_10 Depth=1
	v_lshl_add_u64 v[16:17], s[26:27], 3, v[16:17]
	s_wait_dscnt 0x0
	global_store_b64 v[16:17], v[18:19], off
	s_cbranch_execnz .LBB166_8
	s_branch .LBB166_58
.LBB166_50:                             ;   in Loop: Header=BB166_10 Depth=1
	s_branch .LBB166_22
.LBB166_51:                             ;   in Loop: Header=BB166_10 Depth=1
	s_branch .LBB166_26
.LBB166_52:                             ;   in Loop: Header=BB166_10 Depth=1
	s_branch .LBB166_30
.LBB166_53:                             ;   in Loop: Header=BB166_10 Depth=1
	s_branch .LBB166_34
.LBB166_54:                             ;   in Loop: Header=BB166_10 Depth=1
	s_branch .LBB166_38
.LBB166_55:                             ;   in Loop: Header=BB166_10 Depth=1
	s_branch .LBB166_42
.LBB166_56:                             ;   in Loop: Header=BB166_10 Depth=1
	s_branch .LBB166_46
.LBB166_57:                             ;   in Loop: Header=BB166_10 Depth=1
.LBB166_58:                             ;   in Loop: Header=BB166_10 Depth=1
	s_wait_dscnt 0x0
	global_store_b64 v[14:15], v[18:19], off offset:56
	s_branch .LBB166_8
.LBB166_59:
	s_endpgm
	.section	.rodata,"a",@progbits
	.p2align	6, 0x0
	.amdhsa_kernel _ZN9rocsparseL44csr2gebsr_wavefront_per_row_multipass_kernelILi256ELi32ELi8ELi32E21rocsparse_complex_numIfEEEv20rocsparse_direction_iiiiii21rocsparse_index_base_PKT3_PKiS9_S4_PS5_PiSB_
		.amdhsa_group_segment_fixed_size 16392
		.amdhsa_private_segment_fixed_size 0
		.amdhsa_kernarg_size 88
		.amdhsa_user_sgpr_count 2
		.amdhsa_user_sgpr_dispatch_ptr 0
		.amdhsa_user_sgpr_queue_ptr 0
		.amdhsa_user_sgpr_kernarg_segment_ptr 1
		.amdhsa_user_sgpr_dispatch_id 0
		.amdhsa_user_sgpr_kernarg_preload_length 0
		.amdhsa_user_sgpr_kernarg_preload_offset 0
		.amdhsa_user_sgpr_private_segment_size 0
		.amdhsa_wavefront_size32 1
		.amdhsa_uses_dynamic_stack 0
		.amdhsa_enable_private_segment 0
		.amdhsa_system_sgpr_workgroup_id_x 1
		.amdhsa_system_sgpr_workgroup_id_y 0
		.amdhsa_system_sgpr_workgroup_id_z 0
		.amdhsa_system_sgpr_workgroup_info 0
		.amdhsa_system_vgpr_workitem_id 0
		.amdhsa_next_free_vgpr 35
		.amdhsa_next_free_sgpr 48
		.amdhsa_named_barrier_count 0
		.amdhsa_reserve_vcc 1
		.amdhsa_float_round_mode_32 0
		.amdhsa_float_round_mode_16_64 0
		.amdhsa_float_denorm_mode_32 3
		.amdhsa_float_denorm_mode_16_64 3
		.amdhsa_fp16_overflow 0
		.amdhsa_memory_ordered 1
		.amdhsa_forward_progress 1
		.amdhsa_inst_pref_size 17
		.amdhsa_round_robin_scheduling 0
		.amdhsa_exception_fp_ieee_invalid_op 0
		.amdhsa_exception_fp_denorm_src 0
		.amdhsa_exception_fp_ieee_div_zero 0
		.amdhsa_exception_fp_ieee_overflow 0
		.amdhsa_exception_fp_ieee_underflow 0
		.amdhsa_exception_fp_ieee_inexact 0
		.amdhsa_exception_int_div_zero 0
	.end_amdhsa_kernel
	.section	.text._ZN9rocsparseL44csr2gebsr_wavefront_per_row_multipass_kernelILi256ELi32ELi8ELi32E21rocsparse_complex_numIfEEEv20rocsparse_direction_iiiiii21rocsparse_index_base_PKT3_PKiS9_S4_PS5_PiSB_,"axG",@progbits,_ZN9rocsparseL44csr2gebsr_wavefront_per_row_multipass_kernelILi256ELi32ELi8ELi32E21rocsparse_complex_numIfEEEv20rocsparse_direction_iiiiii21rocsparse_index_base_PKT3_PKiS9_S4_PS5_PiSB_,comdat
.Lfunc_end166:
	.size	_ZN9rocsparseL44csr2gebsr_wavefront_per_row_multipass_kernelILi256ELi32ELi8ELi32E21rocsparse_complex_numIfEEEv20rocsparse_direction_iiiiii21rocsparse_index_base_PKT3_PKiS9_S4_PS5_PiSB_, .Lfunc_end166-_ZN9rocsparseL44csr2gebsr_wavefront_per_row_multipass_kernelILi256ELi32ELi8ELi32E21rocsparse_complex_numIfEEEv20rocsparse_direction_iiiiii21rocsparse_index_base_PKT3_PKiS9_S4_PS5_PiSB_
                                        ; -- End function
	.set _ZN9rocsparseL44csr2gebsr_wavefront_per_row_multipass_kernelILi256ELi32ELi8ELi32E21rocsparse_complex_numIfEEEv20rocsparse_direction_iiiiii21rocsparse_index_base_PKT3_PKiS9_S4_PS5_PiSB_.num_vgpr, 35
	.set _ZN9rocsparseL44csr2gebsr_wavefront_per_row_multipass_kernelILi256ELi32ELi8ELi32E21rocsparse_complex_numIfEEEv20rocsparse_direction_iiiiii21rocsparse_index_base_PKT3_PKiS9_S4_PS5_PiSB_.num_agpr, 0
	.set _ZN9rocsparseL44csr2gebsr_wavefront_per_row_multipass_kernelILi256ELi32ELi8ELi32E21rocsparse_complex_numIfEEEv20rocsparse_direction_iiiiii21rocsparse_index_base_PKT3_PKiS9_S4_PS5_PiSB_.numbered_sgpr, 48
	.set _ZN9rocsparseL44csr2gebsr_wavefront_per_row_multipass_kernelILi256ELi32ELi8ELi32E21rocsparse_complex_numIfEEEv20rocsparse_direction_iiiiii21rocsparse_index_base_PKT3_PKiS9_S4_PS5_PiSB_.num_named_barrier, 0
	.set _ZN9rocsparseL44csr2gebsr_wavefront_per_row_multipass_kernelILi256ELi32ELi8ELi32E21rocsparse_complex_numIfEEEv20rocsparse_direction_iiiiii21rocsparse_index_base_PKT3_PKiS9_S4_PS5_PiSB_.private_seg_size, 0
	.set _ZN9rocsparseL44csr2gebsr_wavefront_per_row_multipass_kernelILi256ELi32ELi8ELi32E21rocsparse_complex_numIfEEEv20rocsparse_direction_iiiiii21rocsparse_index_base_PKT3_PKiS9_S4_PS5_PiSB_.uses_vcc, 1
	.set _ZN9rocsparseL44csr2gebsr_wavefront_per_row_multipass_kernelILi256ELi32ELi8ELi32E21rocsparse_complex_numIfEEEv20rocsparse_direction_iiiiii21rocsparse_index_base_PKT3_PKiS9_S4_PS5_PiSB_.uses_flat_scratch, 0
	.set _ZN9rocsparseL44csr2gebsr_wavefront_per_row_multipass_kernelILi256ELi32ELi8ELi32E21rocsparse_complex_numIfEEEv20rocsparse_direction_iiiiii21rocsparse_index_base_PKT3_PKiS9_S4_PS5_PiSB_.has_dyn_sized_stack, 0
	.set _ZN9rocsparseL44csr2gebsr_wavefront_per_row_multipass_kernelILi256ELi32ELi8ELi32E21rocsparse_complex_numIfEEEv20rocsparse_direction_iiiiii21rocsparse_index_base_PKT3_PKiS9_S4_PS5_PiSB_.has_recursion, 0
	.set _ZN9rocsparseL44csr2gebsr_wavefront_per_row_multipass_kernelILi256ELi32ELi8ELi32E21rocsparse_complex_numIfEEEv20rocsparse_direction_iiiiii21rocsparse_index_base_PKT3_PKiS9_S4_PS5_PiSB_.has_indirect_call, 0
	.section	.AMDGPU.csdata,"",@progbits
; Kernel info:
; codeLenInByte = 2100
; TotalNumSgprs: 50
; NumVgprs: 35
; ScratchSize: 0
; MemoryBound: 0
; FloatMode: 240
; IeeeMode: 1
; LDSByteSize: 16392 bytes/workgroup (compile time only)
; SGPRBlocks: 0
; VGPRBlocks: 2
; NumSGPRsForWavesPerEU: 50
; NumVGPRsForWavesPerEU: 35
; NamedBarCnt: 0
; Occupancy: 16
; WaveLimiterHint : 0
; COMPUTE_PGM_RSRC2:SCRATCH_EN: 0
; COMPUTE_PGM_RSRC2:USER_SGPR: 2
; COMPUTE_PGM_RSRC2:TRAP_HANDLER: 0
; COMPUTE_PGM_RSRC2:TGID_X_EN: 1
; COMPUTE_PGM_RSRC2:TGID_Y_EN: 0
; COMPUTE_PGM_RSRC2:TGID_Z_EN: 0
; COMPUTE_PGM_RSRC2:TIDIG_COMP_CNT: 0
	.section	.text._ZN9rocsparseL40csr2gebsr_block_per_row_multipass_kernelILj256ELj32ELj16E21rocsparse_complex_numIfEEEv20rocsparse_direction_iiiiii21rocsparse_index_base_PKT2_PKiS9_S4_PS5_PiSB_,"axG",@progbits,_ZN9rocsparseL40csr2gebsr_block_per_row_multipass_kernelILj256ELj32ELj16E21rocsparse_complex_numIfEEEv20rocsparse_direction_iiiiii21rocsparse_index_base_PKT2_PKiS9_S4_PS5_PiSB_,comdat
	.globl	_ZN9rocsparseL40csr2gebsr_block_per_row_multipass_kernelILj256ELj32ELj16E21rocsparse_complex_numIfEEEv20rocsparse_direction_iiiiii21rocsparse_index_base_PKT2_PKiS9_S4_PS5_PiSB_ ; -- Begin function _ZN9rocsparseL40csr2gebsr_block_per_row_multipass_kernelILj256ELj32ELj16E21rocsparse_complex_numIfEEEv20rocsparse_direction_iiiiii21rocsparse_index_base_PKT2_PKiS9_S4_PS5_PiSB_
	.p2align	8
	.type	_ZN9rocsparseL40csr2gebsr_block_per_row_multipass_kernelILj256ELj32ELj16E21rocsparse_complex_numIfEEEv20rocsparse_direction_iiiiii21rocsparse_index_base_PKT2_PKiS9_S4_PS5_PiSB_,@function
_ZN9rocsparseL40csr2gebsr_block_per_row_multipass_kernelILj256ELj32ELj16E21rocsparse_complex_numIfEEEv20rocsparse_direction_iiiiii21rocsparse_index_base_PKT2_PKiS9_S4_PS5_PiSB_: ; @_ZN9rocsparseL40csr2gebsr_block_per_row_multipass_kernelILj256ELj32ELj16E21rocsparse_complex_numIfEEEv20rocsparse_direction_iiiiii21rocsparse_index_base_PKT2_PKiS9_S4_PS5_PiSB_
; %bb.0:
	s_clause 0x1
	s_load_b128 s[12:15], s[0:1], 0x10
	s_load_b64 s[30:31], s[0:1], 0x0
	s_bfe_u32 s2, ttmp6, 0x4000c
	s_and_b32 s3, ttmp6, 15
	s_add_co_i32 s2, s2, 1
	s_getreg_b32 s4, hwreg(HW_REG_IB_STS2, 6, 4)
	s_mul_i32 s2, ttmp9, s2
	v_dual_mov_b32 v18, 0 :: v_dual_lshrrev_b32 v1, 3, v0
	s_add_co_i32 s3, s3, s2
	s_cmp_eq_u32 s4, 0
	s_load_b64 s[6:7], s[0:1], 0x28
	s_cselect_b32 s4, ttmp9, s3
	v_mov_b32_e32 v28, 0
	s_wait_kmcnt 0x0
	v_mad_u32 v2, s13, s4, v1
	v_cmp_gt_i32_e32 vcc_lo, s13, v1
	s_delay_alu instid0(VALU_DEP_2) | instskip(SKIP_1) | instid1(SALU_CYCLE_1)
	v_cmp_gt_i32_e64 s2, s31, v2
	s_and_b32 s2, vcc_lo, s2
	s_and_saveexec_b32 s3, s2
	s_cbranch_execnz .LBB167_3
; %bb.1:
	s_or_b32 exec_lo, exec_lo, s3
	s_and_saveexec_b32 s3, s2
	s_cbranch_execnz .LBB167_4
.LBB167_2:
	s_or_b32 exec_lo, exec_lo, s3
	s_cmp_lt_i32 s12, 1
	s_cbranch_scc0 .LBB167_5
	s_branch .LBB167_43
.LBB167_3:
	global_load_b32 v3, v2, s[6:7] scale_offset
	s_wait_loadcnt 0x0
	v_subrev_nc_u32_e32 v28, s15, v3
	s_or_b32 exec_lo, exec_lo, s3
	s_and_saveexec_b32 s3, s2
	s_cbranch_execz .LBB167_2
.LBB167_4:
	global_load_b32 v2, v2, s[6:7] offset:4 scale_offset
	s_wait_loadcnt 0x0
	v_subrev_nc_u32_e32 v18, s15, v2
	s_or_b32 exec_lo, exec_lo, s3
	s_cmp_lt_i32 s12, 1
	s_cbranch_scc1 .LBB167_43
.LBB167_5:
	s_clause 0x3
	s_load_b128 s[16:19], s[0:1], 0x40
	s_load_b64 s[10:11], s[0:1], 0x50
	s_load_b96 s[20:22], s[0:1], 0x30
	s_load_b64 s[24:25], s[0:1], 0x20
	s_ashr_i32 s5, s4, 31
	v_dual_lshlrev_b32 v20, 7, v1 :: v_dual_bitop2_b32 v19, 7, v0 bitop3:0x40
	s_wait_xcnt 0x0
	s_lshl_b64 s[0:1], s[4:5], 2
	v_mbcnt_lo_u32_b32 v6, -1, 0
	v_dual_mov_b32 v3, 0 :: v_dual_lshlrev_b32 v2, 3, v1
	v_lshlrev_b32_e32 v10, 3, v19
	v_mul_lo_u32 v8, s14, v1
	s_delay_alu instid0(VALU_DEP_4) | instskip(NEXT) | instid1(VALU_DEP_4)
	v_xor_b32_e32 v9, 4, v6
	v_dual_mov_b32 v11, v3 :: v_dual_bitop2_b32 v12, 2, v6 bitop3:0x14
	v_dual_mov_b32 v5, v3 :: v_dual_bitop2_b32 v13, 1, v6 bitop3:0x14
	v_mul_lo_u32 v4, v19, s13
	v_lshl_or_b32 v23, v6, 2, 28
	s_wait_kmcnt 0x0
	s_add_nc_u64 s[0:1], s[18:19], s[0:1]
	s_mov_b32 s26, s13
	s_load_b32 s9, s[0:1], 0x0
	v_cmp_gt_u32_e64 s8, s14, v19
	v_dual_mov_b32 v7, v3 :: v_dual_bitop2_b32 v14, 8, v19 bitop3:0x54
	v_dual_mov_b32 v22, 1 :: v_dual_lshlrev_b32 v21, 2, v0
	s_wait_xcnt 0x0
	v_cmp_gt_u32_e64 s0, 0x80, v0
	v_cmp_gt_u32_e64 s1, 64, v0
	;; [unrolled: 1-line block ×7, first 2 shown]
	v_cmp_eq_u32_e64 s7, 0, v0
	v_mov_b64_e32 v[0:1], 0
	s_mov_b32 s27, 0
	s_mov_b32 s28, s14
	s_wait_kmcnt 0x0
	s_sub_co_i32 s18, s9, s22
	s_cmp_lg_u32 s30, 0
	v_cmp_gt_i32_e64 s9, 32, v9
	s_cselect_b32 s23, -1, 0
	s_abs_i32 s30, s14
	s_ashr_i32 s29, s14, 31
	s_cvt_f32_u32 s19, s30
	v_cndmask_b32_e64 v15, v6, v9, s9
	v_cmp_gt_i32_e64 s9, 32, v12
	v_ashrrev_i32_e32 v9, 31, v8
	v_rcp_iflag_f32_e32 v16, s19
	s_delay_alu instid0(VALU_DEP_2) | instskip(SKIP_2) | instid1(TRANS32_DEP_1)
	v_cndmask_b32_e64 v12, v6, v12, s9
	v_cmp_gt_i32_e64 s9, 32, v13
	v_dual_add_nc_u32 v24, v10, v20 :: v_dual_lshlrev_b32 v25, 2, v15
	v_readfirstlane_b32 s19, v16
	s_delay_alu instid0(VALU_DEP_3) | instskip(SKIP_3) | instid1(VALU_DEP_4)
	v_dual_cndmask_b32 v6, v6, v13, s9 :: v_dual_lshlrev_b32 v26, 2, v12
	v_lshl_add_u64 v[12:13], v[8:9], 3, s[16:17]
	v_cmp_gt_u32_e64 s9, s14, v14
	v_add_nc_u64_e32 v[8:9], s[16:17], v[2:3]
	v_lshlrev_b32_e32 v27, 2, v6
	v_lshl_add_u32 v6, s13, 3, v4
	s_mul_f32 s13, s19, 0x4f7ffffe
	v_add_nc_u64_e32 v[10:11], v[12:13], v[10:11]
	v_mov_b32_e32 v14, 0
	s_mul_u64 s[16:17], s[28:29], s[26:27]
	s_cvt_u32_f32 s19, s13
	s_and_b32 s13, vcc_lo, s8
	s_sub_co_i32 s8, 0, s30
	s_and_b32 s9, vcc_lo, s9
	s_mul_i32 s8, s8, s19
	s_delay_alu instid0(SALU_CYCLE_1) | instskip(NEXT) | instid1(SALU_CYCLE_1)
	s_mul_hi_u32 s8, s19, s8
	s_add_co_i32 s26, s19, s8
	s_branch .LBB167_7
.LBB167_6:                              ;   in Loop: Header=BB167_7 Depth=1
	s_or_b32 exec_lo, exec_lo, s19
	s_wait_dscnt 0x0
	s_barrier_signal -1
	s_barrier_wait -1
	ds_load_b32 v14, v3
	s_add_co_i32 s18, s8, s18
	s_wait_dscnt 0x0
	s_barrier_signal -1
	s_barrier_wait -1
	v_cmp_gt_i32_e32 vcc_lo, s12, v14
	s_cbranch_vccz .LBB167_43
.LBB167_7:                              ; =>This Loop Header: Depth=1
                                        ;     Child Loop BB167_10 Depth 2
	v_dual_mov_b32 v29, s12 :: v_dual_add_nc_u32 v12, v28, v19
	v_mov_b32_e32 v13, v18
	s_mov_b32 s19, exec_lo
	ds_store_b8 v3, v3 offset:4096
	ds_store_2addr_b64 v24, v[0:1], v[0:1] offset1:8
	s_wait_dscnt 0x0
	s_barrier_signal -1
	s_barrier_wait -1
	v_cmpx_lt_i32_e64 v12, v18
	s_cbranch_execz .LBB167_15
; %bb.8:                                ;   in Loop: Header=BB167_7 Depth=1
	v_mul_lo_u32 v15, v14, s14
	v_dual_mov_b32 v29, s12 :: v_dual_mov_b32 v13, v18
	s_mov_b32 s28, 0
	s_branch .LBB167_10
.LBB167_9:                              ;   in Loop: Header=BB167_10 Depth=2
	s_wait_xcnt 0x0
	s_or_b32 exec_lo, exec_lo, s8
	v_add_nc_u32_e32 v12, 8, v12
	s_xor_b32 s31, vcc_lo, -1
	s_delay_alu instid0(VALU_DEP_1) | instskip(SKIP_1) | instid1(SALU_CYCLE_1)
	v_cmp_ge_i32_e64 s8, v12, v18
	s_or_b32 s8, s31, s8
	s_and_b32 s8, exec_lo, s8
	s_delay_alu instid0(SALU_CYCLE_1) | instskip(NEXT) | instid1(SALU_CYCLE_1)
	s_or_b32 s28, s8, s28
	s_and_not1_b32 exec_lo, exec_lo, s28
	s_cbranch_execz .LBB167_14
.LBB167_10:                             ;   Parent Loop BB167_7 Depth=1
                                        ; =>  This Inner Loop Header: Depth=2
	global_load_b32 v2, v12, s[20:21] scale_offset
	s_wait_loadcnt 0x0
	v_subrev_nc_u32_e32 v16, s15, v2
	s_delay_alu instid0(VALU_DEP_1) | instskip(NEXT) | instid1(VALU_DEP_1)
	v_sub_nc_u32_e32 v2, 0, v16
	v_max_i32_e32 v2, v16, v2
	s_delay_alu instid0(VALU_DEP_1) | instskip(SKIP_1) | instid1(VALU_DEP_2)
	v_mul_u64_e32 v[30:31], s[26:27], v[2:3]
	v_ashrrev_i32_e32 v30, 31, v16
	v_mul_lo_u32 v17, v31, s30
	s_delay_alu instid0(VALU_DEP_1) | instskip(NEXT) | instid1(VALU_DEP_1)
	v_dual_sub_nc_u32 v2, v2, v17 :: v_dual_add_nc_u32 v17, 1, v31
	v_subrev_nc_u32_e32 v28, s30, v2
	v_cmp_le_u32_e32 vcc_lo, s30, v2
	s_delay_alu instid0(VALU_DEP_2) | instskip(NEXT) | instid1(VALU_DEP_1)
	v_dual_cndmask_b32 v17, v31, v17 :: v_dual_cndmask_b32 v2, v2, v28
	v_add_nc_u32_e32 v28, 1, v17
	s_delay_alu instid0(VALU_DEP_2) | instskip(NEXT) | instid1(VALU_DEP_2)
	v_cmp_le_u32_e32 vcc_lo, s30, v2
	v_dual_cndmask_b32 v2, v17, v28, vcc_lo :: v_dual_bitop2_b32 v30, s29, v30 bitop3:0x14
	s_delay_alu instid0(VALU_DEP_1) | instskip(NEXT) | instid1(VALU_DEP_1)
	v_xor_b32_e32 v2, v2, v30
	v_dual_mov_b32 v2, v13 :: v_dual_sub_nc_u32 v17, v2, v30
	s_delay_alu instid0(VALU_DEP_1) | instskip(SKIP_3) | instid1(SALU_CYCLE_1)
	v_cmp_ne_u32_e64 s8, v17, v14
	v_cmp_eq_u32_e32 vcc_lo, v17, v14
	s_wait_xcnt 0x0
	s_and_saveexec_b32 s31, s8
	s_xor_b32 s8, exec_lo, s31
; %bb.11:                               ;   in Loop: Header=BB167_10 Depth=2
	v_min_i32_e32 v29, v17, v29
                                        ; implicit-def: $vgpr16
                                        ; implicit-def: $vgpr2
; %bb.12:                               ;   in Loop: Header=BB167_10 Depth=2
	s_or_saveexec_b32 s8, s8
	v_mov_b32_e32 v13, v12
	s_xor_b32 exec_lo, exec_lo, s8
	s_cbranch_execz .LBB167_9
; %bb.13:                               ;   in Loop: Header=BB167_10 Depth=2
	v_ashrrev_i32_e32 v13, 31, v12
	s_delay_alu instid0(VALU_DEP_1)
	v_lshl_add_u64 v[30:31], v[12:13], 3, s[24:25]
	v_sub_nc_u32_e32 v13, v16, v15
	global_load_b64 v[30:31], v[30:31], off
	v_lshl_add_u32 v16, v13, 3, v20
	v_mov_b32_e32 v13, v2
	ds_store_b8 v3, v22 offset:4096
	s_wait_loadcnt 0x0
	ds_store_b64 v16, v[30:31]
	s_branch .LBB167_9
.LBB167_14:                             ;   in Loop: Header=BB167_7 Depth=1
	s_or_b32 exec_lo, exec_lo, s28
.LBB167_15:                             ;   in Loop: Header=BB167_7 Depth=1
	s_delay_alu instid0(SALU_CYCLE_1)
	s_or_b32 exec_lo, exec_lo, s19
	ds_bpermute_b32 v2, v25, v13
	s_wait_dscnt 0x0
	s_barrier_signal -1
	s_barrier_wait -1
	s_mov_b32 s8, 0
	v_min_i32_e32 v2, v2, v13
	ds_load_u8 v13, v3 offset:4096
	ds_bpermute_b32 v12, v26, v2
	s_wait_dscnt 0x0
	v_min_i32_e32 v2, v12, v2
	ds_bpermute_b32 v12, v27, v2
	s_wait_dscnt 0x0
	v_min_i32_e32 v2, v12, v2
	ds_bpermute_b32 v28, v23, v2
	v_and_b32_e32 v2, 1, v13
	s_delay_alu instid0(VALU_DEP_1)
	v_cmp_eq_u32_e32 vcc_lo, 0, v2
	s_cbranch_vccnz .LBB167_25
; %bb.16:                               ;   in Loop: Header=BB167_7 Depth=1
	s_ashr_i32 s19, s18, 31
	v_dual_add_nc_u32 v2, s22, v14 :: v_dual_mov_b32 v16, s18
	s_mul_u64 s[34:35], s[16:17], s[18:19]
	s_delay_alu instid0(SALU_CYCLE_1) | instskip(NEXT) | instid1(SALU_CYCLE_1)
	s_lshl_b64 s[34:35], s[34:35], 3
	v_add_nc_u64_e32 v[14:15], s[34:35], v[8:9]
	v_add_nc_u64_e32 v[12:13], s[34:35], v[10:11]
	global_store_b32 v16, v2, s[10:11] scale_offset
	s_wait_xcnt 0x0
	s_and_saveexec_b32 s8, s13
	s_cbranch_execz .LBB167_20
; %bb.17:                               ;   in Loop: Header=BB167_7 Depth=1
	s_and_b32 vcc_lo, exec_lo, s23
	s_cbranch_vccz .LBB167_41
; %bb.18:                               ;   in Loop: Header=BB167_7 Depth=1
	ds_load_b64 v[16:17], v24
	v_lshl_add_u64 v[30:31], v[4:5], 3, v[14:15]
	s_wait_dscnt 0x0
	global_store_b64 v[30:31], v[16:17], off
	s_cbranch_execnz .LBB167_20
.LBB167_19:                             ;   in Loop: Header=BB167_7 Depth=1
	s_wait_xcnt 0x0
	ds_load_b64 v[16:17], v24
	s_wait_dscnt 0x0
	global_store_b64 v[12:13], v[16:17], off
.LBB167_20:                             ;   in Loop: Header=BB167_7 Depth=1
	s_wait_xcnt 0x0
	s_or_b32 exec_lo, exec_lo, s8
	s_and_saveexec_b32 s8, s9
	s_cbranch_execz .LBB167_24
; %bb.21:                               ;   in Loop: Header=BB167_7 Depth=1
	ds_load_b64 v[16:17], v24 offset:64
	s_and_not1_b32 vcc_lo, exec_lo, s23
	s_cbranch_vccnz .LBB167_42
; %bb.22:                               ;   in Loop: Header=BB167_7 Depth=1
	v_lshl_add_u64 v[14:15], v[6:7], 3, v[14:15]
	s_wait_dscnt 0x0
	global_store_b64 v[14:15], v[16:17], off
	s_cbranch_execnz .LBB167_24
.LBB167_23:                             ;   in Loop: Header=BB167_7 Depth=1
	s_wait_dscnt 0x0
	global_store_b64 v[12:13], v[16:17], off offset:64
.LBB167_24:                             ;   in Loop: Header=BB167_7 Depth=1
	s_wait_xcnt 0x0
	s_or_b32 exec_lo, exec_lo, s8
	s_mov_b32 s8, 1
.LBB167_25:                             ;   in Loop: Header=BB167_7 Depth=1
	s_wait_storecnt_dscnt 0x0
	s_barrier_signal -1
	s_barrier_wait -1
	ds_store_b32 v21, v29
	s_wait_dscnt 0x0
	s_barrier_signal -1
	s_barrier_wait -1
	s_and_saveexec_b32 s19, s0
	s_cbranch_execz .LBB167_27
; %bb.26:                               ;   in Loop: Header=BB167_7 Depth=1
	ds_load_2addr_stride64_b32 v[12:13], v21 offset1:2
	s_wait_dscnt 0x0
	v_min_i32_e32 v2, v13, v12
	ds_store_b32 v21, v2
.LBB167_27:                             ;   in Loop: Header=BB167_7 Depth=1
	s_or_b32 exec_lo, exec_lo, s19
	s_wait_dscnt 0x0
	s_barrier_signal -1
	s_barrier_wait -1
	s_and_saveexec_b32 s19, s1
	s_cbranch_execz .LBB167_29
; %bb.28:                               ;   in Loop: Header=BB167_7 Depth=1
	ds_load_2addr_stride64_b32 v[12:13], v21 offset1:1
	s_wait_dscnt 0x0
	v_min_i32_e32 v2, v13, v12
	ds_store_b32 v21, v2
.LBB167_29:                             ;   in Loop: Header=BB167_7 Depth=1
	s_or_b32 exec_lo, exec_lo, s19
	s_wait_dscnt 0x0
	s_barrier_signal -1
	s_barrier_wait -1
	s_and_saveexec_b32 s19, s2
	s_cbranch_execz .LBB167_31
; %bb.30:                               ;   in Loop: Header=BB167_7 Depth=1
	ds_load_2addr_b32 v[12:13], v21 offset1:32
	s_wait_dscnt 0x0
	v_min_i32_e32 v2, v13, v12
	ds_store_b32 v21, v2
.LBB167_31:                             ;   in Loop: Header=BB167_7 Depth=1
	s_or_b32 exec_lo, exec_lo, s19
	s_wait_dscnt 0x0
	s_barrier_signal -1
	s_barrier_wait -1
	s_and_saveexec_b32 s19, s3
	s_cbranch_execz .LBB167_33
; %bb.32:                               ;   in Loop: Header=BB167_7 Depth=1
	ds_load_2addr_b32 v[12:13], v21 offset1:16
	s_wait_dscnt 0x0
	v_min_i32_e32 v2, v13, v12
	ds_store_b32 v21, v2
.LBB167_33:                             ;   in Loop: Header=BB167_7 Depth=1
	;; [unrolled: 12-line block ×5, first 2 shown]
	s_or_b32 exec_lo, exec_lo, s19
	s_wait_dscnt 0x0
	s_barrier_signal -1
	s_barrier_wait -1
	s_and_saveexec_b32 s19, s7
	s_cbranch_execz .LBB167_6
; %bb.40:                               ;   in Loop: Header=BB167_7 Depth=1
	ds_load_b64 v[12:13], v3
	s_wait_dscnt 0x0
	v_min_i32_e32 v2, v13, v12
	ds_store_b32 v3, v2
	s_branch .LBB167_6
.LBB167_41:                             ;   in Loop: Header=BB167_7 Depth=1
	s_branch .LBB167_19
.LBB167_42:                             ;   in Loop: Header=BB167_7 Depth=1
	s_branch .LBB167_23
.LBB167_43:
	s_endpgm
	.section	.rodata,"a",@progbits
	.p2align	6, 0x0
	.amdhsa_kernel _ZN9rocsparseL40csr2gebsr_block_per_row_multipass_kernelILj256ELj32ELj16E21rocsparse_complex_numIfEEEv20rocsparse_direction_iiiiii21rocsparse_index_base_PKT2_PKiS9_S4_PS5_PiSB_
		.amdhsa_group_segment_fixed_size 4100
		.amdhsa_private_segment_fixed_size 0
		.amdhsa_kernarg_size 88
		.amdhsa_user_sgpr_count 2
		.amdhsa_user_sgpr_dispatch_ptr 0
		.amdhsa_user_sgpr_queue_ptr 0
		.amdhsa_user_sgpr_kernarg_segment_ptr 1
		.amdhsa_user_sgpr_dispatch_id 0
		.amdhsa_user_sgpr_kernarg_preload_length 0
		.amdhsa_user_sgpr_kernarg_preload_offset 0
		.amdhsa_user_sgpr_private_segment_size 0
		.amdhsa_wavefront_size32 1
		.amdhsa_uses_dynamic_stack 0
		.amdhsa_enable_private_segment 0
		.amdhsa_system_sgpr_workgroup_id_x 1
		.amdhsa_system_sgpr_workgroup_id_y 0
		.amdhsa_system_sgpr_workgroup_id_z 0
		.amdhsa_system_sgpr_workgroup_info 0
		.amdhsa_system_vgpr_workitem_id 0
		.amdhsa_next_free_vgpr 32
		.amdhsa_next_free_sgpr 36
		.amdhsa_named_barrier_count 0
		.amdhsa_reserve_vcc 1
		.amdhsa_float_round_mode_32 0
		.amdhsa_float_round_mode_16_64 0
		.amdhsa_float_denorm_mode_32 3
		.amdhsa_float_denorm_mode_16_64 3
		.amdhsa_fp16_overflow 0
		.amdhsa_memory_ordered 1
		.amdhsa_forward_progress 1
		.amdhsa_inst_pref_size 15
		.amdhsa_round_robin_scheduling 0
		.amdhsa_exception_fp_ieee_invalid_op 0
		.amdhsa_exception_fp_denorm_src 0
		.amdhsa_exception_fp_ieee_div_zero 0
		.amdhsa_exception_fp_ieee_overflow 0
		.amdhsa_exception_fp_ieee_underflow 0
		.amdhsa_exception_fp_ieee_inexact 0
		.amdhsa_exception_int_div_zero 0
	.end_amdhsa_kernel
	.section	.text._ZN9rocsparseL40csr2gebsr_block_per_row_multipass_kernelILj256ELj32ELj16E21rocsparse_complex_numIfEEEv20rocsparse_direction_iiiiii21rocsparse_index_base_PKT2_PKiS9_S4_PS5_PiSB_,"axG",@progbits,_ZN9rocsparseL40csr2gebsr_block_per_row_multipass_kernelILj256ELj32ELj16E21rocsparse_complex_numIfEEEv20rocsparse_direction_iiiiii21rocsparse_index_base_PKT2_PKiS9_S4_PS5_PiSB_,comdat
.Lfunc_end167:
	.size	_ZN9rocsparseL40csr2gebsr_block_per_row_multipass_kernelILj256ELj32ELj16E21rocsparse_complex_numIfEEEv20rocsparse_direction_iiiiii21rocsparse_index_base_PKT2_PKiS9_S4_PS5_PiSB_, .Lfunc_end167-_ZN9rocsparseL40csr2gebsr_block_per_row_multipass_kernelILj256ELj32ELj16E21rocsparse_complex_numIfEEEv20rocsparse_direction_iiiiii21rocsparse_index_base_PKT2_PKiS9_S4_PS5_PiSB_
                                        ; -- End function
	.set _ZN9rocsparseL40csr2gebsr_block_per_row_multipass_kernelILj256ELj32ELj16E21rocsparse_complex_numIfEEEv20rocsparse_direction_iiiiii21rocsparse_index_base_PKT2_PKiS9_S4_PS5_PiSB_.num_vgpr, 32
	.set _ZN9rocsparseL40csr2gebsr_block_per_row_multipass_kernelILj256ELj32ELj16E21rocsparse_complex_numIfEEEv20rocsparse_direction_iiiiii21rocsparse_index_base_PKT2_PKiS9_S4_PS5_PiSB_.num_agpr, 0
	.set _ZN9rocsparseL40csr2gebsr_block_per_row_multipass_kernelILj256ELj32ELj16E21rocsparse_complex_numIfEEEv20rocsparse_direction_iiiiii21rocsparse_index_base_PKT2_PKiS9_S4_PS5_PiSB_.numbered_sgpr, 36
	.set _ZN9rocsparseL40csr2gebsr_block_per_row_multipass_kernelILj256ELj32ELj16E21rocsparse_complex_numIfEEEv20rocsparse_direction_iiiiii21rocsparse_index_base_PKT2_PKiS9_S4_PS5_PiSB_.num_named_barrier, 0
	.set _ZN9rocsparseL40csr2gebsr_block_per_row_multipass_kernelILj256ELj32ELj16E21rocsparse_complex_numIfEEEv20rocsparse_direction_iiiiii21rocsparse_index_base_PKT2_PKiS9_S4_PS5_PiSB_.private_seg_size, 0
	.set _ZN9rocsparseL40csr2gebsr_block_per_row_multipass_kernelILj256ELj32ELj16E21rocsparse_complex_numIfEEEv20rocsparse_direction_iiiiii21rocsparse_index_base_PKT2_PKiS9_S4_PS5_PiSB_.uses_vcc, 1
	.set _ZN9rocsparseL40csr2gebsr_block_per_row_multipass_kernelILj256ELj32ELj16E21rocsparse_complex_numIfEEEv20rocsparse_direction_iiiiii21rocsparse_index_base_PKT2_PKiS9_S4_PS5_PiSB_.uses_flat_scratch, 0
	.set _ZN9rocsparseL40csr2gebsr_block_per_row_multipass_kernelILj256ELj32ELj16E21rocsparse_complex_numIfEEEv20rocsparse_direction_iiiiii21rocsparse_index_base_PKT2_PKiS9_S4_PS5_PiSB_.has_dyn_sized_stack, 0
	.set _ZN9rocsparseL40csr2gebsr_block_per_row_multipass_kernelILj256ELj32ELj16E21rocsparse_complex_numIfEEEv20rocsparse_direction_iiiiii21rocsparse_index_base_PKT2_PKiS9_S4_PS5_PiSB_.has_recursion, 0
	.set _ZN9rocsparseL40csr2gebsr_block_per_row_multipass_kernelILj256ELj32ELj16E21rocsparse_complex_numIfEEEv20rocsparse_direction_iiiiii21rocsparse_index_base_PKT2_PKiS9_S4_PS5_PiSB_.has_indirect_call, 0
	.section	.AMDGPU.csdata,"",@progbits
; Kernel info:
; codeLenInByte = 1844
; TotalNumSgprs: 38
; NumVgprs: 32
; ScratchSize: 0
; MemoryBound: 0
; FloatMode: 240
; IeeeMode: 1
; LDSByteSize: 4100 bytes/workgroup (compile time only)
; SGPRBlocks: 0
; VGPRBlocks: 1
; NumSGPRsForWavesPerEU: 38
; NumVGPRsForWavesPerEU: 32
; NamedBarCnt: 0
; Occupancy: 16
; WaveLimiterHint : 0
; COMPUTE_PGM_RSRC2:SCRATCH_EN: 0
; COMPUTE_PGM_RSRC2:USER_SGPR: 2
; COMPUTE_PGM_RSRC2:TRAP_HANDLER: 0
; COMPUTE_PGM_RSRC2:TGID_X_EN: 1
; COMPUTE_PGM_RSRC2:TGID_Y_EN: 0
; COMPUTE_PGM_RSRC2:TGID_Z_EN: 0
; COMPUTE_PGM_RSRC2:TIDIG_COMP_CNT: 0
	.section	.text._ZN9rocsparseL40csr2gebsr_block_per_row_multipass_kernelILj256ELj32ELj32E21rocsparse_complex_numIfEEEv20rocsparse_direction_iiiiii21rocsparse_index_base_PKT2_PKiS9_S4_PS5_PiSB_,"axG",@progbits,_ZN9rocsparseL40csr2gebsr_block_per_row_multipass_kernelILj256ELj32ELj32E21rocsparse_complex_numIfEEEv20rocsparse_direction_iiiiii21rocsparse_index_base_PKT2_PKiS9_S4_PS5_PiSB_,comdat
	.globl	_ZN9rocsparseL40csr2gebsr_block_per_row_multipass_kernelILj256ELj32ELj32E21rocsparse_complex_numIfEEEv20rocsparse_direction_iiiiii21rocsparse_index_base_PKT2_PKiS9_S4_PS5_PiSB_ ; -- Begin function _ZN9rocsparseL40csr2gebsr_block_per_row_multipass_kernelILj256ELj32ELj32E21rocsparse_complex_numIfEEEv20rocsparse_direction_iiiiii21rocsparse_index_base_PKT2_PKiS9_S4_PS5_PiSB_
	.p2align	8
	.type	_ZN9rocsparseL40csr2gebsr_block_per_row_multipass_kernelILj256ELj32ELj32E21rocsparse_complex_numIfEEEv20rocsparse_direction_iiiiii21rocsparse_index_base_PKT2_PKiS9_S4_PS5_PiSB_,@function
_ZN9rocsparseL40csr2gebsr_block_per_row_multipass_kernelILj256ELj32ELj32E21rocsparse_complex_numIfEEEv20rocsparse_direction_iiiiii21rocsparse_index_base_PKT2_PKiS9_S4_PS5_PiSB_: ; @_ZN9rocsparseL40csr2gebsr_block_per_row_multipass_kernelILj256ELj32ELj32E21rocsparse_complex_numIfEEEv20rocsparse_direction_iiiiii21rocsparse_index_base_PKT2_PKiS9_S4_PS5_PiSB_
; %bb.0:
	s_clause 0x1
	s_load_b128 s[12:15], s[0:1], 0x10
	s_load_b64 s[28:29], s[0:1], 0x0
	s_bfe_u32 s2, ttmp6, 0x4000c
	s_and_b32 s3, ttmp6, 15
	s_add_co_i32 s2, s2, 1
	s_getreg_b32 s4, hwreg(HW_REG_IB_STS2, 6, 4)
	s_mul_i32 s2, ttmp9, s2
	v_dual_mov_b32 v22, 0 :: v_dual_lshrrev_b32 v1, 3, v0
	s_add_co_i32 s3, s3, s2
	s_cmp_eq_u32 s4, 0
	s_load_b64 s[6:7], s[0:1], 0x28
	s_cselect_b32 s4, ttmp9, s3
	v_mov_b32_e32 v30, 0
	s_wait_kmcnt 0x0
	v_mad_u32 v2, s13, s4, v1
	v_cmp_gt_i32_e32 vcc_lo, s13, v1
	s_delay_alu instid0(VALU_DEP_2) | instskip(SKIP_1) | instid1(SALU_CYCLE_1)
	v_cmp_gt_i32_e64 s2, s29, v2
	s_and_b32 s2, vcc_lo, s2
	s_and_saveexec_b32 s3, s2
	s_cbranch_execnz .LBB168_3
; %bb.1:
	s_or_b32 exec_lo, exec_lo, s3
	s_and_saveexec_b32 s3, s2
	s_cbranch_execnz .LBB168_4
.LBB168_2:
	s_or_b32 exec_lo, exec_lo, s3
	s_cmp_lt_i32 s12, 1
	s_cbranch_scc0 .LBB168_5
	s_branch .LBB168_53
.LBB168_3:
	global_load_b32 v3, v2, s[6:7] scale_offset
	s_wait_loadcnt 0x0
	v_subrev_nc_u32_e32 v30, s15, v3
	s_or_b32 exec_lo, exec_lo, s3
	s_and_saveexec_b32 s3, s2
	s_cbranch_execz .LBB168_2
.LBB168_4:
	global_load_b32 v2, v2, s[6:7] offset:4 scale_offset
	s_wait_loadcnt 0x0
	v_subrev_nc_u32_e32 v22, s15, v2
	s_or_b32 exec_lo, exec_lo, s3
	s_cmp_lt_i32 s12, 1
	s_cbranch_scc1 .LBB168_53
.LBB168_5:
	s_clause 0x3
	s_load_b128 s[8:11], s[0:1], 0x40
	s_load_b64 s[20:21], s[0:1], 0x50
	s_load_b96 s[16:18], s[0:1], 0x30
	s_load_b64 s[22:23], s[0:1], 0x20
	s_ashr_i32 s5, s4, 31
	v_mbcnt_lo_u32_b32 v5, -1, 0
	s_lshl_b64 s[4:5], s[4:5], 2
	v_dual_lshlrev_b32 v24, 8, v1 :: v_dual_bitop2_b32 v23, 7, v0 bitop3:0x40
	v_dual_mov_b32 v3, 0 :: v_dual_lshlrev_b32 v2, 3, v1
	v_mul_lo_u32 v4, s14, v1
	v_dual_lshlrev_b32 v25, 2, v0 :: v_dual_bitop2_b32 v1, 4, v5 bitop3:0x14
	s_delay_alu instid0(VALU_DEP_4) | instskip(SKIP_2) | instid1(VALU_DEP_2)
	v_dual_lshlrev_b32 v14, 3, v23 :: v_dual_bitop2_b32 v6, 2, v5 bitop3:0x14
	s_mov_b32 s25, 0
	s_mov_b32 s24, s13
	v_cmp_gt_i32_e64 s6, 32, v1
	s_mov_b32 s26, s14
	s_wait_kmcnt 0x0
	s_add_nc_u64 s[4:5], s[10:11], s[4:5]
	v_lshl_or_b32 v26, v5, 2, 28
	s_load_b32 s7, s[4:5], 0x0
	v_cndmask_b32_e64 v1, v5, v1, s6
	v_cmp_gt_i32_e64 s6, 32, v6
	v_xor_b32_e32 v7, 1, v5
	v_mul_lo_u32 v8, v23, s13
	v_cmp_gt_u32_e64 s0, 0x80, v0
	s_delay_alu instid0(VALU_DEP_4) | instskip(NEXT) | instid1(VALU_DEP_4)
	v_dual_mov_b32 v15, v3 :: v_dual_cndmask_b32 v6, v5, v6, s6
	v_cmp_gt_i32_e64 s6, 32, v7
	v_cmp_gt_u32_e64 s1, 64, v0
	v_cmp_gt_u32_e64 s2, 32, v0
	v_cmp_gt_u32_e64 s3, 16, v0
	s_delay_alu instid0(VALU_DEP_4)
	v_dual_lshlrev_b32 v28, 2, v6 :: v_dual_cndmask_b32 v7, v5, v7, s6
	v_dual_ashrrev_i32 v5, 31, v4 :: v_dual_lshlrev_b32 v27, 2, v1
	v_or_b32_e32 v1, 8, v23
	s_wait_xcnt 0x0
	v_cmp_gt_u32_e64 s4, 8, v0
	v_dual_lshlrev_b32 v29, 2, v7 :: v_dual_mov_b32 v9, v3
	s_wait_kmcnt 0x0
	s_sub_co_i32 s10, s7, s18
	s_cmp_lg_u32 s28, 0
	v_lshl_add_u64 v[6:7], v[4:5], 3, s[8:9]
	s_cselect_b32 s19, -1, 0
	s_ashr_i32 s27, s14, 31
	v_add_nc_u64_e32 v[4:5], s[8:9], v[2:3]
	s_mul_u64 s[28:29], s[26:27], s[24:25]
	s_abs_i32 s26, s14
	v_cmp_gt_u32_e64 s9, s14, v1
	s_cvt_f32_u32 s11, s26
	v_cmp_gt_u32_e64 s5, 4, v0
	v_cmp_gt_u32_e64 s8, s14, v23
	;; [unrolled: 1-line block ×3, first 2 shown]
	v_rcp_iflag_f32_e32 v1, s11
	s_lshl_b32 s11, s13, 3
	v_cmp_eq_u32_e64 s7, 0, v0
	v_dual_add_nc_u32 v0, s11, v8 :: v_dual_bitop2_b32 v2, 16, v23 bitop3:0x54
	s_and_b32 s30, vcc_lo, s8
	v_add_nc_u64_e32 v[6:7], v[6:7], v[14:15]
	s_delay_alu instid0(TRANS32_DEP_1)
	v_readfirstlane_b32 s13, v1
	v_mov_b32_e32 v1, v3
	v_cmp_gt_u32_e64 s8, s14, v2
	v_dual_add_nc_u32 v10, s11, v0 :: v_dual_bitop2_b32 v2, 24, v23 bitop3:0x54
	s_mul_f32 s24, s13, 0x4f7ffffe
	v_mov_b32_e32 v11, v3
	s_and_b32 s13, vcc_lo, s8
	s_delay_alu instid0(VALU_DEP_2)
	v_cmp_gt_u32_e64 s8, s14, v2
	s_cvt_u32_f32 s24, s24
	v_add_nc_u32_e32 v12, s11, v10
	s_sub_co_i32 s11, 0, s26
	v_dual_mov_b32 v13, v3 :: v_dual_add_nc_u32 v31, v14, v24
	v_mov_b64_e32 v[14:15], 0
	s_mul_i32 s11, s11, s24
	v_dual_mov_b32 v32, 1 :: v_dual_mov_b32 v18, 0
	s_mul_hi_u32 s11, s24, s11
	s_and_b32 s9, vcc_lo, s9
	s_and_b32 s31, vcc_lo, s8
	s_add_co_i32 s24, s24, s11
	s_branch .LBB168_7
.LBB168_6:                              ;   in Loop: Header=BB168_7 Depth=1
	s_or_b32 exec_lo, exec_lo, s11
	s_wait_dscnt 0x0
	s_barrier_signal -1
	s_barrier_wait -1
	ds_load_b32 v18, v3
	s_add_co_i32 s10, s8, s10
	s_wait_dscnt 0x0
	s_barrier_signal -1
	s_barrier_wait -1
	v_cmp_gt_i32_e32 vcc_lo, s12, v18
	s_cbranch_vccz .LBB168_53
.LBB168_7:                              ; =>This Loop Header: Depth=1
                                        ;     Child Loop BB168_10 Depth 2
	v_dual_mov_b32 v33, s12 :: v_dual_add_nc_u32 v16, v30, v23
	v_mov_b32_e32 v17, v22
	s_mov_b32 s11, exec_lo
	ds_store_b8 v3, v3 offset:8192
	ds_store_2addr_b64 v31, v[14:15], v[14:15] offset1:8
	ds_store_2addr_b64 v31, v[14:15], v[14:15] offset0:16 offset1:24
	s_wait_dscnt 0x0
	s_barrier_signal -1
	s_barrier_wait -1
	v_cmpx_lt_i32_e64 v16, v22
	s_cbranch_execz .LBB168_15
; %bb.8:                                ;   in Loop: Header=BB168_7 Depth=1
	v_mul_lo_u32 v19, v18, s14
	v_dual_mov_b32 v33, s12 :: v_dual_mov_b32 v17, v22
	s_mov_b32 s33, 0
	s_branch .LBB168_10
.LBB168_9:                              ;   in Loop: Header=BB168_10 Depth=2
	s_wait_xcnt 0x0
	s_or_b32 exec_lo, exec_lo, s8
	v_add_nc_u32_e32 v16, 8, v16
	s_xor_b32 s34, vcc_lo, -1
	s_delay_alu instid0(VALU_DEP_1) | instskip(SKIP_1) | instid1(SALU_CYCLE_1)
	v_cmp_ge_i32_e64 s8, v16, v22
	s_or_b32 s8, s34, s8
	s_and_b32 s8, exec_lo, s8
	s_delay_alu instid0(SALU_CYCLE_1) | instskip(NEXT) | instid1(SALU_CYCLE_1)
	s_or_b32 s33, s8, s33
	s_and_not1_b32 exec_lo, exec_lo, s33
	s_cbranch_execz .LBB168_14
.LBB168_10:                             ;   Parent Loop BB168_7 Depth=1
                                        ; =>  This Inner Loop Header: Depth=2
	global_load_b32 v2, v16, s[16:17] scale_offset
	s_wait_loadcnt 0x0
	v_subrev_nc_u32_e32 v20, s15, v2
	s_delay_alu instid0(VALU_DEP_1) | instskip(NEXT) | instid1(VALU_DEP_1)
	v_sub_nc_u32_e32 v2, 0, v20
	v_max_i32_e32 v2, v20, v2
	s_delay_alu instid0(VALU_DEP_1) | instskip(SKIP_1) | instid1(VALU_DEP_1)
	v_mul_u64_e32 v[34:35], s[24:25], v[2:3]
	v_ashrrev_i32_e32 v34, 31, v20
	v_xor_b32_e32 v34, s27, v34
	s_delay_alu instid0(VALU_DEP_3) | instskip(NEXT) | instid1(VALU_DEP_1)
	v_mul_lo_u32 v21, v35, s26
	v_dual_sub_nc_u32 v2, v2, v21 :: v_dual_add_nc_u32 v21, 1, v35
	s_delay_alu instid0(VALU_DEP_1) | instskip(SKIP_1) | instid1(VALU_DEP_2)
	v_subrev_nc_u32_e32 v30, s26, v2
	v_cmp_le_u32_e32 vcc_lo, s26, v2
	v_dual_cndmask_b32 v21, v35, v21 :: v_dual_cndmask_b32 v2, v2, v30
	s_delay_alu instid0(VALU_DEP_1) | instskip(NEXT) | instid1(VALU_DEP_2)
	v_add_nc_u32_e32 v30, 1, v21
	v_cmp_le_u32_e32 vcc_lo, s26, v2
	s_delay_alu instid0(VALU_DEP_2) | instskip(NEXT) | instid1(VALU_DEP_1)
	v_cndmask_b32_e32 v2, v21, v30, vcc_lo
	v_xor_b32_e32 v2, v2, v34
	s_delay_alu instid0(VALU_DEP_1) | instskip(NEXT) | instid1(VALU_DEP_1)
	v_dual_mov_b32 v2, v17 :: v_dual_sub_nc_u32 v21, v2, v34
	v_cmp_ne_u32_e64 s8, v21, v18
	v_cmp_eq_u32_e32 vcc_lo, v21, v18
	s_wait_xcnt 0x0
	s_and_saveexec_b32 s34, s8
	s_delay_alu instid0(SALU_CYCLE_1)
	s_xor_b32 s8, exec_lo, s34
; %bb.11:                               ;   in Loop: Header=BB168_10 Depth=2
	v_min_i32_e32 v33, v21, v33
                                        ; implicit-def: $vgpr20
                                        ; implicit-def: $vgpr2
; %bb.12:                               ;   in Loop: Header=BB168_10 Depth=2
	s_or_saveexec_b32 s8, s8
	v_mov_b32_e32 v17, v16
	s_xor_b32 exec_lo, exec_lo, s8
	s_cbranch_execz .LBB168_9
; %bb.13:                               ;   in Loop: Header=BB168_10 Depth=2
	v_ashrrev_i32_e32 v17, 31, v16
	s_delay_alu instid0(VALU_DEP_1)
	v_lshl_add_u64 v[34:35], v[16:17], 3, s[22:23]
	v_sub_nc_u32_e32 v17, v20, v19
	global_load_b64 v[34:35], v[34:35], off
	v_lshl_add_u32 v20, v17, 3, v24
	v_mov_b32_e32 v17, v2
	ds_store_b8 v3, v32 offset:8192
	s_wait_loadcnt 0x0
	ds_store_b64 v20, v[34:35]
	s_branch .LBB168_9
.LBB168_14:                             ;   in Loop: Header=BB168_7 Depth=1
	s_or_b32 exec_lo, exec_lo, s33
.LBB168_15:                             ;   in Loop: Header=BB168_7 Depth=1
	s_delay_alu instid0(SALU_CYCLE_1)
	s_or_b32 exec_lo, exec_lo, s11
	ds_bpermute_b32 v2, v27, v17
	s_wait_dscnt 0x0
	s_barrier_signal -1
	s_barrier_wait -1
	s_mov_b32 s8, 0
	v_min_i32_e32 v2, v2, v17
	ds_load_u8 v17, v3 offset:8192
	ds_bpermute_b32 v16, v28, v2
	s_wait_dscnt 0x0
	v_min_i32_e32 v2, v16, v2
	ds_bpermute_b32 v16, v29, v2
	s_wait_dscnt 0x0
	v_min_i32_e32 v2, v16, v2
	ds_bpermute_b32 v30, v26, v2
	v_and_b32_e32 v2, 1, v17
	s_delay_alu instid0(VALU_DEP_1)
	v_cmp_eq_u32_e32 vcc_lo, 0, v2
	s_cbranch_vccnz .LBB168_33
; %bb.16:                               ;   in Loop: Header=BB168_7 Depth=1
	s_ashr_i32 s11, s10, 31
	v_dual_add_nc_u32 v2, s18, v18 :: v_dual_mov_b32 v20, s10
	s_mul_u64 s[34:35], s[28:29], s[10:11]
	s_delay_alu instid0(SALU_CYCLE_1) | instskip(NEXT) | instid1(SALU_CYCLE_1)
	s_lshl_b64 s[34:35], s[34:35], 3
	v_add_nc_u64_e32 v[18:19], s[34:35], v[4:5]
	v_add_nc_u64_e32 v[16:17], s[34:35], v[6:7]
	global_store_b32 v20, v2, s[20:21] scale_offset
	s_wait_xcnt 0x0
	s_and_saveexec_b32 s8, s30
	s_cbranch_execz .LBB168_20
; %bb.17:                               ;   in Loop: Header=BB168_7 Depth=1
	s_and_b32 vcc_lo, exec_lo, s19
	s_cbranch_vccz .LBB168_49
; %bb.18:                               ;   in Loop: Header=BB168_7 Depth=1
	ds_load_b64 v[20:21], v31
	v_lshl_add_u64 v[34:35], v[8:9], 3, v[18:19]
	s_wait_dscnt 0x0
	global_store_b64 v[34:35], v[20:21], off
	s_cbranch_execnz .LBB168_20
.LBB168_19:                             ;   in Loop: Header=BB168_7 Depth=1
	s_wait_xcnt 0x0
	ds_load_b64 v[20:21], v31
	s_wait_dscnt 0x0
	global_store_b64 v[16:17], v[20:21], off
.LBB168_20:                             ;   in Loop: Header=BB168_7 Depth=1
	s_wait_xcnt 0x0
	s_or_b32 exec_lo, exec_lo, s8
	s_and_saveexec_b32 s8, s9
	s_cbranch_execz .LBB168_24
; %bb.21:                               ;   in Loop: Header=BB168_7 Depth=1
	ds_load_b64 v[20:21], v31 offset:64
	s_and_not1_b32 vcc_lo, exec_lo, s19
	s_cbranch_vccnz .LBB168_50
; %bb.22:                               ;   in Loop: Header=BB168_7 Depth=1
	v_lshl_add_u64 v[34:35], v[0:1], 3, v[18:19]
	s_wait_dscnt 0x0
	global_store_b64 v[34:35], v[20:21], off
	s_cbranch_execnz .LBB168_24
.LBB168_23:                             ;   in Loop: Header=BB168_7 Depth=1
	s_wait_dscnt 0x0
	global_store_b64 v[16:17], v[20:21], off offset:64
.LBB168_24:                             ;   in Loop: Header=BB168_7 Depth=1
	s_wait_xcnt 0x0
	s_or_b32 exec_lo, exec_lo, s8
	s_and_saveexec_b32 s8, s13
	s_cbranch_execz .LBB168_28
; %bb.25:                               ;   in Loop: Header=BB168_7 Depth=1
	s_wait_dscnt 0x0
	ds_load_b64 v[20:21], v31 offset:128
	s_and_not1_b32 vcc_lo, exec_lo, s19
	s_cbranch_vccnz .LBB168_51
; %bb.26:                               ;   in Loop: Header=BB168_7 Depth=1
	v_lshl_add_u64 v[34:35], v[10:11], 3, v[18:19]
	s_wait_dscnt 0x0
	global_store_b64 v[34:35], v[20:21], off
	s_cbranch_execnz .LBB168_28
.LBB168_27:                             ;   in Loop: Header=BB168_7 Depth=1
	s_wait_dscnt 0x0
	global_store_b64 v[16:17], v[20:21], off offset:128
.LBB168_28:                             ;   in Loop: Header=BB168_7 Depth=1
	s_wait_xcnt 0x0
	s_or_b32 exec_lo, exec_lo, s8
	s_and_saveexec_b32 s8, s31
	s_cbranch_execz .LBB168_32
; %bb.29:                               ;   in Loop: Header=BB168_7 Depth=1
	s_wait_dscnt 0x0
	ds_load_b64 v[20:21], v31 offset:192
	s_and_not1_b32 vcc_lo, exec_lo, s19
	s_cbranch_vccnz .LBB168_52
; %bb.30:                               ;   in Loop: Header=BB168_7 Depth=1
	v_lshl_add_u64 v[18:19], v[12:13], 3, v[18:19]
	s_wait_dscnt 0x0
	global_store_b64 v[18:19], v[20:21], off
	s_cbranch_execnz .LBB168_32
.LBB168_31:                             ;   in Loop: Header=BB168_7 Depth=1
	s_wait_dscnt 0x0
	global_store_b64 v[16:17], v[20:21], off offset:192
.LBB168_32:                             ;   in Loop: Header=BB168_7 Depth=1
	s_wait_xcnt 0x0
	s_or_b32 exec_lo, exec_lo, s8
	s_mov_b32 s8, 1
.LBB168_33:                             ;   in Loop: Header=BB168_7 Depth=1
	s_wait_storecnt_dscnt 0x0
	s_barrier_signal -1
	s_barrier_wait -1
	ds_store_b32 v25, v33
	s_wait_dscnt 0x0
	s_barrier_signal -1
	s_barrier_wait -1
	s_and_saveexec_b32 s11, s0
	s_cbranch_execz .LBB168_35
; %bb.34:                               ;   in Loop: Header=BB168_7 Depth=1
	ds_load_2addr_stride64_b32 v[16:17], v25 offset1:2
	s_wait_dscnt 0x0
	v_min_i32_e32 v2, v17, v16
	ds_store_b32 v25, v2
.LBB168_35:                             ;   in Loop: Header=BB168_7 Depth=1
	s_or_b32 exec_lo, exec_lo, s11
	s_wait_dscnt 0x0
	s_barrier_signal -1
	s_barrier_wait -1
	s_and_saveexec_b32 s11, s1
	s_cbranch_execz .LBB168_37
; %bb.36:                               ;   in Loop: Header=BB168_7 Depth=1
	ds_load_2addr_stride64_b32 v[16:17], v25 offset1:1
	s_wait_dscnt 0x0
	v_min_i32_e32 v2, v17, v16
	ds_store_b32 v25, v2
.LBB168_37:                             ;   in Loop: Header=BB168_7 Depth=1
	s_or_b32 exec_lo, exec_lo, s11
	s_wait_dscnt 0x0
	s_barrier_signal -1
	s_barrier_wait -1
	s_and_saveexec_b32 s11, s2
	s_cbranch_execz .LBB168_39
; %bb.38:                               ;   in Loop: Header=BB168_7 Depth=1
	ds_load_2addr_b32 v[16:17], v25 offset1:32
	s_wait_dscnt 0x0
	v_min_i32_e32 v2, v17, v16
	ds_store_b32 v25, v2
.LBB168_39:                             ;   in Loop: Header=BB168_7 Depth=1
	s_or_b32 exec_lo, exec_lo, s11
	s_wait_dscnt 0x0
	s_barrier_signal -1
	s_barrier_wait -1
	s_and_saveexec_b32 s11, s3
	s_cbranch_execz .LBB168_41
; %bb.40:                               ;   in Loop: Header=BB168_7 Depth=1
	ds_load_2addr_b32 v[16:17], v25 offset1:16
	s_wait_dscnt 0x0
	v_min_i32_e32 v2, v17, v16
	ds_store_b32 v25, v2
.LBB168_41:                             ;   in Loop: Header=BB168_7 Depth=1
	;; [unrolled: 12-line block ×5, first 2 shown]
	s_or_b32 exec_lo, exec_lo, s11
	s_wait_dscnt 0x0
	s_barrier_signal -1
	s_barrier_wait -1
	s_and_saveexec_b32 s11, s7
	s_cbranch_execz .LBB168_6
; %bb.48:                               ;   in Loop: Header=BB168_7 Depth=1
	ds_load_b64 v[16:17], v3
	s_wait_dscnt 0x0
	v_min_i32_e32 v2, v17, v16
	ds_store_b32 v3, v2
	s_branch .LBB168_6
.LBB168_49:                             ;   in Loop: Header=BB168_7 Depth=1
	s_branch .LBB168_19
.LBB168_50:                             ;   in Loop: Header=BB168_7 Depth=1
	s_branch .LBB168_23
.LBB168_51:                             ;   in Loop: Header=BB168_7 Depth=1
	s_branch .LBB168_27
.LBB168_52:                             ;   in Loop: Header=BB168_7 Depth=1
	s_branch .LBB168_31
.LBB168_53:
	s_endpgm
	.section	.rodata,"a",@progbits
	.p2align	6, 0x0
	.amdhsa_kernel _ZN9rocsparseL40csr2gebsr_block_per_row_multipass_kernelILj256ELj32ELj32E21rocsparse_complex_numIfEEEv20rocsparse_direction_iiiiii21rocsparse_index_base_PKT2_PKiS9_S4_PS5_PiSB_
		.amdhsa_group_segment_fixed_size 8196
		.amdhsa_private_segment_fixed_size 0
		.amdhsa_kernarg_size 88
		.amdhsa_user_sgpr_count 2
		.amdhsa_user_sgpr_dispatch_ptr 0
		.amdhsa_user_sgpr_queue_ptr 0
		.amdhsa_user_sgpr_kernarg_segment_ptr 1
		.amdhsa_user_sgpr_dispatch_id 0
		.amdhsa_user_sgpr_kernarg_preload_length 0
		.amdhsa_user_sgpr_kernarg_preload_offset 0
		.amdhsa_user_sgpr_private_segment_size 0
		.amdhsa_wavefront_size32 1
		.amdhsa_uses_dynamic_stack 0
		.amdhsa_enable_private_segment 0
		.amdhsa_system_sgpr_workgroup_id_x 1
		.amdhsa_system_sgpr_workgroup_id_y 0
		.amdhsa_system_sgpr_workgroup_id_z 0
		.amdhsa_system_sgpr_workgroup_info 0
		.amdhsa_system_vgpr_workitem_id 0
		.amdhsa_next_free_vgpr 36
		.amdhsa_next_free_sgpr 36
		.amdhsa_named_barrier_count 0
		.amdhsa_reserve_vcc 1
		.amdhsa_float_round_mode_32 0
		.amdhsa_float_round_mode_16_64 0
		.amdhsa_float_denorm_mode_32 3
		.amdhsa_float_denorm_mode_16_64 3
		.amdhsa_fp16_overflow 0
		.amdhsa_memory_ordered 1
		.amdhsa_forward_progress 1
		.amdhsa_inst_pref_size 17
		.amdhsa_round_robin_scheduling 0
		.amdhsa_exception_fp_ieee_invalid_op 0
		.amdhsa_exception_fp_denorm_src 0
		.amdhsa_exception_fp_ieee_div_zero 0
		.amdhsa_exception_fp_ieee_overflow 0
		.amdhsa_exception_fp_ieee_underflow 0
		.amdhsa_exception_fp_ieee_inexact 0
		.amdhsa_exception_int_div_zero 0
	.end_amdhsa_kernel
	.section	.text._ZN9rocsparseL40csr2gebsr_block_per_row_multipass_kernelILj256ELj32ELj32E21rocsparse_complex_numIfEEEv20rocsparse_direction_iiiiii21rocsparse_index_base_PKT2_PKiS9_S4_PS5_PiSB_,"axG",@progbits,_ZN9rocsparseL40csr2gebsr_block_per_row_multipass_kernelILj256ELj32ELj32E21rocsparse_complex_numIfEEEv20rocsparse_direction_iiiiii21rocsparse_index_base_PKT2_PKiS9_S4_PS5_PiSB_,comdat
.Lfunc_end168:
	.size	_ZN9rocsparseL40csr2gebsr_block_per_row_multipass_kernelILj256ELj32ELj32E21rocsparse_complex_numIfEEEv20rocsparse_direction_iiiiii21rocsparse_index_base_PKT2_PKiS9_S4_PS5_PiSB_, .Lfunc_end168-_ZN9rocsparseL40csr2gebsr_block_per_row_multipass_kernelILj256ELj32ELj32E21rocsparse_complex_numIfEEEv20rocsparse_direction_iiiiii21rocsparse_index_base_PKT2_PKiS9_S4_PS5_PiSB_
                                        ; -- End function
	.set _ZN9rocsparseL40csr2gebsr_block_per_row_multipass_kernelILj256ELj32ELj32E21rocsparse_complex_numIfEEEv20rocsparse_direction_iiiiii21rocsparse_index_base_PKT2_PKiS9_S4_PS5_PiSB_.num_vgpr, 36
	.set _ZN9rocsparseL40csr2gebsr_block_per_row_multipass_kernelILj256ELj32ELj32E21rocsparse_complex_numIfEEEv20rocsparse_direction_iiiiii21rocsparse_index_base_PKT2_PKiS9_S4_PS5_PiSB_.num_agpr, 0
	.set _ZN9rocsparseL40csr2gebsr_block_per_row_multipass_kernelILj256ELj32ELj32E21rocsparse_complex_numIfEEEv20rocsparse_direction_iiiiii21rocsparse_index_base_PKT2_PKiS9_S4_PS5_PiSB_.numbered_sgpr, 36
	.set _ZN9rocsparseL40csr2gebsr_block_per_row_multipass_kernelILj256ELj32ELj32E21rocsparse_complex_numIfEEEv20rocsparse_direction_iiiiii21rocsparse_index_base_PKT2_PKiS9_S4_PS5_PiSB_.num_named_barrier, 0
	.set _ZN9rocsparseL40csr2gebsr_block_per_row_multipass_kernelILj256ELj32ELj32E21rocsparse_complex_numIfEEEv20rocsparse_direction_iiiiii21rocsparse_index_base_PKT2_PKiS9_S4_PS5_PiSB_.private_seg_size, 0
	.set _ZN9rocsparseL40csr2gebsr_block_per_row_multipass_kernelILj256ELj32ELj32E21rocsparse_complex_numIfEEEv20rocsparse_direction_iiiiii21rocsparse_index_base_PKT2_PKiS9_S4_PS5_PiSB_.uses_vcc, 1
	.set _ZN9rocsparseL40csr2gebsr_block_per_row_multipass_kernelILj256ELj32ELj32E21rocsparse_complex_numIfEEEv20rocsparse_direction_iiiiii21rocsparse_index_base_PKT2_PKiS9_S4_PS5_PiSB_.uses_flat_scratch, 0
	.set _ZN9rocsparseL40csr2gebsr_block_per_row_multipass_kernelILj256ELj32ELj32E21rocsparse_complex_numIfEEEv20rocsparse_direction_iiiiii21rocsparse_index_base_PKT2_PKiS9_S4_PS5_PiSB_.has_dyn_sized_stack, 0
	.set _ZN9rocsparseL40csr2gebsr_block_per_row_multipass_kernelILj256ELj32ELj32E21rocsparse_complex_numIfEEEv20rocsparse_direction_iiiiii21rocsparse_index_base_PKT2_PKiS9_S4_PS5_PiSB_.has_recursion, 0
	.set _ZN9rocsparseL40csr2gebsr_block_per_row_multipass_kernelILj256ELj32ELj32E21rocsparse_complex_numIfEEEv20rocsparse_direction_iiiiii21rocsparse_index_base_PKT2_PKiS9_S4_PS5_PiSB_.has_indirect_call, 0
	.section	.AMDGPU.csdata,"",@progbits
; Kernel info:
; codeLenInByte = 2084
; TotalNumSgprs: 38
; NumVgprs: 36
; ScratchSize: 0
; MemoryBound: 0
; FloatMode: 240
; IeeeMode: 1
; LDSByteSize: 8196 bytes/workgroup (compile time only)
; SGPRBlocks: 0
; VGPRBlocks: 2
; NumSGPRsForWavesPerEU: 38
; NumVGPRsForWavesPerEU: 36
; NamedBarCnt: 0
; Occupancy: 16
; WaveLimiterHint : 0
; COMPUTE_PGM_RSRC2:SCRATCH_EN: 0
; COMPUTE_PGM_RSRC2:USER_SGPR: 2
; COMPUTE_PGM_RSRC2:TRAP_HANDLER: 0
; COMPUTE_PGM_RSRC2:TGID_X_EN: 1
; COMPUTE_PGM_RSRC2:TGID_Y_EN: 0
; COMPUTE_PGM_RSRC2:TGID_Z_EN: 0
; COMPUTE_PGM_RSRC2:TIDIG_COMP_CNT: 0
	.section	.text._ZN9rocsparseL40csr2gebsr_block_per_row_multipass_kernelILj256ELj32ELj64E21rocsparse_complex_numIfEEEv20rocsparse_direction_iiiiii21rocsparse_index_base_PKT2_PKiS9_S4_PS5_PiSB_,"axG",@progbits,_ZN9rocsparseL40csr2gebsr_block_per_row_multipass_kernelILj256ELj32ELj64E21rocsparse_complex_numIfEEEv20rocsparse_direction_iiiiii21rocsparse_index_base_PKT2_PKiS9_S4_PS5_PiSB_,comdat
	.globl	_ZN9rocsparseL40csr2gebsr_block_per_row_multipass_kernelILj256ELj32ELj64E21rocsparse_complex_numIfEEEv20rocsparse_direction_iiiiii21rocsparse_index_base_PKT2_PKiS9_S4_PS5_PiSB_ ; -- Begin function _ZN9rocsparseL40csr2gebsr_block_per_row_multipass_kernelILj256ELj32ELj64E21rocsparse_complex_numIfEEEv20rocsparse_direction_iiiiii21rocsparse_index_base_PKT2_PKiS9_S4_PS5_PiSB_
	.p2align	8
	.type	_ZN9rocsparseL40csr2gebsr_block_per_row_multipass_kernelILj256ELj32ELj64E21rocsparse_complex_numIfEEEv20rocsparse_direction_iiiiii21rocsparse_index_base_PKT2_PKiS9_S4_PS5_PiSB_,@function
_ZN9rocsparseL40csr2gebsr_block_per_row_multipass_kernelILj256ELj32ELj64E21rocsparse_complex_numIfEEEv20rocsparse_direction_iiiiii21rocsparse_index_base_PKT2_PKiS9_S4_PS5_PiSB_: ; @_ZN9rocsparseL40csr2gebsr_block_per_row_multipass_kernelILj256ELj32ELj64E21rocsparse_complex_numIfEEEv20rocsparse_direction_iiiiii21rocsparse_index_base_PKT2_PKiS9_S4_PS5_PiSB_
; %bb.0:
	s_clause 0x1
	s_load_b128 s[12:15], s[0:1], 0x10
	s_load_b64 s[28:29], s[0:1], 0x0
	s_bfe_u32 s2, ttmp6, 0x4000c
	s_and_b32 s3, ttmp6, 15
	s_add_co_i32 s2, s2, 1
	s_getreg_b32 s4, hwreg(HW_REG_IB_STS2, 6, 4)
	s_mul_i32 s2, ttmp9, s2
	v_dual_mov_b32 v30, 0 :: v_dual_lshrrev_b32 v1, 3, v0
	s_add_co_i32 s3, s3, s2
	s_cmp_eq_u32 s4, 0
	s_load_b64 s[6:7], s[0:1], 0x28
	s_cselect_b32 s4, ttmp9, s3
	v_mov_b32_e32 v38, 0
	s_wait_kmcnt 0x0
	v_mad_u32 v2, s13, s4, v1
	v_cmp_gt_i32_e32 vcc_lo, s13, v1
	s_delay_alu instid0(VALU_DEP_2) | instskip(SKIP_1) | instid1(SALU_CYCLE_1)
	v_cmp_gt_i32_e64 s2, s29, v2
	s_and_b32 s2, vcc_lo, s2
	s_and_saveexec_b32 s3, s2
	s_cbranch_execnz .LBB169_3
; %bb.1:
	s_or_b32 exec_lo, exec_lo, s3
	s_and_saveexec_b32 s3, s2
	s_cbranch_execnz .LBB169_4
.LBB169_2:
	s_or_b32 exec_lo, exec_lo, s3
	s_cmp_lt_i32 s12, 1
	s_cbranch_scc0 .LBB169_5
	s_branch .LBB169_73
.LBB169_3:
	global_load_b32 v3, v2, s[6:7] scale_offset
	s_wait_loadcnt 0x0
	v_subrev_nc_u32_e32 v38, s15, v3
	s_or_b32 exec_lo, exec_lo, s3
	s_and_saveexec_b32 s3, s2
	s_cbranch_execz .LBB169_2
.LBB169_4:
	global_load_b32 v2, v2, s[6:7] offset:4 scale_offset
	s_wait_loadcnt 0x0
	v_subrev_nc_u32_e32 v30, s15, v2
	s_or_b32 exec_lo, exec_lo, s3
	s_cmp_lt_i32 s12, 1
	s_cbranch_scc1 .LBB169_73
.LBB169_5:
	s_clause 0x3
	s_load_b128 s[8:11], s[0:1], 0x40
	s_load_b64 s[20:21], s[0:1], 0x50
	s_load_b96 s[16:18], s[0:1], 0x30
	s_load_b64 s[22:23], s[0:1], 0x20
	v_mbcnt_lo_u32_b32 v5, -1, 0
	s_ashr_i32 s5, s4, 31
	v_dual_lshlrev_b32 v32, 9, v1 :: v_dual_bitop2_b32 v31, 7, v0 bitop3:0x40
	s_lshl_b64 s[4:5], s[4:5], 2
	v_dual_mov_b32 v3, 0 :: v_dual_lshlrev_b32 v2, 3, v1
	v_mul_lo_u32 v4, s14, v1
	v_dual_lshlrev_b32 v33, 2, v0 :: v_dual_bitop2_b32 v1, 4, v5 bitop3:0x14
	v_dual_lshlrev_b32 v22, 3, v31 :: v_dual_bitop2_b32 v6, 2, v5 bitop3:0x14
	v_mul_lo_u32 v8, v31, s13
	v_lshl_or_b32 v34, v5, 2, 28
	s_delay_alu instid0(VALU_DEP_4)
	v_cmp_gt_i32_e64 s6, 32, v1
	s_wait_xcnt 0x0
	v_cmp_gt_u32_e64 s0, 0x80, v0
	s_wait_kmcnt 0x0
	s_add_nc_u64 s[4:5], s[10:11], s[4:5]
	v_cmp_gt_u32_e64 s1, 64, v0
	s_load_b32 s7, s[4:5], 0x0
	v_cndmask_b32_e64 v1, v5, v1, s6
	v_cmp_gt_i32_e64 s6, 32, v6
	v_xor_b32_e32 v7, 1, v5
	v_cmp_gt_u32_e64 s2, 32, v0
	v_cmp_gt_u32_e64 s3, 16, v0
	s_wait_xcnt 0x0
	v_cmp_gt_u32_e64 s4, 8, v0
	v_cndmask_b32_e64 v6, v5, v6, s6
	v_cmp_gt_i32_e64 s6, 32, v7
	v_cmp_gt_u32_e64 s5, 4, v0
	v_mov_b32_e32 v23, v3
	s_mov_b32 s25, 0
	v_dual_lshlrev_b32 v36, 2, v6 :: v_dual_cndmask_b32 v7, v5, v7, s6
	v_ashrrev_i32_e32 v5, 31, v4
	v_cmp_gt_u32_e64 s6, 2, v0
	v_lshlrev_b32_e32 v35, 2, v1
	s_mov_b32 s24, s13
	v_dual_lshlrev_b32 v37, 2, v7 :: v_dual_mov_b32 v9, v3
	s_wait_kmcnt 0x0
	s_sub_co_i32 s10, s7, s18
	s_cmp_lg_u32 s28, 0
	v_cmp_eq_u32_e64 s7, 0, v0
	v_or_b32_e32 v0, 16, v31
	v_lshl_add_u64 v[6:7], v[4:5], 3, s[8:9]
	v_add_nc_u64_e32 v[4:5], s[8:9], v[2:3]
	s_cselect_b32 s19, -1, 0
	v_cmp_gt_u32_e64 s8, s14, v31
	s_lshl_b32 s11, s13, 3
	v_or_b32_e32 v1, 8, v31
	s_mov_b32 s26, s14
	s_ashr_i32 s27, s14, 31
	v_cmp_gt_u32_e64 s9, s14, v0
	v_add_nc_u32_e32 v0, s11, v8
	s_mul_u64 s[28:29], s[26:27], s[24:25]
	s_and_b32 s26, vcc_lo, s8
	v_cmp_gt_u32_e64 s8, s14, v1
	s_delay_alu instid0(VALU_DEP_2) | instskip(SKIP_3) | instid1(VALU_DEP_2)
	v_dual_add_nc_u32 v10, s11, v0 :: v_dual_bitop2_b32 v1, 24, v31 bitop3:0x54
	s_abs_i32 s33, s14
	v_dual_mov_b32 v11, v3 :: v_dual_bitop2_b32 v2, 32, v31 bitop3:0x54
	s_and_b32 s13, vcc_lo, s8
	v_cmp_gt_u32_e64 s8, s14, v1
	s_cvt_f32_u32 s24, s33
	v_dual_add_nc_u32 v12, s11, v10 :: v_dual_bitop2_b32 v14, 40, v31 bitop3:0x54
	s_and_b32 s30, vcc_lo, s9
	s_and_b32 s31, vcc_lo, s8
	v_cmp_gt_u32_e64 s8, s14, v2
	v_rcp_iflag_f32_e32 v2, s24
	v_mov_b32_e32 v13, v3
	v_cmp_gt_u32_e64 s9, s14, v14
	v_dual_add_nc_u32 v14, s11, v12 :: v_dual_bitop2_b32 v17, 48, v31 bitop3:0x54
	v_mov_b32_e32 v15, v3
	s_and_b32 s34, vcc_lo, s8
	s_delay_alu instid0(TRANS32_DEP_1) | instskip(NEXT) | instid1(VALU_DEP_3)
	v_readfirstlane_b32 s24, v2
	v_add_nc_u32_e32 v16, s11, v14
	v_cmp_gt_u32_e64 s8, s14, v17
	v_dual_mov_b32 v17, v3 :: v_dual_bitop2_b32 v2, 56, v31 bitop3:0x54
	s_mul_f32 s24, s24, 0x4f7ffffe
	v_dual_mov_b32 v19, v3 :: v_dual_add_nc_u32 v18, s11, v16
	v_add_nc_u64_e32 v[6:7], v[6:7], v[22:23]
	s_delay_alu instid0(SALU_CYCLE_1) | instskip(SKIP_1) | instid1(VALU_DEP_2)
	s_cvt_u32_f32 s24, s24
	s_and_b32 s35, vcc_lo, s8
	v_add_nc_u32_e32 v20, s11, v18
	s_sub_co_i32 s11, 0, s33
	v_cmp_gt_u32_e64 s8, s14, v2
	v_dual_mov_b32 v21, v3 :: v_dual_add_nc_u32 v39, v22, v32
	v_mov_b64_e32 v[22:23], 0
	s_mul_i32 s11, s11, s24
	v_dual_mov_b32 v1, v3 :: v_dual_mov_b32 v40, 1
	v_mov_b32_e32 v26, 0
	s_mul_hi_u32 s11, s24, s11
	s_and_b32 s9, vcc_lo, s9
	s_and_b32 s36, vcc_lo, s8
	s_add_co_i32 s24, s24, s11
	s_branch .LBB169_7
.LBB169_6:                              ;   in Loop: Header=BB169_7 Depth=1
	s_or_b32 exec_lo, exec_lo, s11
	s_wait_dscnt 0x0
	s_barrier_signal -1
	s_barrier_wait -1
	ds_load_b32 v26, v3
	s_add_co_i32 s10, s8, s10
	s_wait_dscnt 0x0
	s_barrier_signal -1
	s_barrier_wait -1
	v_cmp_gt_i32_e32 vcc_lo, s12, v26
	s_cbranch_vccz .LBB169_73
.LBB169_7:                              ; =>This Loop Header: Depth=1
                                        ;     Child Loop BB169_10 Depth 2
	v_dual_mov_b32 v41, s12 :: v_dual_add_nc_u32 v24, v38, v31
	v_mov_b32_e32 v25, v30
	s_mov_b32 s11, exec_lo
	ds_store_b8 v3, v3 offset:16384
	ds_store_2addr_b64 v39, v[22:23], v[22:23] offset1:8
	ds_store_2addr_b64 v39, v[22:23], v[22:23] offset0:16 offset1:24
	ds_store_2addr_b64 v39, v[22:23], v[22:23] offset0:32 offset1:40
	;; [unrolled: 1-line block ×3, first 2 shown]
	s_wait_dscnt 0x0
	s_barrier_signal -1
	s_barrier_wait -1
	v_cmpx_lt_i32_e64 v24, v30
	s_cbranch_execz .LBB169_15
; %bb.8:                                ;   in Loop: Header=BB169_7 Depth=1
	v_mul_lo_u32 v27, v26, s14
	v_dual_mov_b32 v41, s12 :: v_dual_mov_b32 v25, v30
	s_mov_b32 s37, 0
	s_branch .LBB169_10
.LBB169_9:                              ;   in Loop: Header=BB169_10 Depth=2
	s_wait_xcnt 0x0
	s_or_b32 exec_lo, exec_lo, s8
	v_add_nc_u32_e32 v24, 8, v24
	s_xor_b32 s38, vcc_lo, -1
	s_delay_alu instid0(VALU_DEP_1) | instskip(SKIP_1) | instid1(SALU_CYCLE_1)
	v_cmp_ge_i32_e64 s8, v24, v30
	s_or_b32 s8, s38, s8
	s_and_b32 s8, exec_lo, s8
	s_delay_alu instid0(SALU_CYCLE_1) | instskip(NEXT) | instid1(SALU_CYCLE_1)
	s_or_b32 s37, s8, s37
	s_and_not1_b32 exec_lo, exec_lo, s37
	s_cbranch_execz .LBB169_14
.LBB169_10:                             ;   Parent Loop BB169_7 Depth=1
                                        ; =>  This Inner Loop Header: Depth=2
	global_load_b32 v2, v24, s[16:17] scale_offset
	s_wait_loadcnt 0x0
	v_subrev_nc_u32_e32 v28, s15, v2
	s_delay_alu instid0(VALU_DEP_1) | instskip(NEXT) | instid1(VALU_DEP_1)
	v_sub_nc_u32_e32 v2, 0, v28
	v_max_i32_e32 v2, v28, v2
	s_delay_alu instid0(VALU_DEP_1) | instskip(SKIP_1) | instid1(VALU_DEP_1)
	v_mul_u64_e32 v[42:43], s[24:25], v[2:3]
	v_ashrrev_i32_e32 v42, 31, v28
	v_xor_b32_e32 v42, s27, v42
	s_delay_alu instid0(VALU_DEP_3) | instskip(NEXT) | instid1(VALU_DEP_1)
	v_mul_lo_u32 v29, v43, s33
	v_dual_sub_nc_u32 v2, v2, v29 :: v_dual_add_nc_u32 v29, 1, v43
	s_delay_alu instid0(VALU_DEP_1) | instskip(SKIP_1) | instid1(VALU_DEP_2)
	v_subrev_nc_u32_e32 v38, s33, v2
	v_cmp_le_u32_e32 vcc_lo, s33, v2
	v_dual_cndmask_b32 v29, v43, v29 :: v_dual_cndmask_b32 v2, v2, v38
	s_delay_alu instid0(VALU_DEP_1) | instskip(NEXT) | instid1(VALU_DEP_2)
	v_add_nc_u32_e32 v38, 1, v29
	v_cmp_le_u32_e32 vcc_lo, s33, v2
	s_delay_alu instid0(VALU_DEP_2) | instskip(NEXT) | instid1(VALU_DEP_1)
	v_cndmask_b32_e32 v2, v29, v38, vcc_lo
	v_xor_b32_e32 v2, v2, v42
	s_delay_alu instid0(VALU_DEP_1) | instskip(NEXT) | instid1(VALU_DEP_1)
	v_dual_mov_b32 v2, v25 :: v_dual_sub_nc_u32 v29, v2, v42
	v_cmp_ne_u32_e64 s8, v29, v26
	v_cmp_eq_u32_e32 vcc_lo, v29, v26
	s_wait_xcnt 0x0
	s_and_saveexec_b32 s38, s8
	s_delay_alu instid0(SALU_CYCLE_1)
	s_xor_b32 s8, exec_lo, s38
; %bb.11:                               ;   in Loop: Header=BB169_10 Depth=2
	v_min_i32_e32 v41, v29, v41
                                        ; implicit-def: $vgpr28
                                        ; implicit-def: $vgpr2
; %bb.12:                               ;   in Loop: Header=BB169_10 Depth=2
	s_or_saveexec_b32 s8, s8
	v_mov_b32_e32 v25, v24
	s_xor_b32 exec_lo, exec_lo, s8
	s_cbranch_execz .LBB169_9
; %bb.13:                               ;   in Loop: Header=BB169_10 Depth=2
	v_ashrrev_i32_e32 v25, 31, v24
	s_delay_alu instid0(VALU_DEP_1)
	v_lshl_add_u64 v[42:43], v[24:25], 3, s[22:23]
	v_sub_nc_u32_e32 v25, v28, v27
	global_load_b64 v[42:43], v[42:43], off
	v_lshl_add_u32 v28, v25, 3, v32
	v_mov_b32_e32 v25, v2
	ds_store_b8 v3, v40 offset:16384
	s_wait_loadcnt 0x0
	ds_store_b64 v28, v[42:43]
	s_branch .LBB169_9
.LBB169_14:                             ;   in Loop: Header=BB169_7 Depth=1
	s_or_b32 exec_lo, exec_lo, s37
.LBB169_15:                             ;   in Loop: Header=BB169_7 Depth=1
	s_delay_alu instid0(SALU_CYCLE_1)
	s_or_b32 exec_lo, exec_lo, s11
	ds_bpermute_b32 v2, v35, v25
	s_wait_dscnt 0x0
	s_barrier_signal -1
	s_barrier_wait -1
	s_mov_b32 s8, 0
	v_min_i32_e32 v2, v2, v25
	ds_load_u8 v25, v3 offset:16384
	ds_bpermute_b32 v24, v36, v2
	s_wait_dscnt 0x0
	v_min_i32_e32 v2, v24, v2
	ds_bpermute_b32 v24, v37, v2
	s_wait_dscnt 0x0
	v_min_i32_e32 v2, v24, v2
	ds_bpermute_b32 v38, v34, v2
	v_and_b32_e32 v2, 1, v25
	s_delay_alu instid0(VALU_DEP_1)
	v_cmp_eq_u32_e32 vcc_lo, 0, v2
	s_cbranch_vccnz .LBB169_49
; %bb.16:                               ;   in Loop: Header=BB169_7 Depth=1
	s_ashr_i32 s11, s10, 31
	v_dual_add_nc_u32 v2, s18, v26 :: v_dual_mov_b32 v28, s10
	s_mul_u64 s[38:39], s[28:29], s[10:11]
	s_delay_alu instid0(SALU_CYCLE_1) | instskip(NEXT) | instid1(SALU_CYCLE_1)
	s_lshl_b64 s[38:39], s[38:39], 3
	v_add_nc_u64_e32 v[26:27], s[38:39], v[4:5]
	v_add_nc_u64_e32 v[24:25], s[38:39], v[6:7]
	global_store_b32 v28, v2, s[20:21] scale_offset
	s_wait_xcnt 0x0
	s_and_saveexec_b32 s8, s26
	s_cbranch_execz .LBB169_20
; %bb.17:                               ;   in Loop: Header=BB169_7 Depth=1
	s_and_b32 vcc_lo, exec_lo, s19
	s_cbranch_vccz .LBB169_65
; %bb.18:                               ;   in Loop: Header=BB169_7 Depth=1
	ds_load_b64 v[28:29], v39
	v_lshl_add_u64 v[42:43], v[8:9], 3, v[26:27]
	s_wait_dscnt 0x0
	global_store_b64 v[42:43], v[28:29], off
	s_cbranch_execnz .LBB169_20
.LBB169_19:                             ;   in Loop: Header=BB169_7 Depth=1
	s_wait_xcnt 0x0
	ds_load_b64 v[28:29], v39
	s_wait_dscnt 0x0
	global_store_b64 v[24:25], v[28:29], off
.LBB169_20:                             ;   in Loop: Header=BB169_7 Depth=1
	s_wait_xcnt 0x0
	s_or_b32 exec_lo, exec_lo, s8
	s_and_saveexec_b32 s8, s13
	s_cbranch_execz .LBB169_24
; %bb.21:                               ;   in Loop: Header=BB169_7 Depth=1
	ds_load_b64 v[28:29], v39 offset:64
	s_and_not1_b32 vcc_lo, exec_lo, s19
	s_cbranch_vccnz .LBB169_66
; %bb.22:                               ;   in Loop: Header=BB169_7 Depth=1
	v_lshl_add_u64 v[42:43], v[0:1], 3, v[26:27]
	s_wait_dscnt 0x0
	global_store_b64 v[42:43], v[28:29], off
	s_cbranch_execnz .LBB169_24
.LBB169_23:                             ;   in Loop: Header=BB169_7 Depth=1
	s_wait_dscnt 0x0
	global_store_b64 v[24:25], v[28:29], off offset:64
.LBB169_24:                             ;   in Loop: Header=BB169_7 Depth=1
	s_wait_xcnt 0x0
	s_or_b32 exec_lo, exec_lo, s8
	s_and_saveexec_b32 s8, s30
	s_cbranch_execz .LBB169_28
; %bb.25:                               ;   in Loop: Header=BB169_7 Depth=1
	s_wait_dscnt 0x0
	ds_load_b64 v[28:29], v39 offset:128
	s_and_not1_b32 vcc_lo, exec_lo, s19
	s_cbranch_vccnz .LBB169_67
; %bb.26:                               ;   in Loop: Header=BB169_7 Depth=1
	v_lshl_add_u64 v[42:43], v[10:11], 3, v[26:27]
	s_wait_dscnt 0x0
	global_store_b64 v[42:43], v[28:29], off
	s_cbranch_execnz .LBB169_28
.LBB169_27:                             ;   in Loop: Header=BB169_7 Depth=1
	s_wait_dscnt 0x0
	global_store_b64 v[24:25], v[28:29], off offset:128
.LBB169_28:                             ;   in Loop: Header=BB169_7 Depth=1
	s_wait_xcnt 0x0
	s_or_b32 exec_lo, exec_lo, s8
	s_and_saveexec_b32 s8, s31
	s_cbranch_execz .LBB169_32
; %bb.29:                               ;   in Loop: Header=BB169_7 Depth=1
	s_wait_dscnt 0x0
	ds_load_b64 v[28:29], v39 offset:192
	s_and_not1_b32 vcc_lo, exec_lo, s19
	s_cbranch_vccnz .LBB169_68
; %bb.30:                               ;   in Loop: Header=BB169_7 Depth=1
	v_lshl_add_u64 v[42:43], v[12:13], 3, v[26:27]
	s_wait_dscnt 0x0
	global_store_b64 v[42:43], v[28:29], off
	s_cbranch_execnz .LBB169_32
.LBB169_31:                             ;   in Loop: Header=BB169_7 Depth=1
	s_wait_dscnt 0x0
	global_store_b64 v[24:25], v[28:29], off offset:192
.LBB169_32:                             ;   in Loop: Header=BB169_7 Depth=1
	s_wait_xcnt 0x0
	s_or_b32 exec_lo, exec_lo, s8
	s_and_saveexec_b32 s8, s34
	s_cbranch_execz .LBB169_36
; %bb.33:                               ;   in Loop: Header=BB169_7 Depth=1
	s_wait_dscnt 0x0
	ds_load_b64 v[28:29], v39 offset:256
	s_and_not1_b32 vcc_lo, exec_lo, s19
	s_cbranch_vccnz .LBB169_69
; %bb.34:                               ;   in Loop: Header=BB169_7 Depth=1
	v_lshl_add_u64 v[42:43], v[14:15], 3, v[26:27]
	s_wait_dscnt 0x0
	global_store_b64 v[42:43], v[28:29], off
	s_cbranch_execnz .LBB169_36
.LBB169_35:                             ;   in Loop: Header=BB169_7 Depth=1
	s_wait_dscnt 0x0
	global_store_b64 v[24:25], v[28:29], off offset:256
.LBB169_36:                             ;   in Loop: Header=BB169_7 Depth=1
	s_wait_xcnt 0x0
	s_or_b32 exec_lo, exec_lo, s8
	s_and_saveexec_b32 s8, s9
	s_cbranch_execz .LBB169_40
; %bb.37:                               ;   in Loop: Header=BB169_7 Depth=1
	s_wait_dscnt 0x0
	ds_load_b64 v[28:29], v39 offset:320
	s_and_not1_b32 vcc_lo, exec_lo, s19
	s_cbranch_vccnz .LBB169_70
; %bb.38:                               ;   in Loop: Header=BB169_7 Depth=1
	v_lshl_add_u64 v[42:43], v[16:17], 3, v[26:27]
	s_wait_dscnt 0x0
	global_store_b64 v[42:43], v[28:29], off
	s_cbranch_execnz .LBB169_40
.LBB169_39:                             ;   in Loop: Header=BB169_7 Depth=1
	s_wait_dscnt 0x0
	global_store_b64 v[24:25], v[28:29], off offset:320
.LBB169_40:                             ;   in Loop: Header=BB169_7 Depth=1
	s_wait_xcnt 0x0
	s_or_b32 exec_lo, exec_lo, s8
	s_and_saveexec_b32 s8, s35
	s_cbranch_execz .LBB169_44
; %bb.41:                               ;   in Loop: Header=BB169_7 Depth=1
	s_wait_dscnt 0x0
	ds_load_b64 v[28:29], v39 offset:384
	s_and_not1_b32 vcc_lo, exec_lo, s19
	s_cbranch_vccnz .LBB169_71
; %bb.42:                               ;   in Loop: Header=BB169_7 Depth=1
	v_lshl_add_u64 v[42:43], v[18:19], 3, v[26:27]
	s_wait_dscnt 0x0
	global_store_b64 v[42:43], v[28:29], off
	s_cbranch_execnz .LBB169_44
.LBB169_43:                             ;   in Loop: Header=BB169_7 Depth=1
	s_wait_dscnt 0x0
	global_store_b64 v[24:25], v[28:29], off offset:384
.LBB169_44:                             ;   in Loop: Header=BB169_7 Depth=1
	s_wait_xcnt 0x0
	s_or_b32 exec_lo, exec_lo, s8
	s_and_saveexec_b32 s8, s36
	s_cbranch_execz .LBB169_48
; %bb.45:                               ;   in Loop: Header=BB169_7 Depth=1
	s_wait_dscnt 0x0
	ds_load_b64 v[28:29], v39 offset:448
	s_and_not1_b32 vcc_lo, exec_lo, s19
	s_cbranch_vccnz .LBB169_72
; %bb.46:                               ;   in Loop: Header=BB169_7 Depth=1
	v_lshl_add_u64 v[26:27], v[20:21], 3, v[26:27]
	s_wait_dscnt 0x0
	global_store_b64 v[26:27], v[28:29], off
	s_cbranch_execnz .LBB169_48
.LBB169_47:                             ;   in Loop: Header=BB169_7 Depth=1
	s_wait_dscnt 0x0
	global_store_b64 v[24:25], v[28:29], off offset:448
.LBB169_48:                             ;   in Loop: Header=BB169_7 Depth=1
	s_wait_xcnt 0x0
	s_or_b32 exec_lo, exec_lo, s8
	s_mov_b32 s8, 1
.LBB169_49:                             ;   in Loop: Header=BB169_7 Depth=1
	s_wait_storecnt_dscnt 0x0
	s_barrier_signal -1
	s_barrier_wait -1
	ds_store_b32 v33, v41
	s_wait_dscnt 0x0
	s_barrier_signal -1
	s_barrier_wait -1
	s_and_saveexec_b32 s11, s0
	s_cbranch_execz .LBB169_51
; %bb.50:                               ;   in Loop: Header=BB169_7 Depth=1
	ds_load_2addr_stride64_b32 v[24:25], v33 offset1:2
	s_wait_dscnt 0x0
	v_min_i32_e32 v2, v25, v24
	ds_store_b32 v33, v2
.LBB169_51:                             ;   in Loop: Header=BB169_7 Depth=1
	s_or_b32 exec_lo, exec_lo, s11
	s_wait_dscnt 0x0
	s_barrier_signal -1
	s_barrier_wait -1
	s_and_saveexec_b32 s11, s1
	s_cbranch_execz .LBB169_53
; %bb.52:                               ;   in Loop: Header=BB169_7 Depth=1
	ds_load_2addr_stride64_b32 v[24:25], v33 offset1:1
	s_wait_dscnt 0x0
	v_min_i32_e32 v2, v25, v24
	ds_store_b32 v33, v2
.LBB169_53:                             ;   in Loop: Header=BB169_7 Depth=1
	s_or_b32 exec_lo, exec_lo, s11
	s_wait_dscnt 0x0
	s_barrier_signal -1
	s_barrier_wait -1
	s_and_saveexec_b32 s11, s2
	s_cbranch_execz .LBB169_55
; %bb.54:                               ;   in Loop: Header=BB169_7 Depth=1
	ds_load_2addr_b32 v[24:25], v33 offset1:32
	s_wait_dscnt 0x0
	v_min_i32_e32 v2, v25, v24
	ds_store_b32 v33, v2
.LBB169_55:                             ;   in Loop: Header=BB169_7 Depth=1
	s_or_b32 exec_lo, exec_lo, s11
	s_wait_dscnt 0x0
	s_barrier_signal -1
	s_barrier_wait -1
	s_and_saveexec_b32 s11, s3
	s_cbranch_execz .LBB169_57
; %bb.56:                               ;   in Loop: Header=BB169_7 Depth=1
	ds_load_2addr_b32 v[24:25], v33 offset1:16
	s_wait_dscnt 0x0
	v_min_i32_e32 v2, v25, v24
	ds_store_b32 v33, v2
.LBB169_57:                             ;   in Loop: Header=BB169_7 Depth=1
	;; [unrolled: 12-line block ×5, first 2 shown]
	s_or_b32 exec_lo, exec_lo, s11
	s_wait_dscnt 0x0
	s_barrier_signal -1
	s_barrier_wait -1
	s_and_saveexec_b32 s11, s7
	s_cbranch_execz .LBB169_6
; %bb.64:                               ;   in Loop: Header=BB169_7 Depth=1
	ds_load_b64 v[24:25], v3
	s_wait_dscnt 0x0
	v_min_i32_e32 v2, v25, v24
	ds_store_b32 v3, v2
	s_branch .LBB169_6
.LBB169_65:                             ;   in Loop: Header=BB169_7 Depth=1
	s_branch .LBB169_19
.LBB169_66:                             ;   in Loop: Header=BB169_7 Depth=1
	s_branch .LBB169_23
.LBB169_67:                             ;   in Loop: Header=BB169_7 Depth=1
	s_branch .LBB169_27
.LBB169_68:                             ;   in Loop: Header=BB169_7 Depth=1
	s_branch .LBB169_31
.LBB169_69:                             ;   in Loop: Header=BB169_7 Depth=1
	s_branch .LBB169_35
.LBB169_70:                             ;   in Loop: Header=BB169_7 Depth=1
	s_branch .LBB169_39
.LBB169_71:                             ;   in Loop: Header=BB169_7 Depth=1
	s_branch .LBB169_43
.LBB169_72:                             ;   in Loop: Header=BB169_7 Depth=1
	s_branch .LBB169_47
.LBB169_73:
	s_endpgm
	.section	.rodata,"a",@progbits
	.p2align	6, 0x0
	.amdhsa_kernel _ZN9rocsparseL40csr2gebsr_block_per_row_multipass_kernelILj256ELj32ELj64E21rocsparse_complex_numIfEEEv20rocsparse_direction_iiiiii21rocsparse_index_base_PKT2_PKiS9_S4_PS5_PiSB_
		.amdhsa_group_segment_fixed_size 16388
		.amdhsa_private_segment_fixed_size 0
		.amdhsa_kernarg_size 88
		.amdhsa_user_sgpr_count 2
		.amdhsa_user_sgpr_dispatch_ptr 0
		.amdhsa_user_sgpr_queue_ptr 0
		.amdhsa_user_sgpr_kernarg_segment_ptr 1
		.amdhsa_user_sgpr_dispatch_id 0
		.amdhsa_user_sgpr_kernarg_preload_length 0
		.amdhsa_user_sgpr_kernarg_preload_offset 0
		.amdhsa_user_sgpr_private_segment_size 0
		.amdhsa_wavefront_size32 1
		.amdhsa_uses_dynamic_stack 0
		.amdhsa_enable_private_segment 0
		.amdhsa_system_sgpr_workgroup_id_x 1
		.amdhsa_system_sgpr_workgroup_id_y 0
		.amdhsa_system_sgpr_workgroup_id_z 0
		.amdhsa_system_sgpr_workgroup_info 0
		.amdhsa_system_vgpr_workitem_id 0
		.amdhsa_next_free_vgpr 44
		.amdhsa_next_free_sgpr 40
		.amdhsa_named_barrier_count 0
		.amdhsa_reserve_vcc 1
		.amdhsa_float_round_mode_32 0
		.amdhsa_float_round_mode_16_64 0
		.amdhsa_float_denorm_mode_32 3
		.amdhsa_float_denorm_mode_16_64 3
		.amdhsa_fp16_overflow 0
		.amdhsa_memory_ordered 1
		.amdhsa_forward_progress 1
		.amdhsa_inst_pref_size 20
		.amdhsa_round_robin_scheduling 0
		.amdhsa_exception_fp_ieee_invalid_op 0
		.amdhsa_exception_fp_denorm_src 0
		.amdhsa_exception_fp_ieee_div_zero 0
		.amdhsa_exception_fp_ieee_overflow 0
		.amdhsa_exception_fp_ieee_underflow 0
		.amdhsa_exception_fp_ieee_inexact 0
		.amdhsa_exception_int_div_zero 0
	.end_amdhsa_kernel
	.section	.text._ZN9rocsparseL40csr2gebsr_block_per_row_multipass_kernelILj256ELj32ELj64E21rocsparse_complex_numIfEEEv20rocsparse_direction_iiiiii21rocsparse_index_base_PKT2_PKiS9_S4_PS5_PiSB_,"axG",@progbits,_ZN9rocsparseL40csr2gebsr_block_per_row_multipass_kernelILj256ELj32ELj64E21rocsparse_complex_numIfEEEv20rocsparse_direction_iiiiii21rocsparse_index_base_PKT2_PKiS9_S4_PS5_PiSB_,comdat
.Lfunc_end169:
	.size	_ZN9rocsparseL40csr2gebsr_block_per_row_multipass_kernelILj256ELj32ELj64E21rocsparse_complex_numIfEEEv20rocsparse_direction_iiiiii21rocsparse_index_base_PKT2_PKiS9_S4_PS5_PiSB_, .Lfunc_end169-_ZN9rocsparseL40csr2gebsr_block_per_row_multipass_kernelILj256ELj32ELj64E21rocsparse_complex_numIfEEEv20rocsparse_direction_iiiiii21rocsparse_index_base_PKT2_PKiS9_S4_PS5_PiSB_
                                        ; -- End function
	.set _ZN9rocsparseL40csr2gebsr_block_per_row_multipass_kernelILj256ELj32ELj64E21rocsparse_complex_numIfEEEv20rocsparse_direction_iiiiii21rocsparse_index_base_PKT2_PKiS9_S4_PS5_PiSB_.num_vgpr, 44
	.set _ZN9rocsparseL40csr2gebsr_block_per_row_multipass_kernelILj256ELj32ELj64E21rocsparse_complex_numIfEEEv20rocsparse_direction_iiiiii21rocsparse_index_base_PKT2_PKiS9_S4_PS5_PiSB_.num_agpr, 0
	.set _ZN9rocsparseL40csr2gebsr_block_per_row_multipass_kernelILj256ELj32ELj64E21rocsparse_complex_numIfEEEv20rocsparse_direction_iiiiii21rocsparse_index_base_PKT2_PKiS9_S4_PS5_PiSB_.numbered_sgpr, 40
	.set _ZN9rocsparseL40csr2gebsr_block_per_row_multipass_kernelILj256ELj32ELj64E21rocsparse_complex_numIfEEEv20rocsparse_direction_iiiiii21rocsparse_index_base_PKT2_PKiS9_S4_PS5_PiSB_.num_named_barrier, 0
	.set _ZN9rocsparseL40csr2gebsr_block_per_row_multipass_kernelILj256ELj32ELj64E21rocsparse_complex_numIfEEEv20rocsparse_direction_iiiiii21rocsparse_index_base_PKT2_PKiS9_S4_PS5_PiSB_.private_seg_size, 0
	.set _ZN9rocsparseL40csr2gebsr_block_per_row_multipass_kernelILj256ELj32ELj64E21rocsparse_complex_numIfEEEv20rocsparse_direction_iiiiii21rocsparse_index_base_PKT2_PKiS9_S4_PS5_PiSB_.uses_vcc, 1
	.set _ZN9rocsparseL40csr2gebsr_block_per_row_multipass_kernelILj256ELj32ELj64E21rocsparse_complex_numIfEEEv20rocsparse_direction_iiiiii21rocsparse_index_base_PKT2_PKiS9_S4_PS5_PiSB_.uses_flat_scratch, 0
	.set _ZN9rocsparseL40csr2gebsr_block_per_row_multipass_kernelILj256ELj32ELj64E21rocsparse_complex_numIfEEEv20rocsparse_direction_iiiiii21rocsparse_index_base_PKT2_PKiS9_S4_PS5_PiSB_.has_dyn_sized_stack, 0
	.set _ZN9rocsparseL40csr2gebsr_block_per_row_multipass_kernelILj256ELj32ELj64E21rocsparse_complex_numIfEEEv20rocsparse_direction_iiiiii21rocsparse_index_base_PKT2_PKiS9_S4_PS5_PiSB_.has_recursion, 0
	.set _ZN9rocsparseL40csr2gebsr_block_per_row_multipass_kernelILj256ELj32ELj64E21rocsparse_complex_numIfEEEv20rocsparse_direction_iiiiii21rocsparse_index_base_PKT2_PKiS9_S4_PS5_PiSB_.has_indirect_call, 0
	.section	.AMDGPU.csdata,"",@progbits
; Kernel info:
; codeLenInByte = 2536
; TotalNumSgprs: 42
; NumVgprs: 44
; ScratchSize: 0
; MemoryBound: 0
; FloatMode: 240
; IeeeMode: 1
; LDSByteSize: 16388 bytes/workgroup (compile time only)
; SGPRBlocks: 0
; VGPRBlocks: 2
; NumSGPRsForWavesPerEU: 42
; NumVGPRsForWavesPerEU: 44
; NamedBarCnt: 0
; Occupancy: 16
; WaveLimiterHint : 0
; COMPUTE_PGM_RSRC2:SCRATCH_EN: 0
; COMPUTE_PGM_RSRC2:USER_SGPR: 2
; COMPUTE_PGM_RSRC2:TRAP_HANDLER: 0
; COMPUTE_PGM_RSRC2:TGID_X_EN: 1
; COMPUTE_PGM_RSRC2:TGID_Y_EN: 0
; COMPUTE_PGM_RSRC2:TGID_Z_EN: 0
; COMPUTE_PGM_RSRC2:TIDIG_COMP_CNT: 0
	.section	.text._ZN9rocsparseL40csr2gebsr_block_per_row_multipass_kernelILj128ELj64ELj2E21rocsparse_complex_numIfEEEv20rocsparse_direction_iiiiii21rocsparse_index_base_PKT2_PKiS9_S4_PS5_PiSB_,"axG",@progbits,_ZN9rocsparseL40csr2gebsr_block_per_row_multipass_kernelILj128ELj64ELj2E21rocsparse_complex_numIfEEEv20rocsparse_direction_iiiiii21rocsparse_index_base_PKT2_PKiS9_S4_PS5_PiSB_,comdat
	.globl	_ZN9rocsparseL40csr2gebsr_block_per_row_multipass_kernelILj128ELj64ELj2E21rocsparse_complex_numIfEEEv20rocsparse_direction_iiiiii21rocsparse_index_base_PKT2_PKiS9_S4_PS5_PiSB_ ; -- Begin function _ZN9rocsparseL40csr2gebsr_block_per_row_multipass_kernelILj128ELj64ELj2E21rocsparse_complex_numIfEEEv20rocsparse_direction_iiiiii21rocsparse_index_base_PKT2_PKiS9_S4_PS5_PiSB_
	.p2align	8
	.type	_ZN9rocsparseL40csr2gebsr_block_per_row_multipass_kernelILj128ELj64ELj2E21rocsparse_complex_numIfEEEv20rocsparse_direction_iiiiii21rocsparse_index_base_PKT2_PKiS9_S4_PS5_PiSB_,@function
_ZN9rocsparseL40csr2gebsr_block_per_row_multipass_kernelILj128ELj64ELj2E21rocsparse_complex_numIfEEEv20rocsparse_direction_iiiiii21rocsparse_index_base_PKT2_PKiS9_S4_PS5_PiSB_: ; @_ZN9rocsparseL40csr2gebsr_block_per_row_multipass_kernelILj128ELj64ELj2E21rocsparse_complex_numIfEEEv20rocsparse_direction_iiiiii21rocsparse_index_base_PKT2_PKiS9_S4_PS5_PiSB_
; %bb.0:
	s_clause 0x1
	s_load_b128 s[8:11], s[0:1], 0x10
	s_load_b64 s[6:7], s[0:1], 0x0
	s_bfe_u32 s2, ttmp6, 0x4000c
	s_and_b32 s3, ttmp6, 15
	s_add_co_i32 s2, s2, 1
	s_getreg_b32 s4, hwreg(HW_REG_IB_STS2, 6, 4)
	s_mul_i32 s2, ttmp9, s2
	v_dual_lshrrev_b32 v4, 1, v0 :: v_dual_mov_b32 v10, 0
	s_add_co_i32 s3, s3, s2
	s_cmp_eq_u32 s4, 0
	s_load_b64 s[12:13], s[0:1], 0x28
	s_cselect_b32 s4, ttmp9, s3
	v_mov_b32_e32 v18, 0
	s_wait_kmcnt 0x0
	v_mad_u32 v1, s9, s4, v4
	v_cmp_gt_i32_e32 vcc_lo, s9, v4
	s_delay_alu instid0(VALU_DEP_2) | instskip(SKIP_1) | instid1(SALU_CYCLE_1)
	v_cmp_gt_i32_e64 s2, s7, v1
	s_and_b32 s2, vcc_lo, s2
	s_and_saveexec_b32 s3, s2
	s_cbranch_execnz .LBB170_3
; %bb.1:
	s_or_b32 exec_lo, exec_lo, s3
	s_and_saveexec_b32 s3, s2
	s_cbranch_execnz .LBB170_4
.LBB170_2:
	s_or_b32 exec_lo, exec_lo, s3
	s_cmp_lt_i32 s8, 1
	s_cbranch_scc0 .LBB170_5
	s_branch .LBB170_36
.LBB170_3:
	global_load_b32 v2, v1, s[12:13] scale_offset
	s_wait_loadcnt 0x0
	v_subrev_nc_u32_e32 v18, s11, v2
	s_or_b32 exec_lo, exec_lo, s3
	s_and_saveexec_b32 s3, s2
	s_cbranch_execz .LBB170_2
.LBB170_4:
	global_load_b32 v1, v1, s[12:13] offset:4 scale_offset
	s_wait_loadcnt 0x0
	v_subrev_nc_u32_e32 v10, s11, v1
	s_or_b32 exec_lo, exec_lo, s3
	s_cmp_lt_i32 s8, 1
	s_cbranch_scc1 .LBB170_36
.LBB170_5:
	s_load_b128 s[12:15], s[0:1], 0x40
	s_ashr_i32 s5, s4, 31
	v_dual_lshlrev_b32 v12, 3, v0 :: v_dual_bitop2_b32 v11, 1, v0 bitop3:0x40
	s_lshl_b64 s[2:3], s[4:5], 2
	s_mov_b32 s22, s9
	v_mul_lo_u32 v6, s10, v4
	s_delay_alu instid0(VALU_DEP_2)
	v_cmp_gt_u32_e64 s4, s10, v11
	v_mul_lo_u32 v2, s9, v11
	v_and_b32_e32 v5, 0x7e, v0
	v_mbcnt_lo_u32_b32 v15, -1, 0
	v_dual_mov_b32 v3, 0 :: v_dual_lshlrev_b32 v16, 2, v0
	s_and_b32 s19, vcc_lo, s4
	s_delay_alu instid0(VALU_DEP_3) | instskip(NEXT) | instid1(VALU_DEP_3)
	v_dual_mov_b32 v13, 1 :: v_dual_lshlrev_b32 v14, 3, v5
	v_dual_ashrrev_i32 v7, 31, v6 :: v_dual_bitop2_b32 v5, 1, v15 bitop3:0x14
	v_cmp_gt_u32_e64 s4, 4, v0
	v_mov_b32_e32 v20, 0
	s_wait_kmcnt 0x0
	s_add_nc_u64 s[2:3], s[14:15], s[2:3]
	s_load_b96 s[16:18], s[0:1], 0x30
	s_load_b32 s5, s[2:3], 0x0
	s_clause 0x1
	s_load_b64 s[14:15], s[0:1], 0x50
	s_load_b64 s[20:21], s[0:1], 0x20
	v_lshl_add_u64 v[8:9], v[2:3], 3, s[12:13]
	v_cmp_gt_i32_e32 vcc_lo, 32, v5
	v_lshlrev_b32_e32 v2, 3, v4
	v_lshl_add_u64 v[6:7], v[6:7], 3, s[12:13]
	s_wait_xcnt 0x0
	v_cmp_gt_u32_e64 s0, 64, v0
	v_cmp_gt_u32_e64 s1, 32, v0
	;; [unrolled: 1-line block ×4, first 2 shown]
	s_mov_b32 s23, 0
	s_mov_b32 s24, s10
	s_wait_kmcnt 0x0
	s_sub_co_i32 s26, s5, s18
	s_cmp_lg_u32 s6, 0
	v_cmp_gt_u32_e64 s5, 2, v0
	s_cselect_b32 s9, -1, 0
	s_abs_i32 s30, s10
	v_cmp_eq_u32_e64 s6, 0, v0
	s_cvt_f32_u32 s7, s30
	s_sub_co_i32 s12, 0, s30
	v_mov_b64_e32 v[0:1], 0
	s_ashr_i32 s25, s10, 31
	v_rcp_iflag_f32_e32 v17, s7
	v_nop
	s_delay_alu instid0(TRANS32_DEP_1)
	v_readfirstlane_b32 s7, v17
	v_cndmask_b32_e32 v17, v15, v5, vcc_lo
	v_add_nc_u64_e32 v[4:5], v[8:9], v[2:3]
	v_dual_lshlrev_b32 v2, 3, v11 :: v_dual_sub_nc_u32 v8, 0, v16
	s_mul_f32 s7, s7, 0x4f7ffffe
	v_lshl_or_b32 v15, v15, 2, 4
	v_lshlrev_b32_e32 v16, 2, v17
	s_delay_alu instid0(VALU_DEP_3) | instskip(SKIP_2) | instid1(SALU_CYCLE_2)
	v_add_nc_u64_e32 v[6:7], v[6:7], v[2:3]
	s_cvt_u32_f32 s7, s7
	v_add_nc_u32_e32 v17, v12, v8
	s_mul_i32 s12, s12, s7
	s_delay_alu instid0(SALU_CYCLE_1)
	s_mul_hi_u32 s27, s7, s12
	s_mul_u64 s[12:13], s[24:25], s[22:23]
	s_add_co_i32 s22, s7, s27
	s_branch .LBB170_7
.LBB170_6:                              ;   in Loop: Header=BB170_7 Depth=1
	s_or_b32 exec_lo, exec_lo, s24
	s_wait_dscnt 0x0
	s_barrier_signal -1
	s_barrier_wait -1
	ds_load_b32 v20, v3
	s_add_co_i32 s26, s7, s26
	s_wait_dscnt 0x0
	s_barrier_signal -1
	s_barrier_wait -1
	v_cmp_gt_i32_e32 vcc_lo, s8, v20
	s_cbranch_vccz .LBB170_36
.LBB170_7:                              ; =>This Loop Header: Depth=1
                                        ;     Child Loop BB170_10 Depth 2
	v_dual_mov_b32 v19, s8 :: v_dual_add_nc_u32 v8, v18, v11
	v_mov_b32_e32 v9, v10
	s_mov_b32 s24, exec_lo
	ds_store_b8 v3, v3 offset:1024
	ds_store_b64 v12, v[0:1]
	s_wait_dscnt 0x0
	s_barrier_signal -1
	s_barrier_wait -1
	v_cmpx_lt_i32_e64 v8, v10
	s_cbranch_execz .LBB170_15
; %bb.8:                                ;   in Loop: Header=BB170_7 Depth=1
	v_mul_lo_u32 v18, v20, s10
	v_dual_mov_b32 v19, s8 :: v_dual_mov_b32 v9, v10
	s_mov_b32 s27, 0
	s_branch .LBB170_10
.LBB170_9:                              ;   in Loop: Header=BB170_10 Depth=2
	s_wait_xcnt 0x0
	s_or_b32 exec_lo, exec_lo, s7
	v_add_nc_u32_e32 v8, 2, v8
	s_xor_b32 s28, vcc_lo, -1
	s_delay_alu instid0(VALU_DEP_1) | instskip(SKIP_1) | instid1(SALU_CYCLE_1)
	v_cmp_ge_i32_e64 s7, v8, v10
	s_or_b32 s7, s28, s7
	s_and_b32 s7, exec_lo, s7
	s_delay_alu instid0(SALU_CYCLE_1) | instskip(NEXT) | instid1(SALU_CYCLE_1)
	s_or_b32 s27, s7, s27
	s_and_not1_b32 exec_lo, exec_lo, s27
	s_cbranch_execz .LBB170_14
.LBB170_10:                             ;   Parent Loop BB170_7 Depth=1
                                        ; =>  This Inner Loop Header: Depth=2
	global_load_b32 v2, v8, s[16:17] scale_offset
	s_wait_loadcnt 0x0
	v_subrev_nc_u32_e32 v21, s11, v2
	s_delay_alu instid0(VALU_DEP_1) | instskip(NEXT) | instid1(VALU_DEP_1)
	v_sub_nc_u32_e32 v2, 0, v21
	v_max_i32_e32 v2, v21, v2
	s_delay_alu instid0(VALU_DEP_1) | instskip(NEXT) | instid1(VALU_DEP_1)
	v_mul_u64_e32 v[22:23], s[22:23], v[2:3]
	v_mul_lo_u32 v22, v23, s30
	s_delay_alu instid0(VALU_DEP_1) | instskip(NEXT) | instid1(VALU_DEP_1)
	v_dual_sub_nc_u32 v2, v2, v22 :: v_dual_add_nc_u32 v22, 1, v23
	v_cmp_le_u32_e32 vcc_lo, s30, v2
	s_delay_alu instid0(VALU_DEP_2) | instskip(SKIP_1) | instid1(VALU_DEP_1)
	v_cndmask_b32_e32 v22, v23, v22, vcc_lo
	v_subrev_nc_u32_e32 v24, s30, v2
	v_dual_cndmask_b32 v2, v2, v24 :: v_dual_ashrrev_i32 v23, 31, v21
	s_delay_alu instid0(VALU_DEP_3) | instskip(NEXT) | instid1(VALU_DEP_2)
	v_add_nc_u32_e32 v24, 1, v22
	v_cmp_le_u32_e32 vcc_lo, s30, v2
	s_delay_alu instid0(VALU_DEP_2) | instskip(NEXT) | instid1(VALU_DEP_1)
	v_dual_cndmask_b32 v2, v22, v24, vcc_lo :: v_dual_bitop2_b32 v23, s25, v23 bitop3:0x14
	v_xor_b32_e32 v2, v2, v23
	s_delay_alu instid0(VALU_DEP_1) | instskip(NEXT) | instid1(VALU_DEP_1)
	v_dual_sub_nc_u32 v22, v2, v23 :: v_dual_mov_b32 v2, v9
	v_cmp_ne_u32_e64 s7, v22, v20
	v_cmp_eq_u32_e32 vcc_lo, v22, v20
	s_wait_xcnt 0x0
	s_and_saveexec_b32 s28, s7
	s_delay_alu instid0(SALU_CYCLE_1)
	s_xor_b32 s7, exec_lo, s28
; %bb.11:                               ;   in Loop: Header=BB170_10 Depth=2
	v_min_i32_e32 v19, v22, v19
                                        ; implicit-def: $vgpr21
                                        ; implicit-def: $vgpr2
; %bb.12:                               ;   in Loop: Header=BB170_10 Depth=2
	s_or_saveexec_b32 s7, s7
	v_mov_b32_e32 v9, v8
	s_xor_b32 exec_lo, exec_lo, s7
	s_cbranch_execz .LBB170_9
; %bb.13:                               ;   in Loop: Header=BB170_10 Depth=2
	v_ashrrev_i32_e32 v9, 31, v8
	s_delay_alu instid0(VALU_DEP_1)
	v_lshl_add_u64 v[22:23], v[8:9], 3, s[20:21]
	v_sub_nc_u32_e32 v9, v21, v18
	global_load_b64 v[22:23], v[22:23], off
	v_lshl_add_u32 v21, v9, 3, v14
	v_mov_b32_e32 v9, v2
	ds_store_b8 v3, v13 offset:1024
	s_wait_loadcnt 0x0
	ds_store_b64 v21, v[22:23]
	s_branch .LBB170_9
.LBB170_14:                             ;   in Loop: Header=BB170_7 Depth=1
	s_or_b32 exec_lo, exec_lo, s27
.LBB170_15:                             ;   in Loop: Header=BB170_7 Depth=1
	s_delay_alu instid0(SALU_CYCLE_1)
	s_or_b32 exec_lo, exec_lo, s24
	ds_bpermute_b32 v2, v16, v9
	s_wait_dscnt 0x0
	s_barrier_signal -1
	s_barrier_wait -1
	ds_load_u8 v8, v3 offset:1024
	s_mov_b32 s7, 0
	v_min_i32_e32 v2, v2, v9
	ds_bpermute_b32 v18, v15, v2
	s_wait_dscnt 0x1
	v_and_b32_e32 v2, 1, v8
	s_delay_alu instid0(VALU_DEP_1)
	v_cmp_eq_u32_e32 vcc_lo, 0, v2
	s_cbranch_vccnz .LBB170_21
; %bb.16:                               ;   in Loop: Header=BB170_7 Depth=1
	v_dual_add_nc_u32 v2, s18, v20 :: v_dual_mov_b32 v8, s26
	global_store_b32 v8, v2, s[14:15] scale_offset
	s_wait_xcnt 0x0
	s_and_saveexec_b32 s7, s19
	s_cbranch_execz .LBB170_20
; %bb.17:                               ;   in Loop: Header=BB170_7 Depth=1
	ds_load_b64 v[8:9], v12
	s_ashr_i32 s27, s26, 31
	s_and_b32 vcc_lo, exec_lo, s9
	s_mul_u64 s[28:29], s[12:13], s[26:27]
	s_cbranch_vccz .LBB170_35
; %bb.18:                               ;   in Loop: Header=BB170_7 Depth=1
	v_lshl_add_u64 v[20:21], s[28:29], 3, v[4:5]
	s_wait_dscnt 0x0
	global_store_b64 v[20:21], v[8:9], off
	s_cbranch_execnz .LBB170_20
.LBB170_19:                             ;   in Loop: Header=BB170_7 Depth=1
	s_wait_xcnt 0x0
	v_lshl_add_u64 v[20:21], s[28:29], 3, v[6:7]
	s_wait_dscnt 0x0
	global_store_b64 v[20:21], v[8:9], off
.LBB170_20:                             ;   in Loop: Header=BB170_7 Depth=1
	s_wait_xcnt 0x0
	s_or_b32 exec_lo, exec_lo, s7
	s_mov_b32 s7, 1
.LBB170_21:                             ;   in Loop: Header=BB170_7 Depth=1
	s_wait_storecnt_dscnt 0x0
	s_barrier_signal -1
	s_barrier_wait -1
	ds_store_b32 v17, v19
	s_wait_dscnt 0x0
	s_barrier_signal -1
	s_barrier_wait -1
	s_and_saveexec_b32 s24, s0
	s_cbranch_execz .LBB170_23
; %bb.22:                               ;   in Loop: Header=BB170_7 Depth=1
	ds_load_2addr_stride64_b32 v[8:9], v17 offset1:1
	s_wait_dscnt 0x0
	v_min_i32_e32 v2, v9, v8
	ds_store_b32 v17, v2
.LBB170_23:                             ;   in Loop: Header=BB170_7 Depth=1
	s_or_b32 exec_lo, exec_lo, s24
	s_wait_dscnt 0x0
	s_barrier_signal -1
	s_barrier_wait -1
	s_and_saveexec_b32 s24, s1
	s_cbranch_execz .LBB170_25
; %bb.24:                               ;   in Loop: Header=BB170_7 Depth=1
	ds_load_2addr_b32 v[8:9], v17 offset1:32
	s_wait_dscnt 0x0
	v_min_i32_e32 v2, v9, v8
	ds_store_b32 v17, v2
.LBB170_25:                             ;   in Loop: Header=BB170_7 Depth=1
	s_or_b32 exec_lo, exec_lo, s24
	s_wait_dscnt 0x0
	s_barrier_signal -1
	s_barrier_wait -1
	s_and_saveexec_b32 s24, s2
	s_cbranch_execz .LBB170_27
; %bb.26:                               ;   in Loop: Header=BB170_7 Depth=1
	ds_load_2addr_b32 v[8:9], v17 offset1:16
	s_wait_dscnt 0x0
	v_min_i32_e32 v2, v9, v8
	ds_store_b32 v17, v2
.LBB170_27:                             ;   in Loop: Header=BB170_7 Depth=1
	;; [unrolled: 12-line block ×5, first 2 shown]
	s_or_b32 exec_lo, exec_lo, s24
	s_wait_dscnt 0x0
	s_barrier_signal -1
	s_barrier_wait -1
	s_and_saveexec_b32 s24, s6
	s_cbranch_execz .LBB170_6
; %bb.34:                               ;   in Loop: Header=BB170_7 Depth=1
	ds_load_b64 v[8:9], v3
	s_wait_dscnt 0x0
	v_min_i32_e32 v2, v9, v8
	ds_store_b32 v3, v2
	s_branch .LBB170_6
.LBB170_35:                             ;   in Loop: Header=BB170_7 Depth=1
	s_branch .LBB170_19
.LBB170_36:
	s_endpgm
	.section	.rodata,"a",@progbits
	.p2align	6, 0x0
	.amdhsa_kernel _ZN9rocsparseL40csr2gebsr_block_per_row_multipass_kernelILj128ELj64ELj2E21rocsparse_complex_numIfEEEv20rocsparse_direction_iiiiii21rocsparse_index_base_PKT2_PKiS9_S4_PS5_PiSB_
		.amdhsa_group_segment_fixed_size 1028
		.amdhsa_private_segment_fixed_size 0
		.amdhsa_kernarg_size 88
		.amdhsa_user_sgpr_count 2
		.amdhsa_user_sgpr_dispatch_ptr 0
		.amdhsa_user_sgpr_queue_ptr 0
		.amdhsa_user_sgpr_kernarg_segment_ptr 1
		.amdhsa_user_sgpr_dispatch_id 0
		.amdhsa_user_sgpr_kernarg_preload_length 0
		.amdhsa_user_sgpr_kernarg_preload_offset 0
		.amdhsa_user_sgpr_private_segment_size 0
		.amdhsa_wavefront_size32 1
		.amdhsa_uses_dynamic_stack 0
		.amdhsa_enable_private_segment 0
		.amdhsa_system_sgpr_workgroup_id_x 1
		.amdhsa_system_sgpr_workgroup_id_y 0
		.amdhsa_system_sgpr_workgroup_id_z 0
		.amdhsa_system_sgpr_workgroup_info 0
		.amdhsa_system_vgpr_workitem_id 0
		.amdhsa_next_free_vgpr 25
		.amdhsa_next_free_sgpr 31
		.amdhsa_named_barrier_count 0
		.amdhsa_reserve_vcc 1
		.amdhsa_float_round_mode_32 0
		.amdhsa_float_round_mode_16_64 0
		.amdhsa_float_denorm_mode_32 3
		.amdhsa_float_denorm_mode_16_64 3
		.amdhsa_fp16_overflow 0
		.amdhsa_memory_ordered 1
		.amdhsa_forward_progress 1
		.amdhsa_inst_pref_size 13
		.amdhsa_round_robin_scheduling 0
		.amdhsa_exception_fp_ieee_invalid_op 0
		.amdhsa_exception_fp_denorm_src 0
		.amdhsa_exception_fp_ieee_div_zero 0
		.amdhsa_exception_fp_ieee_overflow 0
		.amdhsa_exception_fp_ieee_underflow 0
		.amdhsa_exception_fp_ieee_inexact 0
		.amdhsa_exception_int_div_zero 0
	.end_amdhsa_kernel
	.section	.text._ZN9rocsparseL40csr2gebsr_block_per_row_multipass_kernelILj128ELj64ELj2E21rocsparse_complex_numIfEEEv20rocsparse_direction_iiiiii21rocsparse_index_base_PKT2_PKiS9_S4_PS5_PiSB_,"axG",@progbits,_ZN9rocsparseL40csr2gebsr_block_per_row_multipass_kernelILj128ELj64ELj2E21rocsparse_complex_numIfEEEv20rocsparse_direction_iiiiii21rocsparse_index_base_PKT2_PKiS9_S4_PS5_PiSB_,comdat
.Lfunc_end170:
	.size	_ZN9rocsparseL40csr2gebsr_block_per_row_multipass_kernelILj128ELj64ELj2E21rocsparse_complex_numIfEEEv20rocsparse_direction_iiiiii21rocsparse_index_base_PKT2_PKiS9_S4_PS5_PiSB_, .Lfunc_end170-_ZN9rocsparseL40csr2gebsr_block_per_row_multipass_kernelILj128ELj64ELj2E21rocsparse_complex_numIfEEEv20rocsparse_direction_iiiiii21rocsparse_index_base_PKT2_PKiS9_S4_PS5_PiSB_
                                        ; -- End function
	.set _ZN9rocsparseL40csr2gebsr_block_per_row_multipass_kernelILj128ELj64ELj2E21rocsparse_complex_numIfEEEv20rocsparse_direction_iiiiii21rocsparse_index_base_PKT2_PKiS9_S4_PS5_PiSB_.num_vgpr, 25
	.set _ZN9rocsparseL40csr2gebsr_block_per_row_multipass_kernelILj128ELj64ELj2E21rocsparse_complex_numIfEEEv20rocsparse_direction_iiiiii21rocsparse_index_base_PKT2_PKiS9_S4_PS5_PiSB_.num_agpr, 0
	.set _ZN9rocsparseL40csr2gebsr_block_per_row_multipass_kernelILj128ELj64ELj2E21rocsparse_complex_numIfEEEv20rocsparse_direction_iiiiii21rocsparse_index_base_PKT2_PKiS9_S4_PS5_PiSB_.numbered_sgpr, 31
	.set _ZN9rocsparseL40csr2gebsr_block_per_row_multipass_kernelILj128ELj64ELj2E21rocsparse_complex_numIfEEEv20rocsparse_direction_iiiiii21rocsparse_index_base_PKT2_PKiS9_S4_PS5_PiSB_.num_named_barrier, 0
	.set _ZN9rocsparseL40csr2gebsr_block_per_row_multipass_kernelILj128ELj64ELj2E21rocsparse_complex_numIfEEEv20rocsparse_direction_iiiiii21rocsparse_index_base_PKT2_PKiS9_S4_PS5_PiSB_.private_seg_size, 0
	.set _ZN9rocsparseL40csr2gebsr_block_per_row_multipass_kernelILj128ELj64ELj2E21rocsparse_complex_numIfEEEv20rocsparse_direction_iiiiii21rocsparse_index_base_PKT2_PKiS9_S4_PS5_PiSB_.uses_vcc, 1
	.set _ZN9rocsparseL40csr2gebsr_block_per_row_multipass_kernelILj128ELj64ELj2E21rocsparse_complex_numIfEEEv20rocsparse_direction_iiiiii21rocsparse_index_base_PKT2_PKiS9_S4_PS5_PiSB_.uses_flat_scratch, 0
	.set _ZN9rocsparseL40csr2gebsr_block_per_row_multipass_kernelILj128ELj64ELj2E21rocsparse_complex_numIfEEEv20rocsparse_direction_iiiiii21rocsparse_index_base_PKT2_PKiS9_S4_PS5_PiSB_.has_dyn_sized_stack, 0
	.set _ZN9rocsparseL40csr2gebsr_block_per_row_multipass_kernelILj128ELj64ELj2E21rocsparse_complex_numIfEEEv20rocsparse_direction_iiiiii21rocsparse_index_base_PKT2_PKiS9_S4_PS5_PiSB_.has_recursion, 0
	.set _ZN9rocsparseL40csr2gebsr_block_per_row_multipass_kernelILj128ELj64ELj2E21rocsparse_complex_numIfEEEv20rocsparse_direction_iiiiii21rocsparse_index_base_PKT2_PKiS9_S4_PS5_PiSB_.has_indirect_call, 0
	.section	.AMDGPU.csdata,"",@progbits
; Kernel info:
; codeLenInByte = 1600
; TotalNumSgprs: 33
; NumVgprs: 25
; ScratchSize: 0
; MemoryBound: 0
; FloatMode: 240
; IeeeMode: 1
; LDSByteSize: 1028 bytes/workgroup (compile time only)
; SGPRBlocks: 0
; VGPRBlocks: 1
; NumSGPRsForWavesPerEU: 33
; NumVGPRsForWavesPerEU: 25
; NamedBarCnt: 0
; Occupancy: 16
; WaveLimiterHint : 0
; COMPUTE_PGM_RSRC2:SCRATCH_EN: 0
; COMPUTE_PGM_RSRC2:USER_SGPR: 2
; COMPUTE_PGM_RSRC2:TRAP_HANDLER: 0
; COMPUTE_PGM_RSRC2:TGID_X_EN: 1
; COMPUTE_PGM_RSRC2:TGID_Y_EN: 0
; COMPUTE_PGM_RSRC2:TGID_Z_EN: 0
; COMPUTE_PGM_RSRC2:TIDIG_COMP_CNT: 0
	.section	.text._ZN9rocsparseL40csr2gebsr_block_per_row_multipass_kernelILj256ELj64ELj4E21rocsparse_complex_numIfEEEv20rocsparse_direction_iiiiii21rocsparse_index_base_PKT2_PKiS9_S4_PS5_PiSB_,"axG",@progbits,_ZN9rocsparseL40csr2gebsr_block_per_row_multipass_kernelILj256ELj64ELj4E21rocsparse_complex_numIfEEEv20rocsparse_direction_iiiiii21rocsparse_index_base_PKT2_PKiS9_S4_PS5_PiSB_,comdat
	.globl	_ZN9rocsparseL40csr2gebsr_block_per_row_multipass_kernelILj256ELj64ELj4E21rocsparse_complex_numIfEEEv20rocsparse_direction_iiiiii21rocsparse_index_base_PKT2_PKiS9_S4_PS5_PiSB_ ; -- Begin function _ZN9rocsparseL40csr2gebsr_block_per_row_multipass_kernelILj256ELj64ELj4E21rocsparse_complex_numIfEEEv20rocsparse_direction_iiiiii21rocsparse_index_base_PKT2_PKiS9_S4_PS5_PiSB_
	.p2align	8
	.type	_ZN9rocsparseL40csr2gebsr_block_per_row_multipass_kernelILj256ELj64ELj4E21rocsparse_complex_numIfEEEv20rocsparse_direction_iiiiii21rocsparse_index_base_PKT2_PKiS9_S4_PS5_PiSB_,@function
_ZN9rocsparseL40csr2gebsr_block_per_row_multipass_kernelILj256ELj64ELj4E21rocsparse_complex_numIfEEEv20rocsparse_direction_iiiiii21rocsparse_index_base_PKT2_PKiS9_S4_PS5_PiSB_: ; @_ZN9rocsparseL40csr2gebsr_block_per_row_multipass_kernelILj256ELj64ELj4E21rocsparse_complex_numIfEEEv20rocsparse_direction_iiiiii21rocsparse_index_base_PKT2_PKiS9_S4_PS5_PiSB_
; %bb.0:
	s_clause 0x1
	s_load_b128 s[12:15], s[0:1], 0x10
	s_load_b64 s[30:31], s[0:1], 0x0
	s_bfe_u32 s2, ttmp6, 0x4000c
	s_and_b32 s3, ttmp6, 15
	s_add_co_i32 s2, s2, 1
	s_getreg_b32 s4, hwreg(HW_REG_IB_STS2, 6, 4)
	s_mul_i32 s2, ttmp9, s2
	v_dual_lshrrev_b32 v4, 2, v0 :: v_dual_mov_b32 v10, 0
	s_add_co_i32 s3, s3, s2
	s_cmp_eq_u32 s4, 0
	s_load_b64 s[6:7], s[0:1], 0x28
	s_cselect_b32 s4, ttmp9, s3
	v_mov_b32_e32 v19, 0
	s_wait_kmcnt 0x0
	v_mad_u32 v1, s13, s4, v4
	v_cmp_gt_i32_e32 vcc_lo, s13, v4
	s_delay_alu instid0(VALU_DEP_2) | instskip(SKIP_1) | instid1(SALU_CYCLE_1)
	v_cmp_gt_i32_e64 s2, s31, v1
	s_and_b32 s2, vcc_lo, s2
	s_and_saveexec_b32 s3, s2
	s_cbranch_execnz .LBB171_3
; %bb.1:
	s_or_b32 exec_lo, exec_lo, s3
	s_and_saveexec_b32 s3, s2
	s_cbranch_execnz .LBB171_4
.LBB171_2:
	s_or_b32 exec_lo, exec_lo, s3
	s_cmp_lt_i32 s12, 1
	s_cbranch_scc0 .LBB171_5
	s_branch .LBB171_38
.LBB171_3:
	global_load_b32 v2, v1, s[6:7] scale_offset
	s_wait_loadcnt 0x0
	v_subrev_nc_u32_e32 v19, s15, v2
	s_or_b32 exec_lo, exec_lo, s3
	s_and_saveexec_b32 s3, s2
	s_cbranch_execz .LBB171_2
.LBB171_4:
	global_load_b32 v1, v1, s[6:7] offset:4 scale_offset
	s_wait_loadcnt 0x0
	v_subrev_nc_u32_e32 v10, s15, v1
	s_or_b32 exec_lo, exec_lo, s3
	s_cmp_lt_i32 s12, 1
	s_cbranch_scc1 .LBB171_38
.LBB171_5:
	s_clause 0x1
	s_load_b128 s[16:19], s[0:1], 0x40
	s_load_b64 s[10:11], s[0:1], 0x50
	s_ashr_i32 s5, s4, 31
	s_clause 0x1
	s_load_b96 s[20:22], s[0:1], 0x30
	s_load_b64 s[24:25], s[0:1], 0x20
	s_wait_xcnt 0x0
	s_lshl_b64 s[0:1], s[4:5], 2
	v_dual_lshlrev_b32 v12, 3, v0 :: v_dual_bitop2_b32 v11, 3, v0 bitop3:0x40
	v_and_b32_e32 v5, 0xfc, v0
	v_mbcnt_lo_u32_b32 v16, -1, 0
	v_dual_mov_b32 v1, 0 :: v_dual_lshlrev_b32 v17, 2, v0
	s_delay_alu instid0(VALU_DEP_4)
	v_cmp_gt_u32_e64 s8, s14, v11
	v_cmp_gt_u32_e64 s2, 32, v0
	;; [unrolled: 1-line block ×5, first 2 shown]
	s_and_b32 s23, vcc_lo, s8
	v_cmp_gt_u32_e64 s6, 2, v0
	v_cmp_eq_u32_e64 s7, 0, v0
	v_mul_lo_u32 v6, s14, v4
	s_wait_kmcnt 0x0
	s_add_nc_u64 s[0:1], s[18:19], s[0:1]
	s_mov_b32 s18, s13
	s_load_b32 s9, s[0:1], 0x0
	s_wait_xcnt 0x0
	v_cmp_gt_u32_e64 s0, 0x80, v0
	v_cmp_gt_u32_e64 s1, 64, v0
	v_mul_lo_u32 v0, s13, v11
	v_dual_mov_b32 v13, 1 :: v_dual_bitop2_b32 v7, 2, v16 bitop3:0x14
	v_dual_lshlrev_b32 v14, 3, v5 :: v_dual_bitop2_b32 v5, 1, v16 bitop3:0x14
	v_mov_b64_e32 v[2:3], 0
	v_lshl_or_b32 v15, v16, 2, 12
	s_delay_alu instid0(VALU_DEP_4)
	v_cmp_gt_i32_e32 vcc_lo, 32, v7
	s_mov_b32 s19, 0
	s_mov_b32 s26, s14
	v_mov_b32_e32 v21, 0
	v_lshl_add_u64 v[8:9], v[0:1], 3, s[16:17]
	v_dual_cndmask_b32 v20, v16, v7 :: v_dual_ashrrev_i32 v7, 31, v6
	v_cmp_gt_i32_e32 vcc_lo, 32, v5
	v_lshlrev_b32_e32 v0, 3, v4
	s_wait_kmcnt 0x0
	s_sub_co_i32 s28, s9, s22
	s_cmp_lg_u32 s30, 0
	v_lshl_add_u64 v[6:7], v[6:7], 3, s[16:17]
	s_cselect_b32 s13, -1, 0
	s_abs_i32 s30, s14
	s_ashr_i32 s27, s14, 31
	s_cvt_f32_u32 s8, s30
	s_sub_co_i32 s9, 0, s30
	s_mul_u64 s[16:17], s[26:27], s[18:19]
	s_delay_alu instid0(SALU_CYCLE_1) | instskip(SKIP_1) | instid1(TRANS32_DEP_1)
	v_rcp_iflag_f32_e32 v18, s8
	v_nop
	v_readfirstlane_b32 s8, v18
	v_cndmask_b32_e32 v18, v16, v5, vcc_lo
	v_add_nc_u64_e32 v[4:5], v[8:9], v[0:1]
	v_dual_lshlrev_b32 v0, 3, v11 :: v_dual_sub_nc_u32 v8, 0, v17
	s_mul_f32 s8, s8, 0x4f7ffffe
	s_delay_alu instid0(VALU_DEP_3) | instskip(NEXT) | instid1(VALU_DEP_2)
	v_dual_lshlrev_b32 v16, 2, v20 :: v_dual_lshlrev_b32 v17, 2, v18
	v_add_nc_u64_e32 v[6:7], v[6:7], v[0:1]
	s_delay_alu instid0(SALU_CYCLE_1) | instskip(SKIP_1) | instid1(SALU_CYCLE_2)
	s_cvt_u32_f32 s8, s8
	v_add_nc_u32_e32 v18, v12, v8
	s_mul_i32 s9, s9, s8
	s_delay_alu instid0(SALU_CYCLE_1) | instskip(NEXT) | instid1(SALU_CYCLE_1)
	s_mul_hi_u32 s9, s8, s9
	s_add_co_i32 s18, s8, s9
	s_branch .LBB171_7
.LBB171_6:                              ;   in Loop: Header=BB171_7 Depth=1
	s_or_b32 exec_lo, exec_lo, s9
	s_wait_dscnt 0x0
	s_barrier_signal -1
	s_barrier_wait -1
	ds_load_b32 v21, v1
	s_add_co_i32 s28, s8, s28
	s_wait_dscnt 0x0
	s_barrier_signal -1
	s_barrier_wait -1
	v_cmp_gt_i32_e32 vcc_lo, s12, v21
	s_cbranch_vccz .LBB171_38
.LBB171_7:                              ; =>This Loop Header: Depth=1
                                        ;     Child Loop BB171_10 Depth 2
	v_dual_add_nc_u32 v8, v19, v11 :: v_dual_mov_b32 v20, s12
	v_mov_b32_e32 v9, v10
	s_mov_b32 s9, exec_lo
	ds_store_b8 v1, v1 offset:2048
	ds_store_b64 v12, v[2:3]
	s_wait_dscnt 0x0
	s_barrier_signal -1
	s_barrier_wait -1
	v_cmpx_lt_i32_e64 v8, v10
	s_cbranch_execz .LBB171_15
; %bb.8:                                ;   in Loop: Header=BB171_7 Depth=1
	v_mul_lo_u32 v19, v21, s14
	v_dual_mov_b32 v20, s12 :: v_dual_mov_b32 v9, v10
	s_mov_b32 s26, 0
	s_branch .LBB171_10
.LBB171_9:                              ;   in Loop: Header=BB171_10 Depth=2
	s_wait_xcnt 0x0
	s_or_b32 exec_lo, exec_lo, s8
	v_add_nc_u32_e32 v8, 4, v8
	s_xor_b32 s29, vcc_lo, -1
	s_delay_alu instid0(VALU_DEP_1) | instskip(SKIP_1) | instid1(SALU_CYCLE_1)
	v_cmp_ge_i32_e64 s8, v8, v10
	s_or_b32 s8, s29, s8
	s_and_b32 s8, exec_lo, s8
	s_delay_alu instid0(SALU_CYCLE_1) | instskip(NEXT) | instid1(SALU_CYCLE_1)
	s_or_b32 s26, s8, s26
	s_and_not1_b32 exec_lo, exec_lo, s26
	s_cbranch_execz .LBB171_14
.LBB171_10:                             ;   Parent Loop BB171_7 Depth=1
                                        ; =>  This Inner Loop Header: Depth=2
	global_load_b32 v0, v8, s[20:21] scale_offset
	s_wait_loadcnt 0x0
	v_subrev_nc_u32_e32 v22, s15, v0
	s_delay_alu instid0(VALU_DEP_1) | instskip(NEXT) | instid1(VALU_DEP_1)
	v_sub_nc_u32_e32 v0, 0, v22
	v_max_i32_e32 v0, v22, v0
	s_delay_alu instid0(VALU_DEP_1) | instskip(NEXT) | instid1(VALU_DEP_1)
	v_mul_u64_e32 v[24:25], s[18:19], v[0:1]
	v_mul_lo_u32 v23, v25, s30
	s_delay_alu instid0(VALU_DEP_1) | instskip(NEXT) | instid1(VALU_DEP_1)
	v_dual_sub_nc_u32 v0, v0, v23 :: v_dual_add_nc_u32 v23, 1, v25
	v_cmp_le_u32_e32 vcc_lo, s30, v0
	s_delay_alu instid0(VALU_DEP_2) | instskip(SKIP_1) | instid1(VALU_DEP_1)
	v_dual_cndmask_b32 v23, v25, v23, vcc_lo :: v_dual_ashrrev_i32 v25, 31, v22
	v_subrev_nc_u32_e32 v24, s30, v0
	v_dual_cndmask_b32 v0, v0, v24, vcc_lo :: v_dual_add_nc_u32 v24, 1, v23
	s_delay_alu instid0(VALU_DEP_1) | instskip(NEXT) | instid1(VALU_DEP_2)
	v_cmp_le_u32_e32 vcc_lo, s30, v0
	v_dual_cndmask_b32 v0, v23, v24, vcc_lo :: v_dual_bitop2_b32 v25, s27, v25 bitop3:0x14
	s_delay_alu instid0(VALU_DEP_1) | instskip(NEXT) | instid1(VALU_DEP_1)
	v_xor_b32_e32 v0, v0, v25
	v_dual_mov_b32 v0, v9 :: v_dual_sub_nc_u32 v23, v0, v25
	s_delay_alu instid0(VALU_DEP_1) | instskip(SKIP_3) | instid1(SALU_CYCLE_1)
	v_cmp_ne_u32_e64 s8, v23, v21
	v_cmp_eq_u32_e32 vcc_lo, v23, v21
	s_wait_xcnt 0x0
	s_and_saveexec_b32 s29, s8
	s_xor_b32 s8, exec_lo, s29
; %bb.11:                               ;   in Loop: Header=BB171_10 Depth=2
	v_min_i32_e32 v20, v23, v20
                                        ; implicit-def: $vgpr22
                                        ; implicit-def: $vgpr0
; %bb.12:                               ;   in Loop: Header=BB171_10 Depth=2
	s_or_saveexec_b32 s8, s8
	v_mov_b32_e32 v9, v8
	s_xor_b32 exec_lo, exec_lo, s8
	s_cbranch_execz .LBB171_9
; %bb.13:                               ;   in Loop: Header=BB171_10 Depth=2
	v_ashrrev_i32_e32 v9, 31, v8
	s_delay_alu instid0(VALU_DEP_1)
	v_lshl_add_u64 v[24:25], v[8:9], 3, s[24:25]
	v_sub_nc_u32_e32 v9, v22, v19
	global_load_b64 v[24:25], v[24:25], off
	v_lshl_add_u32 v22, v9, 3, v14
	v_mov_b32_e32 v9, v0
	ds_store_b8 v1, v13 offset:2048
	s_wait_loadcnt 0x0
	ds_store_b64 v22, v[24:25]
	s_branch .LBB171_9
.LBB171_14:                             ;   in Loop: Header=BB171_7 Depth=1
	s_or_b32 exec_lo, exec_lo, s26
.LBB171_15:                             ;   in Loop: Header=BB171_7 Depth=1
	s_delay_alu instid0(SALU_CYCLE_1)
	s_or_b32 exec_lo, exec_lo, s9
	ds_bpermute_b32 v0, v16, v9
	s_wait_dscnt 0x0
	s_barrier_signal -1
	s_barrier_wait -1
	s_mov_b32 s8, 0
	v_min_i32_e32 v0, v0, v9
	ds_load_u8 v9, v1 offset:2048
	ds_bpermute_b32 v8, v17, v0
	s_wait_dscnt 0x0
	v_min_i32_e32 v0, v8, v0
	ds_bpermute_b32 v19, v15, v0
	v_and_b32_e32 v0, 1, v9
	s_delay_alu instid0(VALU_DEP_1)
	v_cmp_eq_u32_e32 vcc_lo, 0, v0
	s_cbranch_vccnz .LBB171_21
; %bb.16:                               ;   in Loop: Header=BB171_7 Depth=1
	v_dual_add_nc_u32 v0, s22, v21 :: v_dual_mov_b32 v8, s28
	global_store_b32 v8, v0, s[10:11] scale_offset
	s_wait_xcnt 0x0
	s_and_saveexec_b32 s26, s23
	s_cbranch_execz .LBB171_20
; %bb.17:                               ;   in Loop: Header=BB171_7 Depth=1
	ds_load_b64 v[8:9], v12
	s_ashr_i32 s29, s28, 31
	s_and_b32 vcc_lo, exec_lo, s13
	s_mul_u64 s[8:9], s[16:17], s[28:29]
	s_cbranch_vccz .LBB171_37
; %bb.18:                               ;   in Loop: Header=BB171_7 Depth=1
	v_lshl_add_u64 v[22:23], s[8:9], 3, v[4:5]
	s_wait_dscnt 0x0
	global_store_b64 v[22:23], v[8:9], off
	s_cbranch_execnz .LBB171_20
.LBB171_19:                             ;   in Loop: Header=BB171_7 Depth=1
	s_wait_xcnt 0x0
	v_lshl_add_u64 v[22:23], s[8:9], 3, v[6:7]
	s_wait_dscnt 0x0
	global_store_b64 v[22:23], v[8:9], off
.LBB171_20:                             ;   in Loop: Header=BB171_7 Depth=1
	s_wait_xcnt 0x0
	s_or_b32 exec_lo, exec_lo, s26
	s_mov_b32 s8, 1
.LBB171_21:                             ;   in Loop: Header=BB171_7 Depth=1
	s_wait_storecnt_dscnt 0x0
	s_barrier_signal -1
	s_barrier_wait -1
	ds_store_b32 v18, v20
	s_wait_dscnt 0x0
	s_barrier_signal -1
	s_barrier_wait -1
	s_and_saveexec_b32 s9, s0
	s_cbranch_execz .LBB171_23
; %bb.22:                               ;   in Loop: Header=BB171_7 Depth=1
	ds_load_2addr_stride64_b32 v[8:9], v18 offset1:2
	s_wait_dscnt 0x0
	v_min_i32_e32 v0, v9, v8
	ds_store_b32 v18, v0
.LBB171_23:                             ;   in Loop: Header=BB171_7 Depth=1
	s_or_b32 exec_lo, exec_lo, s9
	s_wait_dscnt 0x0
	s_barrier_signal -1
	s_barrier_wait -1
	s_and_saveexec_b32 s9, s1
	s_cbranch_execz .LBB171_25
; %bb.24:                               ;   in Loop: Header=BB171_7 Depth=1
	ds_load_2addr_stride64_b32 v[8:9], v18 offset1:1
	s_wait_dscnt 0x0
	v_min_i32_e32 v0, v9, v8
	ds_store_b32 v18, v0
.LBB171_25:                             ;   in Loop: Header=BB171_7 Depth=1
	s_or_b32 exec_lo, exec_lo, s9
	s_wait_dscnt 0x0
	s_barrier_signal -1
	s_barrier_wait -1
	s_and_saveexec_b32 s9, s2
	s_cbranch_execz .LBB171_27
; %bb.26:                               ;   in Loop: Header=BB171_7 Depth=1
	ds_load_2addr_b32 v[8:9], v18 offset1:32
	s_wait_dscnt 0x0
	v_min_i32_e32 v0, v9, v8
	ds_store_b32 v18, v0
.LBB171_27:                             ;   in Loop: Header=BB171_7 Depth=1
	s_or_b32 exec_lo, exec_lo, s9
	s_wait_dscnt 0x0
	s_barrier_signal -1
	s_barrier_wait -1
	s_and_saveexec_b32 s9, s3
	s_cbranch_execz .LBB171_29
; %bb.28:                               ;   in Loop: Header=BB171_7 Depth=1
	ds_load_2addr_b32 v[8:9], v18 offset1:16
	s_wait_dscnt 0x0
	v_min_i32_e32 v0, v9, v8
	ds_store_b32 v18, v0
.LBB171_29:                             ;   in Loop: Header=BB171_7 Depth=1
	;; [unrolled: 12-line block ×5, first 2 shown]
	s_or_b32 exec_lo, exec_lo, s9
	s_wait_dscnt 0x0
	s_barrier_signal -1
	s_barrier_wait -1
	s_and_saveexec_b32 s9, s7
	s_cbranch_execz .LBB171_6
; %bb.36:                               ;   in Loop: Header=BB171_7 Depth=1
	ds_load_b64 v[8:9], v1
	s_wait_dscnt 0x0
	v_min_i32_e32 v0, v9, v8
	ds_store_b32 v1, v0
	s_branch .LBB171_6
.LBB171_37:                             ;   in Loop: Header=BB171_7 Depth=1
	s_branch .LBB171_19
.LBB171_38:
	s_endpgm
	.section	.rodata,"a",@progbits
	.p2align	6, 0x0
	.amdhsa_kernel _ZN9rocsparseL40csr2gebsr_block_per_row_multipass_kernelILj256ELj64ELj4E21rocsparse_complex_numIfEEEv20rocsparse_direction_iiiiii21rocsparse_index_base_PKT2_PKiS9_S4_PS5_PiSB_
		.amdhsa_group_segment_fixed_size 2052
		.amdhsa_private_segment_fixed_size 0
		.amdhsa_kernarg_size 88
		.amdhsa_user_sgpr_count 2
		.amdhsa_user_sgpr_dispatch_ptr 0
		.amdhsa_user_sgpr_queue_ptr 0
		.amdhsa_user_sgpr_kernarg_segment_ptr 1
		.amdhsa_user_sgpr_dispatch_id 0
		.amdhsa_user_sgpr_kernarg_preload_length 0
		.amdhsa_user_sgpr_kernarg_preload_offset 0
		.amdhsa_user_sgpr_private_segment_size 0
		.amdhsa_wavefront_size32 1
		.amdhsa_uses_dynamic_stack 0
		.amdhsa_enable_private_segment 0
		.amdhsa_system_sgpr_workgroup_id_x 1
		.amdhsa_system_sgpr_workgroup_id_y 0
		.amdhsa_system_sgpr_workgroup_id_z 0
		.amdhsa_system_sgpr_workgroup_info 0
		.amdhsa_system_vgpr_workitem_id 0
		.amdhsa_next_free_vgpr 26
		.amdhsa_next_free_sgpr 32
		.amdhsa_named_barrier_count 0
		.amdhsa_reserve_vcc 1
		.amdhsa_float_round_mode_32 0
		.amdhsa_float_round_mode_16_64 0
		.amdhsa_float_denorm_mode_32 3
		.amdhsa_float_denorm_mode_16_64 3
		.amdhsa_fp16_overflow 0
		.amdhsa_memory_ordered 1
		.amdhsa_forward_progress 1
		.amdhsa_inst_pref_size 14
		.amdhsa_round_robin_scheduling 0
		.amdhsa_exception_fp_ieee_invalid_op 0
		.amdhsa_exception_fp_denorm_src 0
		.amdhsa_exception_fp_ieee_div_zero 0
		.amdhsa_exception_fp_ieee_overflow 0
		.amdhsa_exception_fp_ieee_underflow 0
		.amdhsa_exception_fp_ieee_inexact 0
		.amdhsa_exception_int_div_zero 0
	.end_amdhsa_kernel
	.section	.text._ZN9rocsparseL40csr2gebsr_block_per_row_multipass_kernelILj256ELj64ELj4E21rocsparse_complex_numIfEEEv20rocsparse_direction_iiiiii21rocsparse_index_base_PKT2_PKiS9_S4_PS5_PiSB_,"axG",@progbits,_ZN9rocsparseL40csr2gebsr_block_per_row_multipass_kernelILj256ELj64ELj4E21rocsparse_complex_numIfEEEv20rocsparse_direction_iiiiii21rocsparse_index_base_PKT2_PKiS9_S4_PS5_PiSB_,comdat
.Lfunc_end171:
	.size	_ZN9rocsparseL40csr2gebsr_block_per_row_multipass_kernelILj256ELj64ELj4E21rocsparse_complex_numIfEEEv20rocsparse_direction_iiiiii21rocsparse_index_base_PKT2_PKiS9_S4_PS5_PiSB_, .Lfunc_end171-_ZN9rocsparseL40csr2gebsr_block_per_row_multipass_kernelILj256ELj64ELj4E21rocsparse_complex_numIfEEEv20rocsparse_direction_iiiiii21rocsparse_index_base_PKT2_PKiS9_S4_PS5_PiSB_
                                        ; -- End function
	.set _ZN9rocsparseL40csr2gebsr_block_per_row_multipass_kernelILj256ELj64ELj4E21rocsparse_complex_numIfEEEv20rocsparse_direction_iiiiii21rocsparse_index_base_PKT2_PKiS9_S4_PS5_PiSB_.num_vgpr, 26
	.set _ZN9rocsparseL40csr2gebsr_block_per_row_multipass_kernelILj256ELj64ELj4E21rocsparse_complex_numIfEEEv20rocsparse_direction_iiiiii21rocsparse_index_base_PKT2_PKiS9_S4_PS5_PiSB_.num_agpr, 0
	.set _ZN9rocsparseL40csr2gebsr_block_per_row_multipass_kernelILj256ELj64ELj4E21rocsparse_complex_numIfEEEv20rocsparse_direction_iiiiii21rocsparse_index_base_PKT2_PKiS9_S4_PS5_PiSB_.numbered_sgpr, 32
	.set _ZN9rocsparseL40csr2gebsr_block_per_row_multipass_kernelILj256ELj64ELj4E21rocsparse_complex_numIfEEEv20rocsparse_direction_iiiiii21rocsparse_index_base_PKT2_PKiS9_S4_PS5_PiSB_.num_named_barrier, 0
	.set _ZN9rocsparseL40csr2gebsr_block_per_row_multipass_kernelILj256ELj64ELj4E21rocsparse_complex_numIfEEEv20rocsparse_direction_iiiiii21rocsparse_index_base_PKT2_PKiS9_S4_PS5_PiSB_.private_seg_size, 0
	.set _ZN9rocsparseL40csr2gebsr_block_per_row_multipass_kernelILj256ELj64ELj4E21rocsparse_complex_numIfEEEv20rocsparse_direction_iiiiii21rocsparse_index_base_PKT2_PKiS9_S4_PS5_PiSB_.uses_vcc, 1
	.set _ZN9rocsparseL40csr2gebsr_block_per_row_multipass_kernelILj256ELj64ELj4E21rocsparse_complex_numIfEEEv20rocsparse_direction_iiiiii21rocsparse_index_base_PKT2_PKiS9_S4_PS5_PiSB_.uses_flat_scratch, 0
	.set _ZN9rocsparseL40csr2gebsr_block_per_row_multipass_kernelILj256ELj64ELj4E21rocsparse_complex_numIfEEEv20rocsparse_direction_iiiiii21rocsparse_index_base_PKT2_PKiS9_S4_PS5_PiSB_.has_dyn_sized_stack, 0
	.set _ZN9rocsparseL40csr2gebsr_block_per_row_multipass_kernelILj256ELj64ELj4E21rocsparse_complex_numIfEEEv20rocsparse_direction_iiiiii21rocsparse_index_base_PKT2_PKiS9_S4_PS5_PiSB_.has_recursion, 0
	.set _ZN9rocsparseL40csr2gebsr_block_per_row_multipass_kernelILj256ELj64ELj4E21rocsparse_complex_numIfEEEv20rocsparse_direction_iiiiii21rocsparse_index_base_PKT2_PKiS9_S4_PS5_PiSB_.has_indirect_call, 0
	.section	.AMDGPU.csdata,"",@progbits
; Kernel info:
; codeLenInByte = 1712
; TotalNumSgprs: 34
; NumVgprs: 26
; ScratchSize: 0
; MemoryBound: 0
; FloatMode: 240
; IeeeMode: 1
; LDSByteSize: 2052 bytes/workgroup (compile time only)
; SGPRBlocks: 0
; VGPRBlocks: 1
; NumSGPRsForWavesPerEU: 34
; NumVGPRsForWavesPerEU: 26
; NamedBarCnt: 0
; Occupancy: 16
; WaveLimiterHint : 0
; COMPUTE_PGM_RSRC2:SCRATCH_EN: 0
; COMPUTE_PGM_RSRC2:USER_SGPR: 2
; COMPUTE_PGM_RSRC2:TRAP_HANDLER: 0
; COMPUTE_PGM_RSRC2:TGID_X_EN: 1
; COMPUTE_PGM_RSRC2:TGID_Y_EN: 0
; COMPUTE_PGM_RSRC2:TGID_Z_EN: 0
; COMPUTE_PGM_RSRC2:TIDIG_COMP_CNT: 0
	.section	.text._ZN9rocsparseL40csr2gebsr_block_per_row_multipass_kernelILj256ELj64ELj8E21rocsparse_complex_numIfEEEv20rocsparse_direction_iiiiii21rocsparse_index_base_PKT2_PKiS9_S4_PS5_PiSB_,"axG",@progbits,_ZN9rocsparseL40csr2gebsr_block_per_row_multipass_kernelILj256ELj64ELj8E21rocsparse_complex_numIfEEEv20rocsparse_direction_iiiiii21rocsparse_index_base_PKT2_PKiS9_S4_PS5_PiSB_,comdat
	.globl	_ZN9rocsparseL40csr2gebsr_block_per_row_multipass_kernelILj256ELj64ELj8E21rocsparse_complex_numIfEEEv20rocsparse_direction_iiiiii21rocsparse_index_base_PKT2_PKiS9_S4_PS5_PiSB_ ; -- Begin function _ZN9rocsparseL40csr2gebsr_block_per_row_multipass_kernelILj256ELj64ELj8E21rocsparse_complex_numIfEEEv20rocsparse_direction_iiiiii21rocsparse_index_base_PKT2_PKiS9_S4_PS5_PiSB_
	.p2align	8
	.type	_ZN9rocsparseL40csr2gebsr_block_per_row_multipass_kernelILj256ELj64ELj8E21rocsparse_complex_numIfEEEv20rocsparse_direction_iiiiii21rocsparse_index_base_PKT2_PKiS9_S4_PS5_PiSB_,@function
_ZN9rocsparseL40csr2gebsr_block_per_row_multipass_kernelILj256ELj64ELj8E21rocsparse_complex_numIfEEEv20rocsparse_direction_iiiiii21rocsparse_index_base_PKT2_PKiS9_S4_PS5_PiSB_: ; @_ZN9rocsparseL40csr2gebsr_block_per_row_multipass_kernelILj256ELj64ELj8E21rocsparse_complex_numIfEEEv20rocsparse_direction_iiiiii21rocsparse_index_base_PKT2_PKiS9_S4_PS5_PiSB_
; %bb.0:
	s_clause 0x1
	s_load_b128 s[12:15], s[0:1], 0x10
	s_load_b64 s[8:9], s[0:1], 0x0
	s_bfe_u32 s2, ttmp6, 0x4000c
	s_and_b32 s3, ttmp6, 15
	s_add_co_i32 s2, s2, 1
	s_getreg_b32 s4, hwreg(HW_REG_IB_STS2, 6, 4)
	s_mul_i32 s2, ttmp9, s2
	v_dual_mov_b32 v18, 0 :: v_dual_lshrrev_b32 v1, 2, v0
	s_add_co_i32 s3, s3, s2
	s_cmp_eq_u32 s4, 0
	s_load_b64 s[6:7], s[0:1], 0x28
	s_cselect_b32 s4, ttmp9, s3
	v_mov_b32_e32 v27, 0
	s_wait_kmcnt 0x0
	v_mad_u32 v2, s13, s4, v1
	v_cmp_gt_i32_e32 vcc_lo, s13, v1
	s_delay_alu instid0(VALU_DEP_2) | instskip(SKIP_1) | instid1(SALU_CYCLE_1)
	v_cmp_gt_i32_e64 s2, s9, v2
	s_and_b32 s2, vcc_lo, s2
	s_and_saveexec_b32 s3, s2
	s_cbranch_execnz .LBB172_3
; %bb.1:
	s_or_b32 exec_lo, exec_lo, s3
	s_and_saveexec_b32 s3, s2
	s_cbranch_execnz .LBB172_4
.LBB172_2:
	s_or_b32 exec_lo, exec_lo, s3
	s_cmp_lt_i32 s12, 1
	s_cbranch_scc0 .LBB172_5
	s_branch .LBB172_43
.LBB172_3:
	global_load_b32 v3, v2, s[6:7] scale_offset
	s_wait_loadcnt 0x0
	v_subrev_nc_u32_e32 v27, s15, v3
	s_or_b32 exec_lo, exec_lo, s3
	s_and_saveexec_b32 s3, s2
	s_cbranch_execz .LBB172_2
.LBB172_4:
	global_load_b32 v2, v2, s[6:7] offset:4 scale_offset
	s_wait_loadcnt 0x0
	v_subrev_nc_u32_e32 v18, s15, v2
	s_or_b32 exec_lo, exec_lo, s3
	s_cmp_lt_i32 s12, 1
	s_cbranch_scc1 .LBB172_43
.LBB172_5:
	s_clause 0x3
	s_load_b128 s[16:19], s[0:1], 0x40
	s_load_b64 s[10:11], s[0:1], 0x50
	s_load_b96 s[20:22], s[0:1], 0x30
	s_load_b64 s[24:25], s[0:1], 0x20
	s_ashr_i32 s5, s4, 31
	v_dual_lshlrev_b32 v20, 6, v1 :: v_dual_bitop2_b32 v19, 3, v0 bitop3:0x40
	s_wait_xcnt 0x0
	s_lshl_b64 s[0:1], s[4:5], 2
	v_mbcnt_lo_u32_b32 v6, -1, 0
	v_dual_mov_b32 v3, 0 :: v_dual_lshlrev_b32 v2, 3, v1
	v_lshlrev_b32_e32 v10, 3, v19
	v_mul_lo_u32 v8, s14, v1
	s_delay_alu instid0(VALU_DEP_4) | instskip(NEXT) | instid1(VALU_DEP_4)
	v_xor_b32_e32 v9, 2, v6
	v_dual_mov_b32 v11, v3 :: v_dual_bitop2_b32 v12, 1, v6 bitop3:0x14
	v_mul_lo_u32 v4, v19, s13
	v_lshl_or_b32 v23, v6, 2, 12
	v_dual_mov_b32 v5, v3 :: v_dual_bitop2_b32 v13, 4, v19 bitop3:0x54
	s_wait_kmcnt 0x0
	s_add_nc_u64 s[0:1], s[18:19], s[0:1]
	s_mov_b32 s26, s13
	s_load_b32 s9, s[0:1], 0x0
	v_dual_mov_b32 v22, 1 :: v_dual_lshlrev_b32 v21, 2, v0
	s_wait_xcnt 0x0
	v_cmp_gt_u32_e64 s0, 0x80, v0
	v_cmp_gt_u32_e64 s1, 64, v0
	;; [unrolled: 1-line block ×7, first 2 shown]
	v_cmp_eq_u32_e64 s7, 0, v0
	v_mov_b64_e32 v[0:1], 0
	v_add_nc_u32_e32 v24, v10, v20
	s_mov_b32 s27, 0
	s_mov_b32 s18, s14
	s_wait_kmcnt 0x0
	s_sub_co_i32 s28, s9, s22
	s_cmp_lg_u32 s8, 0
	v_cmp_gt_u32_e64 s8, s14, v19
	s_cselect_b32 s23, -1, 0
	s_abs_i32 s30, s14
	s_delay_alu instid0(SALU_CYCLE_1) | instskip(NEXT) | instid1(SALU_CYCLE_3)
	s_cvt_f32_u32 s9, s30
	v_rcp_iflag_f32_e32 v14, s9
	v_cmp_gt_i32_e64 s9, 32, v9
	s_delay_alu instid0(VALU_DEP_1) | instskip(SKIP_1) | instid1(TRANS32_DEP_1)
	v_dual_mov_b32 v7, v3 :: v_dual_cndmask_b32 v15, v6, v9, s9
	v_cmp_gt_i32_e64 s9, 32, v12
	v_readfirstlane_b32 s19, v14
	s_delay_alu instid0(VALU_DEP_3) | instskip(NEXT) | instid1(VALU_DEP_3)
	v_dual_mov_b32 v14, 0 :: v_dual_lshlrev_b32 v25, 2, v15
	v_cndmask_b32_e64 v6, v6, v12, s9
	v_ashrrev_i32_e32 v9, 31, v8
	v_cmp_gt_u32_e64 s9, s14, v13
	s_delay_alu instid0(VALU_DEP_3)
	v_lshlrev_b32_e32 v26, 2, v6
	v_lshl_add_u32 v6, s13, 2, v4
	s_mul_f32 s13, s19, 0x4f7ffffe
	v_lshl_add_u64 v[12:13], v[8:9], 3, s[16:17]
	v_add_nc_u64_e32 v[8:9], s[16:17], v[2:3]
	s_ashr_i32 s19, s14, 31
	s_cvt_u32_f32 s29, s13
	s_and_b32 s13, vcc_lo, s8
	s_sub_co_i32 s8, 0, s30
	v_add_nc_u64_e32 v[10:11], v[12:13], v[10:11]
	s_mul_i32 s8, s8, s29
	s_mul_u64 s[16:17], s[18:19], s[26:27]
	s_mul_hi_u32 s8, s29, s8
	s_and_b32 s9, vcc_lo, s9
	s_add_co_i32 s26, s29, s8
	s_branch .LBB172_7
.LBB172_6:                              ;   in Loop: Header=BB172_7 Depth=1
	s_or_b32 exec_lo, exec_lo, s18
	s_wait_dscnt 0x0
	s_barrier_signal -1
	s_barrier_wait -1
	ds_load_b32 v14, v3
	s_add_co_i32 s28, s8, s28
	s_wait_dscnt 0x0
	s_barrier_signal -1
	s_barrier_wait -1
	v_cmp_gt_i32_e32 vcc_lo, s12, v14
	s_cbranch_vccz .LBB172_43
.LBB172_7:                              ; =>This Loop Header: Depth=1
                                        ;     Child Loop BB172_10 Depth 2
	v_dual_add_nc_u32 v12, v27, v19 :: v_dual_mov_b32 v28, s12
	v_mov_b32_e32 v13, v18
	s_mov_b32 s18, exec_lo
	ds_store_b8 v3, v3 offset:4096
	ds_store_2addr_b64 v24, v[0:1], v[0:1] offset1:4
	s_wait_dscnt 0x0
	s_barrier_signal -1
	s_barrier_wait -1
	v_cmpx_lt_i32_e64 v12, v18
	s_cbranch_execz .LBB172_15
; %bb.8:                                ;   in Loop: Header=BB172_7 Depth=1
	v_mul_lo_u32 v15, v14, s14
	v_dual_mov_b32 v28, s12 :: v_dual_mov_b32 v13, v18
	s_mov_b32 s29, 0
	s_branch .LBB172_10
.LBB172_9:                              ;   in Loop: Header=BB172_10 Depth=2
	s_wait_xcnt 0x0
	s_or_b32 exec_lo, exec_lo, s8
	v_add_nc_u32_e32 v12, 4, v12
	s_xor_b32 s31, vcc_lo, -1
	s_delay_alu instid0(VALU_DEP_1) | instskip(SKIP_1) | instid1(SALU_CYCLE_1)
	v_cmp_ge_i32_e64 s8, v12, v18
	s_or_b32 s8, s31, s8
	s_and_b32 s8, exec_lo, s8
	s_delay_alu instid0(SALU_CYCLE_1) | instskip(NEXT) | instid1(SALU_CYCLE_1)
	s_or_b32 s29, s8, s29
	s_and_not1_b32 exec_lo, exec_lo, s29
	s_cbranch_execz .LBB172_14
.LBB172_10:                             ;   Parent Loop BB172_7 Depth=1
                                        ; =>  This Inner Loop Header: Depth=2
	global_load_b32 v2, v12, s[20:21] scale_offset
	s_wait_loadcnt 0x0
	v_subrev_nc_u32_e32 v16, s15, v2
	s_delay_alu instid0(VALU_DEP_1) | instskip(NEXT) | instid1(VALU_DEP_1)
	v_dual_sub_nc_u32 v2, 0, v16 :: v_dual_ashrrev_i32 v29, 31, v16
	v_max_i32_e32 v2, v16, v2
	s_delay_alu instid0(VALU_DEP_1) | instskip(NEXT) | instid1(VALU_DEP_1)
	v_mul_u64_e32 v[30:31], s[26:27], v[2:3]
	v_mul_lo_u32 v17, v31, s30
	s_delay_alu instid0(VALU_DEP_1) | instskip(NEXT) | instid1(VALU_DEP_1)
	v_dual_sub_nc_u32 v2, v2, v17 :: v_dual_add_nc_u32 v17, 1, v31
	v_subrev_nc_u32_e32 v27, s30, v2
	v_cmp_le_u32_e32 vcc_lo, s30, v2
	s_delay_alu instid0(VALU_DEP_2) | instskip(NEXT) | instid1(VALU_DEP_1)
	v_dual_cndmask_b32 v17, v31, v17 :: v_dual_cndmask_b32 v2, v2, v27
	v_add_nc_u32_e32 v27, 1, v17
	s_delay_alu instid0(VALU_DEP_2) | instskip(NEXT) | instid1(VALU_DEP_2)
	v_cmp_le_u32_e32 vcc_lo, s30, v2
	v_dual_cndmask_b32 v2, v17, v27, vcc_lo :: v_dual_bitop2_b32 v29, s19, v29 bitop3:0x14
	s_delay_alu instid0(VALU_DEP_1) | instskip(NEXT) | instid1(VALU_DEP_1)
	v_xor_b32_e32 v2, v2, v29
	v_dual_mov_b32 v2, v13 :: v_dual_sub_nc_u32 v17, v2, v29
	s_delay_alu instid0(VALU_DEP_1) | instskip(SKIP_3) | instid1(SALU_CYCLE_1)
	v_cmp_ne_u32_e64 s8, v17, v14
	v_cmp_eq_u32_e32 vcc_lo, v17, v14
	s_wait_xcnt 0x0
	s_and_saveexec_b32 s31, s8
	s_xor_b32 s8, exec_lo, s31
; %bb.11:                               ;   in Loop: Header=BB172_10 Depth=2
	v_min_i32_e32 v28, v17, v28
                                        ; implicit-def: $vgpr16
                                        ; implicit-def: $vgpr2
; %bb.12:                               ;   in Loop: Header=BB172_10 Depth=2
	s_or_saveexec_b32 s8, s8
	v_mov_b32_e32 v13, v12
	s_xor_b32 exec_lo, exec_lo, s8
	s_cbranch_execz .LBB172_9
; %bb.13:                               ;   in Loop: Header=BB172_10 Depth=2
	v_ashrrev_i32_e32 v13, 31, v12
	s_delay_alu instid0(VALU_DEP_1)
	v_lshl_add_u64 v[30:31], v[12:13], 3, s[24:25]
	v_sub_nc_u32_e32 v13, v16, v15
	global_load_b64 v[30:31], v[30:31], off
	v_lshl_add_u32 v16, v13, 3, v20
	v_mov_b32_e32 v13, v2
	ds_store_b8 v3, v22 offset:4096
	s_wait_loadcnt 0x0
	ds_store_b64 v16, v[30:31]
	s_branch .LBB172_9
.LBB172_14:                             ;   in Loop: Header=BB172_7 Depth=1
	s_or_b32 exec_lo, exec_lo, s29
.LBB172_15:                             ;   in Loop: Header=BB172_7 Depth=1
	s_delay_alu instid0(SALU_CYCLE_1)
	s_or_b32 exec_lo, exec_lo, s18
	ds_bpermute_b32 v2, v25, v13
	s_wait_dscnt 0x0
	s_barrier_signal -1
	s_barrier_wait -1
	s_mov_b32 s8, 0
	v_min_i32_e32 v2, v2, v13
	ds_load_u8 v13, v3 offset:4096
	ds_bpermute_b32 v12, v26, v2
	s_wait_dscnt 0x0
	v_min_i32_e32 v2, v12, v2
	ds_bpermute_b32 v27, v23, v2
	v_and_b32_e32 v2, 1, v13
	s_delay_alu instid0(VALU_DEP_1)
	v_cmp_eq_u32_e32 vcc_lo, 0, v2
	s_cbranch_vccnz .LBB172_25
; %bb.16:                               ;   in Loop: Header=BB172_7 Depth=1
	s_ashr_i32 s29, s28, 31
	v_dual_add_nc_u32 v2, s22, v14 :: v_dual_mov_b32 v16, s28
	s_mul_u64 s[34:35], s[16:17], s[28:29]
	s_delay_alu instid0(SALU_CYCLE_1) | instskip(NEXT) | instid1(SALU_CYCLE_1)
	s_lshl_b64 s[34:35], s[34:35], 3
	v_add_nc_u64_e32 v[14:15], s[34:35], v[8:9]
	v_add_nc_u64_e32 v[12:13], s[34:35], v[10:11]
	global_store_b32 v16, v2, s[10:11] scale_offset
	s_wait_xcnt 0x0
	s_and_saveexec_b32 s8, s13
	s_cbranch_execz .LBB172_20
; %bb.17:                               ;   in Loop: Header=BB172_7 Depth=1
	s_and_b32 vcc_lo, exec_lo, s23
	s_cbranch_vccz .LBB172_41
; %bb.18:                               ;   in Loop: Header=BB172_7 Depth=1
	ds_load_b64 v[16:17], v24
	v_lshl_add_u64 v[30:31], v[4:5], 3, v[14:15]
	s_wait_dscnt 0x0
	global_store_b64 v[30:31], v[16:17], off
	s_cbranch_execnz .LBB172_20
.LBB172_19:                             ;   in Loop: Header=BB172_7 Depth=1
	s_wait_xcnt 0x0
	ds_load_b64 v[16:17], v24
	s_wait_dscnt 0x0
	global_store_b64 v[12:13], v[16:17], off
.LBB172_20:                             ;   in Loop: Header=BB172_7 Depth=1
	s_wait_xcnt 0x0
	s_or_b32 exec_lo, exec_lo, s8
	s_and_saveexec_b32 s8, s9
	s_cbranch_execz .LBB172_24
; %bb.21:                               ;   in Loop: Header=BB172_7 Depth=1
	ds_load_b64 v[16:17], v24 offset:32
	s_and_not1_b32 vcc_lo, exec_lo, s23
	s_cbranch_vccnz .LBB172_42
; %bb.22:                               ;   in Loop: Header=BB172_7 Depth=1
	v_lshl_add_u64 v[14:15], v[6:7], 3, v[14:15]
	s_wait_dscnt 0x0
	global_store_b64 v[14:15], v[16:17], off
	s_cbranch_execnz .LBB172_24
.LBB172_23:                             ;   in Loop: Header=BB172_7 Depth=1
	s_wait_dscnt 0x0
	global_store_b64 v[12:13], v[16:17], off offset:32
.LBB172_24:                             ;   in Loop: Header=BB172_7 Depth=1
	s_wait_xcnt 0x0
	s_or_b32 exec_lo, exec_lo, s8
	s_mov_b32 s8, 1
.LBB172_25:                             ;   in Loop: Header=BB172_7 Depth=1
	s_wait_storecnt_dscnt 0x0
	s_barrier_signal -1
	s_barrier_wait -1
	ds_store_b32 v21, v28
	s_wait_dscnt 0x0
	s_barrier_signal -1
	s_barrier_wait -1
	s_and_saveexec_b32 s18, s0
	s_cbranch_execz .LBB172_27
; %bb.26:                               ;   in Loop: Header=BB172_7 Depth=1
	ds_load_2addr_stride64_b32 v[12:13], v21 offset1:2
	s_wait_dscnt 0x0
	v_min_i32_e32 v2, v13, v12
	ds_store_b32 v21, v2
.LBB172_27:                             ;   in Loop: Header=BB172_7 Depth=1
	s_or_b32 exec_lo, exec_lo, s18
	s_wait_dscnt 0x0
	s_barrier_signal -1
	s_barrier_wait -1
	s_and_saveexec_b32 s18, s1
	s_cbranch_execz .LBB172_29
; %bb.28:                               ;   in Loop: Header=BB172_7 Depth=1
	ds_load_2addr_stride64_b32 v[12:13], v21 offset1:1
	s_wait_dscnt 0x0
	v_min_i32_e32 v2, v13, v12
	ds_store_b32 v21, v2
.LBB172_29:                             ;   in Loop: Header=BB172_7 Depth=1
	s_or_b32 exec_lo, exec_lo, s18
	s_wait_dscnt 0x0
	s_barrier_signal -1
	s_barrier_wait -1
	s_and_saveexec_b32 s18, s2
	s_cbranch_execz .LBB172_31
; %bb.30:                               ;   in Loop: Header=BB172_7 Depth=1
	ds_load_2addr_b32 v[12:13], v21 offset1:32
	s_wait_dscnt 0x0
	v_min_i32_e32 v2, v13, v12
	ds_store_b32 v21, v2
.LBB172_31:                             ;   in Loop: Header=BB172_7 Depth=1
	s_or_b32 exec_lo, exec_lo, s18
	s_wait_dscnt 0x0
	s_barrier_signal -1
	s_barrier_wait -1
	s_and_saveexec_b32 s18, s3
	s_cbranch_execz .LBB172_33
; %bb.32:                               ;   in Loop: Header=BB172_7 Depth=1
	ds_load_2addr_b32 v[12:13], v21 offset1:16
	s_wait_dscnt 0x0
	v_min_i32_e32 v2, v13, v12
	ds_store_b32 v21, v2
.LBB172_33:                             ;   in Loop: Header=BB172_7 Depth=1
	;; [unrolled: 12-line block ×5, first 2 shown]
	s_or_b32 exec_lo, exec_lo, s18
	s_wait_dscnt 0x0
	s_barrier_signal -1
	s_barrier_wait -1
	s_and_saveexec_b32 s18, s7
	s_cbranch_execz .LBB172_6
; %bb.40:                               ;   in Loop: Header=BB172_7 Depth=1
	ds_load_b64 v[12:13], v3
	s_wait_dscnt 0x0
	v_min_i32_e32 v2, v13, v12
	ds_store_b32 v3, v2
	s_branch .LBB172_6
.LBB172_41:                             ;   in Loop: Header=BB172_7 Depth=1
	s_branch .LBB172_19
.LBB172_42:                             ;   in Loop: Header=BB172_7 Depth=1
	s_branch .LBB172_23
.LBB172_43:
	s_endpgm
	.section	.rodata,"a",@progbits
	.p2align	6, 0x0
	.amdhsa_kernel _ZN9rocsparseL40csr2gebsr_block_per_row_multipass_kernelILj256ELj64ELj8E21rocsparse_complex_numIfEEEv20rocsparse_direction_iiiiii21rocsparse_index_base_PKT2_PKiS9_S4_PS5_PiSB_
		.amdhsa_group_segment_fixed_size 4100
		.amdhsa_private_segment_fixed_size 0
		.amdhsa_kernarg_size 88
		.amdhsa_user_sgpr_count 2
		.amdhsa_user_sgpr_dispatch_ptr 0
		.amdhsa_user_sgpr_queue_ptr 0
		.amdhsa_user_sgpr_kernarg_segment_ptr 1
		.amdhsa_user_sgpr_dispatch_id 0
		.amdhsa_user_sgpr_kernarg_preload_length 0
		.amdhsa_user_sgpr_kernarg_preload_offset 0
		.amdhsa_user_sgpr_private_segment_size 0
		.amdhsa_wavefront_size32 1
		.amdhsa_uses_dynamic_stack 0
		.amdhsa_enable_private_segment 0
		.amdhsa_system_sgpr_workgroup_id_x 1
		.amdhsa_system_sgpr_workgroup_id_y 0
		.amdhsa_system_sgpr_workgroup_id_z 0
		.amdhsa_system_sgpr_workgroup_info 0
		.amdhsa_system_vgpr_workitem_id 0
		.amdhsa_next_free_vgpr 32
		.amdhsa_next_free_sgpr 36
		.amdhsa_named_barrier_count 0
		.amdhsa_reserve_vcc 1
		.amdhsa_float_round_mode_32 0
		.amdhsa_float_round_mode_16_64 0
		.amdhsa_float_denorm_mode_32 3
		.amdhsa_float_denorm_mode_16_64 3
		.amdhsa_fp16_overflow 0
		.amdhsa_memory_ordered 1
		.amdhsa_forward_progress 1
		.amdhsa_inst_pref_size 15
		.amdhsa_round_robin_scheduling 0
		.amdhsa_exception_fp_ieee_invalid_op 0
		.amdhsa_exception_fp_denorm_src 0
		.amdhsa_exception_fp_ieee_div_zero 0
		.amdhsa_exception_fp_ieee_overflow 0
		.amdhsa_exception_fp_ieee_underflow 0
		.amdhsa_exception_fp_ieee_inexact 0
		.amdhsa_exception_int_div_zero 0
	.end_amdhsa_kernel
	.section	.text._ZN9rocsparseL40csr2gebsr_block_per_row_multipass_kernelILj256ELj64ELj8E21rocsparse_complex_numIfEEEv20rocsparse_direction_iiiiii21rocsparse_index_base_PKT2_PKiS9_S4_PS5_PiSB_,"axG",@progbits,_ZN9rocsparseL40csr2gebsr_block_per_row_multipass_kernelILj256ELj64ELj8E21rocsparse_complex_numIfEEEv20rocsparse_direction_iiiiii21rocsparse_index_base_PKT2_PKiS9_S4_PS5_PiSB_,comdat
.Lfunc_end172:
	.size	_ZN9rocsparseL40csr2gebsr_block_per_row_multipass_kernelILj256ELj64ELj8E21rocsparse_complex_numIfEEEv20rocsparse_direction_iiiiii21rocsparse_index_base_PKT2_PKiS9_S4_PS5_PiSB_, .Lfunc_end172-_ZN9rocsparseL40csr2gebsr_block_per_row_multipass_kernelILj256ELj64ELj8E21rocsparse_complex_numIfEEEv20rocsparse_direction_iiiiii21rocsparse_index_base_PKT2_PKiS9_S4_PS5_PiSB_
                                        ; -- End function
	.set _ZN9rocsparseL40csr2gebsr_block_per_row_multipass_kernelILj256ELj64ELj8E21rocsparse_complex_numIfEEEv20rocsparse_direction_iiiiii21rocsparse_index_base_PKT2_PKiS9_S4_PS5_PiSB_.num_vgpr, 32
	.set _ZN9rocsparseL40csr2gebsr_block_per_row_multipass_kernelILj256ELj64ELj8E21rocsparse_complex_numIfEEEv20rocsparse_direction_iiiiii21rocsparse_index_base_PKT2_PKiS9_S4_PS5_PiSB_.num_agpr, 0
	.set _ZN9rocsparseL40csr2gebsr_block_per_row_multipass_kernelILj256ELj64ELj8E21rocsparse_complex_numIfEEEv20rocsparse_direction_iiiiii21rocsparse_index_base_PKT2_PKiS9_S4_PS5_PiSB_.numbered_sgpr, 36
	.set _ZN9rocsparseL40csr2gebsr_block_per_row_multipass_kernelILj256ELj64ELj8E21rocsparse_complex_numIfEEEv20rocsparse_direction_iiiiii21rocsparse_index_base_PKT2_PKiS9_S4_PS5_PiSB_.num_named_barrier, 0
	.set _ZN9rocsparseL40csr2gebsr_block_per_row_multipass_kernelILj256ELj64ELj8E21rocsparse_complex_numIfEEEv20rocsparse_direction_iiiiii21rocsparse_index_base_PKT2_PKiS9_S4_PS5_PiSB_.private_seg_size, 0
	.set _ZN9rocsparseL40csr2gebsr_block_per_row_multipass_kernelILj256ELj64ELj8E21rocsparse_complex_numIfEEEv20rocsparse_direction_iiiiii21rocsparse_index_base_PKT2_PKiS9_S4_PS5_PiSB_.uses_vcc, 1
	.set _ZN9rocsparseL40csr2gebsr_block_per_row_multipass_kernelILj256ELj64ELj8E21rocsparse_complex_numIfEEEv20rocsparse_direction_iiiiii21rocsparse_index_base_PKT2_PKiS9_S4_PS5_PiSB_.uses_flat_scratch, 0
	.set _ZN9rocsparseL40csr2gebsr_block_per_row_multipass_kernelILj256ELj64ELj8E21rocsparse_complex_numIfEEEv20rocsparse_direction_iiiiii21rocsparse_index_base_PKT2_PKiS9_S4_PS5_PiSB_.has_dyn_sized_stack, 0
	.set _ZN9rocsparseL40csr2gebsr_block_per_row_multipass_kernelILj256ELj64ELj8E21rocsparse_complex_numIfEEEv20rocsparse_direction_iiiiii21rocsparse_index_base_PKT2_PKiS9_S4_PS5_PiSB_.has_recursion, 0
	.set _ZN9rocsparseL40csr2gebsr_block_per_row_multipass_kernelILj256ELj64ELj8E21rocsparse_complex_numIfEEEv20rocsparse_direction_iiiiii21rocsparse_index_base_PKT2_PKiS9_S4_PS5_PiSB_.has_indirect_call, 0
	.section	.AMDGPU.csdata,"",@progbits
; Kernel info:
; codeLenInByte = 1804
; TotalNumSgprs: 38
; NumVgprs: 32
; ScratchSize: 0
; MemoryBound: 0
; FloatMode: 240
; IeeeMode: 1
; LDSByteSize: 4100 bytes/workgroup (compile time only)
; SGPRBlocks: 0
; VGPRBlocks: 1
; NumSGPRsForWavesPerEU: 38
; NumVGPRsForWavesPerEU: 32
; NamedBarCnt: 0
; Occupancy: 16
; WaveLimiterHint : 0
; COMPUTE_PGM_RSRC2:SCRATCH_EN: 0
; COMPUTE_PGM_RSRC2:USER_SGPR: 2
; COMPUTE_PGM_RSRC2:TRAP_HANDLER: 0
; COMPUTE_PGM_RSRC2:TGID_X_EN: 1
; COMPUTE_PGM_RSRC2:TGID_Y_EN: 0
; COMPUTE_PGM_RSRC2:TGID_Z_EN: 0
; COMPUTE_PGM_RSRC2:TIDIG_COMP_CNT: 0
	.section	.text._ZN9rocsparseL40csr2gebsr_block_per_row_multipass_kernelILj256ELj64ELj16E21rocsparse_complex_numIfEEEv20rocsparse_direction_iiiiii21rocsparse_index_base_PKT2_PKiS9_S4_PS5_PiSB_,"axG",@progbits,_ZN9rocsparseL40csr2gebsr_block_per_row_multipass_kernelILj256ELj64ELj16E21rocsparse_complex_numIfEEEv20rocsparse_direction_iiiiii21rocsparse_index_base_PKT2_PKiS9_S4_PS5_PiSB_,comdat
	.globl	_ZN9rocsparseL40csr2gebsr_block_per_row_multipass_kernelILj256ELj64ELj16E21rocsparse_complex_numIfEEEv20rocsparse_direction_iiiiii21rocsparse_index_base_PKT2_PKiS9_S4_PS5_PiSB_ ; -- Begin function _ZN9rocsparseL40csr2gebsr_block_per_row_multipass_kernelILj256ELj64ELj16E21rocsparse_complex_numIfEEEv20rocsparse_direction_iiiiii21rocsparse_index_base_PKT2_PKiS9_S4_PS5_PiSB_
	.p2align	8
	.type	_ZN9rocsparseL40csr2gebsr_block_per_row_multipass_kernelILj256ELj64ELj16E21rocsparse_complex_numIfEEEv20rocsparse_direction_iiiiii21rocsparse_index_base_PKT2_PKiS9_S4_PS5_PiSB_,@function
_ZN9rocsparseL40csr2gebsr_block_per_row_multipass_kernelILj256ELj64ELj16E21rocsparse_complex_numIfEEEv20rocsparse_direction_iiiiii21rocsparse_index_base_PKT2_PKiS9_S4_PS5_PiSB_: ; @_ZN9rocsparseL40csr2gebsr_block_per_row_multipass_kernelILj256ELj64ELj16E21rocsparse_complex_numIfEEEv20rocsparse_direction_iiiiii21rocsparse_index_base_PKT2_PKiS9_S4_PS5_PiSB_
; %bb.0:
	s_clause 0x1
	s_load_b128 s[12:15], s[0:1], 0x10
	s_load_b64 s[30:31], s[0:1], 0x0
	s_bfe_u32 s2, ttmp6, 0x4000c
	s_and_b32 s3, ttmp6, 15
	s_add_co_i32 s2, s2, 1
	s_getreg_b32 s4, hwreg(HW_REG_IB_STS2, 6, 4)
	s_mul_i32 s2, ttmp9, s2
	v_dual_mov_b32 v22, 0 :: v_dual_lshrrev_b32 v1, 2, v0
	s_add_co_i32 s3, s3, s2
	s_cmp_eq_u32 s4, 0
	s_load_b64 s[6:7], s[0:1], 0x28
	s_cselect_b32 s4, ttmp9, s3
	v_mov_b32_e32 v29, 0
	s_wait_kmcnt 0x0
	v_mad_u32 v2, s13, s4, v1
	v_cmp_gt_i32_e32 vcc_lo, s13, v1
	s_delay_alu instid0(VALU_DEP_2) | instskip(SKIP_1) | instid1(SALU_CYCLE_1)
	v_cmp_gt_i32_e64 s2, s31, v2
	s_and_b32 s2, vcc_lo, s2
	s_and_saveexec_b32 s3, s2
	s_cbranch_execnz .LBB173_3
; %bb.1:
	s_or_b32 exec_lo, exec_lo, s3
	s_and_saveexec_b32 s3, s2
	s_cbranch_execnz .LBB173_4
.LBB173_2:
	s_or_b32 exec_lo, exec_lo, s3
	s_cmp_lt_i32 s12, 1
	s_cbranch_scc0 .LBB173_5
	s_branch .LBB173_53
.LBB173_3:
	global_load_b32 v3, v2, s[6:7] scale_offset
	s_wait_loadcnt 0x0
	v_subrev_nc_u32_e32 v29, s15, v3
	s_or_b32 exec_lo, exec_lo, s3
	s_and_saveexec_b32 s3, s2
	s_cbranch_execz .LBB173_2
.LBB173_4:
	global_load_b32 v2, v2, s[6:7] offset:4 scale_offset
	s_wait_loadcnt 0x0
	v_subrev_nc_u32_e32 v22, s15, v2
	s_or_b32 exec_lo, exec_lo, s3
	s_cmp_lt_i32 s12, 1
	s_cbranch_scc1 .LBB173_53
.LBB173_5:
	s_clause 0x3
	s_load_b128 s[16:19], s[0:1], 0x40
	s_load_b64 s[10:11], s[0:1], 0x50
	s_load_b96 s[20:22], s[0:1], 0x30
	s_load_b64 s[24:25], s[0:1], 0x20
	s_ashr_i32 s5, s4, 31
	v_mbcnt_lo_u32_b32 v4, -1, 0
	s_lshl_b64 s[4:5], s[4:5], 2
	v_mul_lo_u32 v6, s14, v1
	v_dual_lshlrev_b32 v24, 7, v1 :: v_dual_bitop2_b32 v23, 3, v0 bitop3:0x40
	v_dual_mov_b32 v3, 0 :: v_dual_lshlrev_b32 v2, 3, v1
	v_xor_b32_e32 v1, 2, v4
	v_lshl_or_b32 v26, v4, 2, 12
	s_mov_b32 s26, s13
	v_dual_lshlrev_b32 v25, 2, v0 :: v_dual_lshlrev_b32 v14, 3, v23
	v_mov_b32_e32 v15, v3
	v_cmp_gt_i32_e64 s6, 32, v1
	v_xor_b32_e32 v5, 1, v4
	s_wait_kmcnt 0x0
	s_add_nc_u64 s[4:5], s[18:19], s[4:5]
	v_cmp_gt_u32_e64 s0, 0x80, v0
	s_load_b32 s7, s[4:5], 0x0
	v_cndmask_b32_e64 v1, v4, v1, s6
	v_cmp_gt_i32_e64 s6, 32, v5
	v_dual_ashrrev_i32 v7, 31, v6 :: v_dual_bitop2_b32 v10, 4, v23 bitop3:0x54
	v_cmp_gt_u32_e64 s1, 64, v0
	s_delay_alu instid0(VALU_DEP_4) | instskip(NEXT) | instid1(VALU_DEP_4)
	v_lshlrev_b32_e32 v27, 2, v1
	v_cndmask_b32_e64 v5, v4, v5, s6
	s_delay_alu instid0(VALU_DEP_4)
	v_lshl_add_u64 v[8:9], v[6:7], 3, s[16:17]
	v_add_nc_u64_e32 v[6:7], s[16:17], v[2:3]
	v_mul_lo_u32 v4, v23, s13
	v_cmp_gt_u32_e64 s2, 32, v0
	v_cmp_gt_u32_e64 s3, 16, v0
	s_wait_xcnt 0x0
	v_cmp_gt_u32_e64 s4, 8, v0
	v_cmp_gt_u32_e64 s5, 4, v0
	;; [unrolled: 1-line block ×4, first 2 shown]
	s_mov_b32 s27, 0
	s_mov_b32 s28, s14
	v_cmp_gt_u32_e64 s9, s14, v10
	s_wait_kmcnt 0x0
	s_sub_co_i32 s16, s7, s22
	s_cmp_lg_u32 s30, 0
	v_cmp_eq_u32_e64 s7, 0, v0
	s_cselect_b32 s23, -1, 0
	s_abs_i32 s30, s14
	s_ashr_i32 s29, s14, 31
	s_cvt_f32_u32 s17, s30
	s_mul_u64 s[18:19], s[28:29], s[26:27]
	s_and_b32 s28, vcc_lo, s8
	v_add_nc_u64_e32 v[8:9], v[8:9], v[14:15]
	v_rcp_iflag_f32_e32 v1, s17
	s_lshl_b32 s17, s13, 2
	s_delay_alu instid0(SALU_CYCLE_1) | instskip(SKIP_2) | instid1(TRANS32_DEP_1)
	v_dual_add_nc_u32 v0, s17, v4 :: v_dual_bitop2_b32 v2, 8, v23 bitop3:0x54
	v_dual_mov_b32 v31, 1 :: v_dual_add_nc_u32 v30, v14, v24
	v_mov_b32_e32 v11, v3
	v_readfirstlane_b32 s13, v1
	s_delay_alu instid0(VALU_DEP_4)
	v_add_nc_u32_e32 v10, s17, v0
	v_cmp_gt_u32_e64 s8, s14, v2
	v_dual_mov_b32 v1, v3 :: v_dual_bitop2_b32 v2, 12, v23 bitop3:0x54
	s_mul_f32 s26, s13, 0x4f7ffffe
	v_dual_mov_b32 v13, v3 :: v_dual_add_nc_u32 v12, s17, v10
	s_sub_co_i32 s17, 0, s30
	s_delay_alu instid0(SALU_CYCLE_1)
	s_cvt_u32_f32 s26, s26
	s_and_b32 s13, vcc_lo, s8
	v_cmp_gt_u32_e64 s8, s14, v2
	v_mov_b64_e32 v[14:15], 0
	s_mul_i32 s17, s17, s26
	v_dual_mov_b32 v5, v3 :: v_dual_lshlrev_b32 v28, 2, v5
	v_mov_b32_e32 v18, 0
	s_mul_hi_u32 s17, s26, s17
	s_and_b32 s9, vcc_lo, s9
	s_and_b32 s31, vcc_lo, s8
	s_add_co_i32 s26, s26, s17
	s_branch .LBB173_7
.LBB173_6:                              ;   in Loop: Header=BB173_7 Depth=1
	s_or_b32 exec_lo, exec_lo, s17
	s_wait_dscnt 0x0
	s_barrier_signal -1
	s_barrier_wait -1
	ds_load_b32 v18, v3
	s_add_co_i32 s16, s8, s16
	s_wait_dscnt 0x0
	s_barrier_signal -1
	s_barrier_wait -1
	v_cmp_gt_i32_e32 vcc_lo, s12, v18
	s_cbranch_vccz .LBB173_53
.LBB173_7:                              ; =>This Loop Header: Depth=1
                                        ;     Child Loop BB173_10 Depth 2
	v_dual_add_nc_u32 v16, v29, v23 :: v_dual_mov_b32 v32, s12
	v_mov_b32_e32 v17, v22
	s_mov_b32 s17, exec_lo
	ds_store_b8 v3, v3 offset:8192
	ds_store_2addr_b64 v30, v[14:15], v[14:15] offset1:4
	ds_store_2addr_b64 v30, v[14:15], v[14:15] offset0:8 offset1:12
	s_wait_dscnt 0x0
	s_barrier_signal -1
	s_barrier_wait -1
	v_cmpx_lt_i32_e64 v16, v22
	s_cbranch_execz .LBB173_15
; %bb.8:                                ;   in Loop: Header=BB173_7 Depth=1
	v_mul_lo_u32 v19, v18, s14
	v_dual_mov_b32 v32, s12 :: v_dual_mov_b32 v17, v22
	s_mov_b32 s33, 0
	s_branch .LBB173_10
.LBB173_9:                              ;   in Loop: Header=BB173_10 Depth=2
	s_wait_xcnt 0x0
	s_or_b32 exec_lo, exec_lo, s8
	v_add_nc_u32_e32 v16, 4, v16
	s_xor_b32 s34, vcc_lo, -1
	s_delay_alu instid0(VALU_DEP_1) | instskip(SKIP_1) | instid1(SALU_CYCLE_1)
	v_cmp_ge_i32_e64 s8, v16, v22
	s_or_b32 s8, s34, s8
	s_and_b32 s8, exec_lo, s8
	s_delay_alu instid0(SALU_CYCLE_1) | instskip(NEXT) | instid1(SALU_CYCLE_1)
	s_or_b32 s33, s8, s33
	s_and_not1_b32 exec_lo, exec_lo, s33
	s_cbranch_execz .LBB173_14
.LBB173_10:                             ;   Parent Loop BB173_7 Depth=1
                                        ; =>  This Inner Loop Header: Depth=2
	global_load_b32 v2, v16, s[20:21] scale_offset
	s_wait_loadcnt 0x0
	v_subrev_nc_u32_e32 v20, s15, v2
	s_delay_alu instid0(VALU_DEP_1) | instskip(NEXT) | instid1(VALU_DEP_1)
	v_dual_sub_nc_u32 v2, 0, v20 :: v_dual_ashrrev_i32 v33, 31, v20
	v_max_i32_e32 v2, v20, v2
	s_delay_alu instid0(VALU_DEP_2) | instskip(NEXT) | instid1(VALU_DEP_2)
	v_xor_b32_e32 v33, s29, v33
	v_mul_u64_e32 v[34:35], s[26:27], v[2:3]
	s_delay_alu instid0(VALU_DEP_1) | instskip(NEXT) | instid1(VALU_DEP_1)
	v_mul_lo_u32 v21, v35, s30
	v_dual_sub_nc_u32 v2, v2, v21 :: v_dual_add_nc_u32 v21, 1, v35
	s_delay_alu instid0(VALU_DEP_1) | instskip(SKIP_1) | instid1(VALU_DEP_3)
	v_subrev_nc_u32_e32 v29, s30, v2
	v_cmp_le_u32_e32 vcc_lo, s30, v2
	v_cndmask_b32_e32 v21, v35, v21, vcc_lo
	s_delay_alu instid0(VALU_DEP_3) | instskip(NEXT) | instid1(VALU_DEP_2)
	v_cndmask_b32_e32 v2, v2, v29, vcc_lo
	v_add_nc_u32_e32 v29, 1, v21
	s_delay_alu instid0(VALU_DEP_2) | instskip(NEXT) | instid1(VALU_DEP_2)
	v_cmp_le_u32_e32 vcc_lo, s30, v2
	v_cndmask_b32_e32 v2, v21, v29, vcc_lo
	s_delay_alu instid0(VALU_DEP_1) | instskip(NEXT) | instid1(VALU_DEP_1)
	v_xor_b32_e32 v2, v2, v33
	v_dual_mov_b32 v2, v17 :: v_dual_sub_nc_u32 v21, v2, v33
	s_delay_alu instid0(VALU_DEP_1) | instskip(SKIP_3) | instid1(SALU_CYCLE_1)
	v_cmp_ne_u32_e64 s8, v21, v18
	v_cmp_eq_u32_e32 vcc_lo, v21, v18
	s_wait_xcnt 0x0
	s_and_saveexec_b32 s34, s8
	s_xor_b32 s8, exec_lo, s34
; %bb.11:                               ;   in Loop: Header=BB173_10 Depth=2
	v_min_i32_e32 v32, v21, v32
                                        ; implicit-def: $vgpr20
                                        ; implicit-def: $vgpr2
; %bb.12:                               ;   in Loop: Header=BB173_10 Depth=2
	s_or_saveexec_b32 s8, s8
	v_mov_b32_e32 v17, v16
	s_xor_b32 exec_lo, exec_lo, s8
	s_cbranch_execz .LBB173_9
; %bb.13:                               ;   in Loop: Header=BB173_10 Depth=2
	v_ashrrev_i32_e32 v17, 31, v16
	s_delay_alu instid0(VALU_DEP_1)
	v_lshl_add_u64 v[34:35], v[16:17], 3, s[24:25]
	v_sub_nc_u32_e32 v17, v20, v19
	global_load_b64 v[34:35], v[34:35], off
	v_lshl_add_u32 v20, v17, 3, v24
	v_mov_b32_e32 v17, v2
	ds_store_b8 v3, v31 offset:8192
	s_wait_loadcnt 0x0
	ds_store_b64 v20, v[34:35]
	s_branch .LBB173_9
.LBB173_14:                             ;   in Loop: Header=BB173_7 Depth=1
	s_or_b32 exec_lo, exec_lo, s33
.LBB173_15:                             ;   in Loop: Header=BB173_7 Depth=1
	s_delay_alu instid0(SALU_CYCLE_1)
	s_or_b32 exec_lo, exec_lo, s17
	ds_bpermute_b32 v2, v27, v17
	s_wait_dscnt 0x0
	s_barrier_signal -1
	s_barrier_wait -1
	s_mov_b32 s8, 0
	v_min_i32_e32 v2, v2, v17
	ds_load_u8 v17, v3 offset:8192
	ds_bpermute_b32 v16, v28, v2
	s_wait_dscnt 0x0
	v_min_i32_e32 v2, v16, v2
	ds_bpermute_b32 v29, v26, v2
	v_and_b32_e32 v2, 1, v17
	s_delay_alu instid0(VALU_DEP_1)
	v_cmp_eq_u32_e32 vcc_lo, 0, v2
	s_cbranch_vccnz .LBB173_33
; %bb.16:                               ;   in Loop: Header=BB173_7 Depth=1
	s_ashr_i32 s17, s16, 31
	v_dual_add_nc_u32 v2, s22, v18 :: v_dual_mov_b32 v20, s16
	s_mul_u64 s[34:35], s[18:19], s[16:17]
	s_delay_alu instid0(SALU_CYCLE_1) | instskip(NEXT) | instid1(SALU_CYCLE_1)
	s_lshl_b64 s[34:35], s[34:35], 3
	v_add_nc_u64_e32 v[18:19], s[34:35], v[6:7]
	v_add_nc_u64_e32 v[16:17], s[34:35], v[8:9]
	global_store_b32 v20, v2, s[10:11] scale_offset
	s_wait_xcnt 0x0
	s_and_saveexec_b32 s8, s28
	s_cbranch_execz .LBB173_20
; %bb.17:                               ;   in Loop: Header=BB173_7 Depth=1
	s_and_b32 vcc_lo, exec_lo, s23
	s_cbranch_vccz .LBB173_49
; %bb.18:                               ;   in Loop: Header=BB173_7 Depth=1
	ds_load_b64 v[20:21], v30
	v_lshl_add_u64 v[34:35], v[4:5], 3, v[18:19]
	s_wait_dscnt 0x0
	global_store_b64 v[34:35], v[20:21], off
	s_cbranch_execnz .LBB173_20
.LBB173_19:                             ;   in Loop: Header=BB173_7 Depth=1
	s_wait_xcnt 0x0
	ds_load_b64 v[20:21], v30
	s_wait_dscnt 0x0
	global_store_b64 v[16:17], v[20:21], off
.LBB173_20:                             ;   in Loop: Header=BB173_7 Depth=1
	s_wait_xcnt 0x0
	s_or_b32 exec_lo, exec_lo, s8
	s_and_saveexec_b32 s8, s9
	s_cbranch_execz .LBB173_24
; %bb.21:                               ;   in Loop: Header=BB173_7 Depth=1
	ds_load_b64 v[20:21], v30 offset:32
	s_and_not1_b32 vcc_lo, exec_lo, s23
	s_cbranch_vccnz .LBB173_50
; %bb.22:                               ;   in Loop: Header=BB173_7 Depth=1
	v_lshl_add_u64 v[34:35], v[0:1], 3, v[18:19]
	s_wait_dscnt 0x0
	global_store_b64 v[34:35], v[20:21], off
	s_cbranch_execnz .LBB173_24
.LBB173_23:                             ;   in Loop: Header=BB173_7 Depth=1
	s_wait_dscnt 0x0
	global_store_b64 v[16:17], v[20:21], off offset:32
.LBB173_24:                             ;   in Loop: Header=BB173_7 Depth=1
	s_wait_xcnt 0x0
	s_or_b32 exec_lo, exec_lo, s8
	s_and_saveexec_b32 s8, s13
	s_cbranch_execz .LBB173_28
; %bb.25:                               ;   in Loop: Header=BB173_7 Depth=1
	s_wait_dscnt 0x0
	ds_load_b64 v[20:21], v30 offset:64
	s_and_not1_b32 vcc_lo, exec_lo, s23
	s_cbranch_vccnz .LBB173_51
; %bb.26:                               ;   in Loop: Header=BB173_7 Depth=1
	v_lshl_add_u64 v[34:35], v[10:11], 3, v[18:19]
	s_wait_dscnt 0x0
	global_store_b64 v[34:35], v[20:21], off
	s_cbranch_execnz .LBB173_28
.LBB173_27:                             ;   in Loop: Header=BB173_7 Depth=1
	s_wait_dscnt 0x0
	global_store_b64 v[16:17], v[20:21], off offset:64
.LBB173_28:                             ;   in Loop: Header=BB173_7 Depth=1
	s_wait_xcnt 0x0
	s_or_b32 exec_lo, exec_lo, s8
	s_and_saveexec_b32 s8, s31
	s_cbranch_execz .LBB173_32
; %bb.29:                               ;   in Loop: Header=BB173_7 Depth=1
	s_wait_dscnt 0x0
	ds_load_b64 v[20:21], v30 offset:96
	s_and_not1_b32 vcc_lo, exec_lo, s23
	s_cbranch_vccnz .LBB173_52
; %bb.30:                               ;   in Loop: Header=BB173_7 Depth=1
	v_lshl_add_u64 v[18:19], v[12:13], 3, v[18:19]
	s_wait_dscnt 0x0
	global_store_b64 v[18:19], v[20:21], off
	s_cbranch_execnz .LBB173_32
.LBB173_31:                             ;   in Loop: Header=BB173_7 Depth=1
	s_wait_dscnt 0x0
	global_store_b64 v[16:17], v[20:21], off offset:96
.LBB173_32:                             ;   in Loop: Header=BB173_7 Depth=1
	s_wait_xcnt 0x0
	s_or_b32 exec_lo, exec_lo, s8
	s_mov_b32 s8, 1
.LBB173_33:                             ;   in Loop: Header=BB173_7 Depth=1
	s_wait_storecnt_dscnt 0x0
	s_barrier_signal -1
	s_barrier_wait -1
	ds_store_b32 v25, v32
	s_wait_dscnt 0x0
	s_barrier_signal -1
	s_barrier_wait -1
	s_and_saveexec_b32 s17, s0
	s_cbranch_execz .LBB173_35
; %bb.34:                               ;   in Loop: Header=BB173_7 Depth=1
	ds_load_2addr_stride64_b32 v[16:17], v25 offset1:2
	s_wait_dscnt 0x0
	v_min_i32_e32 v2, v17, v16
	ds_store_b32 v25, v2
.LBB173_35:                             ;   in Loop: Header=BB173_7 Depth=1
	s_or_b32 exec_lo, exec_lo, s17
	s_wait_dscnt 0x0
	s_barrier_signal -1
	s_barrier_wait -1
	s_and_saveexec_b32 s17, s1
	s_cbranch_execz .LBB173_37
; %bb.36:                               ;   in Loop: Header=BB173_7 Depth=1
	ds_load_2addr_stride64_b32 v[16:17], v25 offset1:1
	s_wait_dscnt 0x0
	v_min_i32_e32 v2, v17, v16
	ds_store_b32 v25, v2
.LBB173_37:                             ;   in Loop: Header=BB173_7 Depth=1
	s_or_b32 exec_lo, exec_lo, s17
	s_wait_dscnt 0x0
	s_barrier_signal -1
	s_barrier_wait -1
	s_and_saveexec_b32 s17, s2
	s_cbranch_execz .LBB173_39
; %bb.38:                               ;   in Loop: Header=BB173_7 Depth=1
	ds_load_2addr_b32 v[16:17], v25 offset1:32
	s_wait_dscnt 0x0
	v_min_i32_e32 v2, v17, v16
	ds_store_b32 v25, v2
.LBB173_39:                             ;   in Loop: Header=BB173_7 Depth=1
	s_or_b32 exec_lo, exec_lo, s17
	s_wait_dscnt 0x0
	s_barrier_signal -1
	s_barrier_wait -1
	s_and_saveexec_b32 s17, s3
	s_cbranch_execz .LBB173_41
; %bb.40:                               ;   in Loop: Header=BB173_7 Depth=1
	ds_load_2addr_b32 v[16:17], v25 offset1:16
	s_wait_dscnt 0x0
	v_min_i32_e32 v2, v17, v16
	ds_store_b32 v25, v2
.LBB173_41:                             ;   in Loop: Header=BB173_7 Depth=1
	s_or_b32 exec_lo, exec_lo, s17
	s_wait_dscnt 0x0
	s_barrier_signal -1
	s_barrier_wait -1
	s_and_saveexec_b32 s17, s4
	s_cbranch_execz .LBB173_43
; %bb.42:                               ;   in Loop: Header=BB173_7 Depth=1
	ds_load_2addr_b32 v[16:17], v25 offset1:8
	s_wait_dscnt 0x0
	v_min_i32_e32 v2, v17, v16
	ds_store_b32 v25, v2
.LBB173_43:                             ;   in Loop: Header=BB173_7 Depth=1
	s_or_b32 exec_lo, exec_lo, s17
	s_wait_dscnt 0x0
	s_barrier_signal -1
	s_barrier_wait -1
	s_and_saveexec_b32 s17, s5
	s_cbranch_execz .LBB173_45
; %bb.44:                               ;   in Loop: Header=BB173_7 Depth=1
	ds_load_2addr_b32 v[16:17], v25 offset1:4
	s_wait_dscnt 0x0
	v_min_i32_e32 v2, v17, v16
	ds_store_b32 v25, v2
.LBB173_45:                             ;   in Loop: Header=BB173_7 Depth=1
	s_or_b32 exec_lo, exec_lo, s17
	s_wait_dscnt 0x0
	s_barrier_signal -1
	s_barrier_wait -1
	s_and_saveexec_b32 s17, s6
	s_cbranch_execz .LBB173_47
; %bb.46:                               ;   in Loop: Header=BB173_7 Depth=1
	ds_load_2addr_b32 v[16:17], v25 offset1:2
	s_wait_dscnt 0x0
	v_min_i32_e32 v2, v17, v16
	ds_store_b32 v25, v2
.LBB173_47:                             ;   in Loop: Header=BB173_7 Depth=1
	s_or_b32 exec_lo, exec_lo, s17
	s_wait_dscnt 0x0
	s_barrier_signal -1
	s_barrier_wait -1
	s_and_saveexec_b32 s17, s7
	s_cbranch_execz .LBB173_6
; %bb.48:                               ;   in Loop: Header=BB173_7 Depth=1
	ds_load_b64 v[16:17], v3
	s_wait_dscnt 0x0
	v_min_i32_e32 v2, v17, v16
	ds_store_b32 v3, v2
	s_branch .LBB173_6
.LBB173_49:                             ;   in Loop: Header=BB173_7 Depth=1
	s_branch .LBB173_19
.LBB173_50:                             ;   in Loop: Header=BB173_7 Depth=1
	s_branch .LBB173_23
.LBB173_51:                             ;   in Loop: Header=BB173_7 Depth=1
	s_branch .LBB173_27
.LBB173_52:                             ;   in Loop: Header=BB173_7 Depth=1
	s_branch .LBB173_31
.LBB173_53:
	s_endpgm
	.section	.rodata,"a",@progbits
	.p2align	6, 0x0
	.amdhsa_kernel _ZN9rocsparseL40csr2gebsr_block_per_row_multipass_kernelILj256ELj64ELj16E21rocsparse_complex_numIfEEEv20rocsparse_direction_iiiiii21rocsparse_index_base_PKT2_PKiS9_S4_PS5_PiSB_
		.amdhsa_group_segment_fixed_size 8196
		.amdhsa_private_segment_fixed_size 0
		.amdhsa_kernarg_size 88
		.amdhsa_user_sgpr_count 2
		.amdhsa_user_sgpr_dispatch_ptr 0
		.amdhsa_user_sgpr_queue_ptr 0
		.amdhsa_user_sgpr_kernarg_segment_ptr 1
		.amdhsa_user_sgpr_dispatch_id 0
		.amdhsa_user_sgpr_kernarg_preload_length 0
		.amdhsa_user_sgpr_kernarg_preload_offset 0
		.amdhsa_user_sgpr_private_segment_size 0
		.amdhsa_wavefront_size32 1
		.amdhsa_uses_dynamic_stack 0
		.amdhsa_enable_private_segment 0
		.amdhsa_system_sgpr_workgroup_id_x 1
		.amdhsa_system_sgpr_workgroup_id_y 0
		.amdhsa_system_sgpr_workgroup_id_z 0
		.amdhsa_system_sgpr_workgroup_info 0
		.amdhsa_system_vgpr_workitem_id 0
		.amdhsa_next_free_vgpr 36
		.amdhsa_next_free_sgpr 36
		.amdhsa_named_barrier_count 0
		.amdhsa_reserve_vcc 1
		.amdhsa_float_round_mode_32 0
		.amdhsa_float_round_mode_16_64 0
		.amdhsa_float_denorm_mode_32 3
		.amdhsa_float_denorm_mode_16_64 3
		.amdhsa_fp16_overflow 0
		.amdhsa_memory_ordered 1
		.amdhsa_forward_progress 1
		.amdhsa_inst_pref_size 16
		.amdhsa_round_robin_scheduling 0
		.amdhsa_exception_fp_ieee_invalid_op 0
		.amdhsa_exception_fp_denorm_src 0
		.amdhsa_exception_fp_ieee_div_zero 0
		.amdhsa_exception_fp_ieee_overflow 0
		.amdhsa_exception_fp_ieee_underflow 0
		.amdhsa_exception_fp_ieee_inexact 0
		.amdhsa_exception_int_div_zero 0
	.end_amdhsa_kernel
	.section	.text._ZN9rocsparseL40csr2gebsr_block_per_row_multipass_kernelILj256ELj64ELj16E21rocsparse_complex_numIfEEEv20rocsparse_direction_iiiiii21rocsparse_index_base_PKT2_PKiS9_S4_PS5_PiSB_,"axG",@progbits,_ZN9rocsparseL40csr2gebsr_block_per_row_multipass_kernelILj256ELj64ELj16E21rocsparse_complex_numIfEEEv20rocsparse_direction_iiiiii21rocsparse_index_base_PKT2_PKiS9_S4_PS5_PiSB_,comdat
.Lfunc_end173:
	.size	_ZN9rocsparseL40csr2gebsr_block_per_row_multipass_kernelILj256ELj64ELj16E21rocsparse_complex_numIfEEEv20rocsparse_direction_iiiiii21rocsparse_index_base_PKT2_PKiS9_S4_PS5_PiSB_, .Lfunc_end173-_ZN9rocsparseL40csr2gebsr_block_per_row_multipass_kernelILj256ELj64ELj16E21rocsparse_complex_numIfEEEv20rocsparse_direction_iiiiii21rocsparse_index_base_PKT2_PKiS9_S4_PS5_PiSB_
                                        ; -- End function
	.set _ZN9rocsparseL40csr2gebsr_block_per_row_multipass_kernelILj256ELj64ELj16E21rocsparse_complex_numIfEEEv20rocsparse_direction_iiiiii21rocsparse_index_base_PKT2_PKiS9_S4_PS5_PiSB_.num_vgpr, 36
	.set _ZN9rocsparseL40csr2gebsr_block_per_row_multipass_kernelILj256ELj64ELj16E21rocsparse_complex_numIfEEEv20rocsparse_direction_iiiiii21rocsparse_index_base_PKT2_PKiS9_S4_PS5_PiSB_.num_agpr, 0
	.set _ZN9rocsparseL40csr2gebsr_block_per_row_multipass_kernelILj256ELj64ELj16E21rocsparse_complex_numIfEEEv20rocsparse_direction_iiiiii21rocsparse_index_base_PKT2_PKiS9_S4_PS5_PiSB_.numbered_sgpr, 36
	.set _ZN9rocsparseL40csr2gebsr_block_per_row_multipass_kernelILj256ELj64ELj16E21rocsparse_complex_numIfEEEv20rocsparse_direction_iiiiii21rocsparse_index_base_PKT2_PKiS9_S4_PS5_PiSB_.num_named_barrier, 0
	.set _ZN9rocsparseL40csr2gebsr_block_per_row_multipass_kernelILj256ELj64ELj16E21rocsparse_complex_numIfEEEv20rocsparse_direction_iiiiii21rocsparse_index_base_PKT2_PKiS9_S4_PS5_PiSB_.private_seg_size, 0
	.set _ZN9rocsparseL40csr2gebsr_block_per_row_multipass_kernelILj256ELj64ELj16E21rocsparse_complex_numIfEEEv20rocsparse_direction_iiiiii21rocsparse_index_base_PKT2_PKiS9_S4_PS5_PiSB_.uses_vcc, 1
	.set _ZN9rocsparseL40csr2gebsr_block_per_row_multipass_kernelILj256ELj64ELj16E21rocsparse_complex_numIfEEEv20rocsparse_direction_iiiiii21rocsparse_index_base_PKT2_PKiS9_S4_PS5_PiSB_.uses_flat_scratch, 0
	.set _ZN9rocsparseL40csr2gebsr_block_per_row_multipass_kernelILj256ELj64ELj16E21rocsparse_complex_numIfEEEv20rocsparse_direction_iiiiii21rocsparse_index_base_PKT2_PKiS9_S4_PS5_PiSB_.has_dyn_sized_stack, 0
	.set _ZN9rocsparseL40csr2gebsr_block_per_row_multipass_kernelILj256ELj64ELj16E21rocsparse_complex_numIfEEEv20rocsparse_direction_iiiiii21rocsparse_index_base_PKT2_PKiS9_S4_PS5_PiSB_.has_recursion, 0
	.set _ZN9rocsparseL40csr2gebsr_block_per_row_multipass_kernelILj256ELj64ELj16E21rocsparse_complex_numIfEEEv20rocsparse_direction_iiiiii21rocsparse_index_base_PKT2_PKiS9_S4_PS5_PiSB_.has_indirect_call, 0
	.section	.AMDGPU.csdata,"",@progbits
; Kernel info:
; codeLenInByte = 2032
; TotalNumSgprs: 38
; NumVgprs: 36
; ScratchSize: 0
; MemoryBound: 0
; FloatMode: 240
; IeeeMode: 1
; LDSByteSize: 8196 bytes/workgroup (compile time only)
; SGPRBlocks: 0
; VGPRBlocks: 2
; NumSGPRsForWavesPerEU: 38
; NumVGPRsForWavesPerEU: 36
; NamedBarCnt: 0
; Occupancy: 16
; WaveLimiterHint : 0
; COMPUTE_PGM_RSRC2:SCRATCH_EN: 0
; COMPUTE_PGM_RSRC2:USER_SGPR: 2
; COMPUTE_PGM_RSRC2:TRAP_HANDLER: 0
; COMPUTE_PGM_RSRC2:TGID_X_EN: 1
; COMPUTE_PGM_RSRC2:TGID_Y_EN: 0
; COMPUTE_PGM_RSRC2:TGID_Z_EN: 0
; COMPUTE_PGM_RSRC2:TIDIG_COMP_CNT: 0
	.section	.text._ZN9rocsparseL40csr2gebsr_block_per_row_multipass_kernelILj256ELj64ELj32E21rocsparse_complex_numIfEEEv20rocsparse_direction_iiiiii21rocsparse_index_base_PKT2_PKiS9_S4_PS5_PiSB_,"axG",@progbits,_ZN9rocsparseL40csr2gebsr_block_per_row_multipass_kernelILj256ELj64ELj32E21rocsparse_complex_numIfEEEv20rocsparse_direction_iiiiii21rocsparse_index_base_PKT2_PKiS9_S4_PS5_PiSB_,comdat
	.globl	_ZN9rocsparseL40csr2gebsr_block_per_row_multipass_kernelILj256ELj64ELj32E21rocsparse_complex_numIfEEEv20rocsparse_direction_iiiiii21rocsparse_index_base_PKT2_PKiS9_S4_PS5_PiSB_ ; -- Begin function _ZN9rocsparseL40csr2gebsr_block_per_row_multipass_kernelILj256ELj64ELj32E21rocsparse_complex_numIfEEEv20rocsparse_direction_iiiiii21rocsparse_index_base_PKT2_PKiS9_S4_PS5_PiSB_
	.p2align	8
	.type	_ZN9rocsparseL40csr2gebsr_block_per_row_multipass_kernelILj256ELj64ELj32E21rocsparse_complex_numIfEEEv20rocsparse_direction_iiiiii21rocsparse_index_base_PKT2_PKiS9_S4_PS5_PiSB_,@function
_ZN9rocsparseL40csr2gebsr_block_per_row_multipass_kernelILj256ELj64ELj32E21rocsparse_complex_numIfEEEv20rocsparse_direction_iiiiii21rocsparse_index_base_PKT2_PKiS9_S4_PS5_PiSB_: ; @_ZN9rocsparseL40csr2gebsr_block_per_row_multipass_kernelILj256ELj64ELj32E21rocsparse_complex_numIfEEEv20rocsparse_direction_iiiiii21rocsparse_index_base_PKT2_PKiS9_S4_PS5_PiSB_
; %bb.0:
	s_clause 0x1
	s_load_b128 s[12:15], s[0:1], 0x10
	s_load_b64 s[30:31], s[0:1], 0x0
	s_bfe_u32 s2, ttmp6, 0x4000c
	s_and_b32 s3, ttmp6, 15
	s_add_co_i32 s2, s2, 1
	s_getreg_b32 s4, hwreg(HW_REG_IB_STS2, 6, 4)
	s_mul_i32 s2, ttmp9, s2
	v_dual_mov_b32 v30, 0 :: v_dual_lshrrev_b32 v1, 2, v0
	s_add_co_i32 s3, s3, s2
	s_cmp_eq_u32 s4, 0
	s_load_b64 s[6:7], s[0:1], 0x28
	s_cselect_b32 s4, ttmp9, s3
	v_mov_b32_e32 v37, 0
	s_wait_kmcnt 0x0
	v_mad_u32 v2, s13, s4, v1
	v_cmp_gt_i32_e32 vcc_lo, s13, v1
	s_delay_alu instid0(VALU_DEP_2) | instskip(SKIP_1) | instid1(SALU_CYCLE_1)
	v_cmp_gt_i32_e64 s2, s31, v2
	s_and_b32 s2, vcc_lo, s2
	s_and_saveexec_b32 s3, s2
	s_cbranch_execnz .LBB174_3
; %bb.1:
	s_or_b32 exec_lo, exec_lo, s3
	s_and_saveexec_b32 s3, s2
	s_cbranch_execnz .LBB174_4
.LBB174_2:
	s_or_b32 exec_lo, exec_lo, s3
	s_cmp_lt_i32 s12, 1
	s_cbranch_scc0 .LBB174_5
	s_branch .LBB174_73
.LBB174_3:
	global_load_b32 v3, v2, s[6:7] scale_offset
	s_wait_loadcnt 0x0
	v_subrev_nc_u32_e32 v37, s15, v3
	s_or_b32 exec_lo, exec_lo, s3
	s_and_saveexec_b32 s3, s2
	s_cbranch_execz .LBB174_2
.LBB174_4:
	global_load_b32 v2, v2, s[6:7] offset:4 scale_offset
	s_wait_loadcnt 0x0
	v_subrev_nc_u32_e32 v30, s15, v2
	s_or_b32 exec_lo, exec_lo, s3
	s_cmp_lt_i32 s12, 1
	s_cbranch_scc1 .LBB174_73
.LBB174_5:
	s_clause 0x3
	s_load_b128 s[16:19], s[0:1], 0x40
	s_load_b64 s[10:11], s[0:1], 0x50
	s_load_b96 s[20:22], s[0:1], 0x30
	s_load_b64 s[24:25], s[0:1], 0x20
	s_ashr_i32 s5, s4, 31
	v_mbcnt_lo_u32_b32 v4, -1, 0
	s_lshl_b64 s[4:5], s[4:5], 2
	v_dual_lshlrev_b32 v32, 8, v1 :: v_dual_bitop2_b32 v31, 3, v0 bitop3:0x40
	v_dual_mov_b32 v3, 0 :: v_dual_lshlrev_b32 v2, 3, v1
	v_mul_lo_u32 v6, s14, v1
	v_xor_b32_e32 v1, 2, v4
	v_lshl_or_b32 v34, v4, 2, 12
	v_dual_lshlrev_b32 v33, 2, v0 :: v_dual_lshlrev_b32 v22, 3, v31
	v_mov_b32_e32 v23, v3
	s_delay_alu instid0(VALU_DEP_4)
	v_cmp_gt_i32_e64 s7, 32, v1
	v_xor_b32_e32 v5, 1, v4
	s_wait_xcnt 0x0
	v_cmp_gt_u32_e64 s0, 0x80, v0
	s_wait_kmcnt 0x0
	s_add_nc_u64 s[4:5], s[18:19], s[4:5]
	v_cmp_gt_u32_e64 s1, 64, v0
	s_load_b32 s9, s[4:5], 0x0
	v_cndmask_b32_e64 v1, v4, v1, s7
	v_cmp_gt_i32_e64 s7, 32, v5
	v_cmp_gt_u32_e64 s2, 32, v0
	v_cmp_gt_u32_e64 s3, 16, v0
	s_wait_xcnt 0x0
	v_cmp_gt_u32_e64 s4, 8, v0
	v_cmp_gt_u32_e64 s5, 4, v0
	v_dual_cndmask_b32 v5, v4, v5, s7 :: v_dual_ashrrev_i32 v7, 31, v6
	v_mul_lo_u32 v4, v31, s13
	v_cmp_gt_u32_e64 s6, 2, v0
	v_cmp_gt_u32_e64 s8, s14, v31
	v_dual_lshlrev_b32 v35, 2, v1 :: v_dual_bitop2_b32 v10, 4, v31 bitop3:0x54
	v_lshlrev_b32_e32 v36, 2, v5
	v_cmp_eq_u32_e64 s7, 0, v0
	v_or_b32_e32 v0, 8, v31
	s_mov_b32 s27, 0
	s_mov_b32 s26, s13
	;; [unrolled: 1-line block ×3, first 2 shown]
	s_wait_kmcnt 0x0
	s_sub_co_i32 s18, s9, s22
	s_cmp_lg_u32 s30, 0
	v_lshl_add_u64 v[8:9], v[6:7], 3, s[16:17]
	s_cselect_b32 s23, -1, 0
	s_ashr_i32 s29, s14, 31
	s_lshl_b32 s19, s13, 2
	v_add_nc_u64_e32 v[6:7], s[16:17], v[2:3]
	s_mul_u64 s[16:17], s[28:29], s[26:27]
	s_and_b32 s28, vcc_lo, s8
	v_dual_mov_b32 v5, v3 :: v_dual_bitop2_b32 v1, 12, v31 bitop3:0x54
	v_cmp_gt_u32_e64 s8, s14, v10
	v_cmp_gt_u32_e64 s9, s14, v0
	v_add_nc_u32_e32 v0, s19, v4
	s_abs_i32 s33, s14
	v_mov_b32_e32 v11, v3
	s_and_b32 s13, vcc_lo, s8
	v_cmp_gt_u32_e64 s8, s14, v1
	v_dual_mov_b32 v1, v3 :: v_dual_add_nc_u32 v10, s19, v0
	v_or_b32_e32 v2, 16, v31
	s_cvt_f32_u32 s26, s33
	v_dual_mov_b32 v13, v3 :: v_dual_bitop2_b32 v14, 20, v31 bitop3:0x54
	s_delay_alu instid0(VALU_DEP_3)
	v_add_nc_u32_e32 v12, s19, v10
	s_and_b32 s31, vcc_lo, s8
	v_cmp_gt_u32_e64 s8, s14, v2
	v_rcp_iflag_f32_e32 v2, s26
	s_and_b32 s30, vcc_lo, s9
	v_cmp_gt_u32_e64 s9, s14, v14
	v_dual_add_nc_u32 v14, s19, v12 :: v_dual_bitop2_b32 v17, 24, v31 bitop3:0x54
	v_mov_b32_e32 v15, v3
	s_and_b32 s34, vcc_lo, s8
	s_delay_alu instid0(TRANS32_DEP_1) | instskip(NEXT) | instid1(VALU_DEP_3)
	v_readfirstlane_b32 s26, v2
	v_add_nc_u32_e32 v16, s19, v14
	v_cmp_gt_u32_e64 s8, s14, v17
	v_dual_mov_b32 v17, v3 :: v_dual_bitop2_b32 v2, 28, v31 bitop3:0x54
	s_mul_f32 s26, s26, 0x4f7ffffe
	v_dual_mov_b32 v19, v3 :: v_dual_add_nc_u32 v18, s19, v16
	v_add_nc_u64_e32 v[8:9], v[8:9], v[22:23]
	s_delay_alu instid0(SALU_CYCLE_1) | instskip(SKIP_1) | instid1(VALU_DEP_2)
	s_cvt_u32_f32 s26, s26
	s_and_b32 s35, vcc_lo, s8
	v_dual_mov_b32 v21, v3 :: v_dual_add_nc_u32 v20, s19, v18
	s_sub_co_i32 s19, 0, s33
	v_cmp_gt_u32_e64 s8, s14, v2
	v_dual_mov_b32 v39, 1 :: v_dual_add_nc_u32 v38, v22, v32
	v_mov_b64_e32 v[22:23], 0
	s_mul_i32 s19, s19, s26
	v_mov_b32_e32 v26, 0
	s_mul_hi_u32 s19, s26, s19
	s_and_b32 s9, vcc_lo, s9
	s_and_b32 s36, vcc_lo, s8
	s_add_co_i32 s26, s26, s19
	s_branch .LBB174_7
.LBB174_6:                              ;   in Loop: Header=BB174_7 Depth=1
	s_or_b32 exec_lo, exec_lo, s19
	s_wait_dscnt 0x0
	s_barrier_signal -1
	s_barrier_wait -1
	ds_load_b32 v26, v3
	s_add_co_i32 s18, s8, s18
	s_wait_dscnt 0x0
	s_barrier_signal -1
	s_barrier_wait -1
	v_cmp_gt_i32_e32 vcc_lo, s12, v26
	s_cbranch_vccz .LBB174_73
.LBB174_7:                              ; =>This Loop Header: Depth=1
                                        ;     Child Loop BB174_10 Depth 2
	v_dual_add_nc_u32 v24, v37, v31 :: v_dual_mov_b32 v40, s12
	v_mov_b32_e32 v25, v30
	s_mov_b32 s19, exec_lo
	ds_store_b8 v3, v3 offset:16384
	ds_store_2addr_b64 v38, v[22:23], v[22:23] offset1:4
	ds_store_2addr_b64 v38, v[22:23], v[22:23] offset0:8 offset1:12
	ds_store_2addr_b64 v38, v[22:23], v[22:23] offset0:16 offset1:20
	;; [unrolled: 1-line block ×3, first 2 shown]
	s_wait_dscnt 0x0
	s_barrier_signal -1
	s_barrier_wait -1
	v_cmpx_lt_i32_e64 v24, v30
	s_cbranch_execz .LBB174_15
; %bb.8:                                ;   in Loop: Header=BB174_7 Depth=1
	v_mul_lo_u32 v27, v26, s14
	v_dual_mov_b32 v40, s12 :: v_dual_mov_b32 v25, v30
	s_mov_b32 s37, 0
	s_branch .LBB174_10
.LBB174_9:                              ;   in Loop: Header=BB174_10 Depth=2
	s_wait_xcnt 0x0
	s_or_b32 exec_lo, exec_lo, s8
	v_add_nc_u32_e32 v24, 4, v24
	s_xor_b32 s38, vcc_lo, -1
	s_delay_alu instid0(VALU_DEP_1) | instskip(SKIP_1) | instid1(SALU_CYCLE_1)
	v_cmp_ge_i32_e64 s8, v24, v30
	s_or_b32 s8, s38, s8
	s_and_b32 s8, exec_lo, s8
	s_delay_alu instid0(SALU_CYCLE_1) | instskip(NEXT) | instid1(SALU_CYCLE_1)
	s_or_b32 s37, s8, s37
	s_and_not1_b32 exec_lo, exec_lo, s37
	s_cbranch_execz .LBB174_14
.LBB174_10:                             ;   Parent Loop BB174_7 Depth=1
                                        ; =>  This Inner Loop Header: Depth=2
	global_load_b32 v2, v24, s[20:21] scale_offset
	s_wait_loadcnt 0x0
	v_subrev_nc_u32_e32 v28, s15, v2
	s_delay_alu instid0(VALU_DEP_1) | instskip(NEXT) | instid1(VALU_DEP_1)
	v_dual_sub_nc_u32 v2, 0, v28 :: v_dual_ashrrev_i32 v41, 31, v28
	v_max_i32_e32 v2, v28, v2
	s_delay_alu instid0(VALU_DEP_2) | instskip(NEXT) | instid1(VALU_DEP_2)
	v_xor_b32_e32 v41, s29, v41
	v_mul_u64_e32 v[42:43], s[26:27], v[2:3]
	s_delay_alu instid0(VALU_DEP_1) | instskip(NEXT) | instid1(VALU_DEP_1)
	v_mul_lo_u32 v29, v43, s33
	v_dual_sub_nc_u32 v2, v2, v29 :: v_dual_add_nc_u32 v29, 1, v43
	s_delay_alu instid0(VALU_DEP_1) | instskip(SKIP_1) | instid1(VALU_DEP_3)
	v_subrev_nc_u32_e32 v37, s33, v2
	v_cmp_le_u32_e32 vcc_lo, s33, v2
	v_cndmask_b32_e32 v29, v43, v29, vcc_lo
	s_delay_alu instid0(VALU_DEP_3) | instskip(NEXT) | instid1(VALU_DEP_2)
	v_cndmask_b32_e32 v2, v2, v37, vcc_lo
	v_add_nc_u32_e32 v37, 1, v29
	s_delay_alu instid0(VALU_DEP_2) | instskip(NEXT) | instid1(VALU_DEP_2)
	v_cmp_le_u32_e32 vcc_lo, s33, v2
	v_cndmask_b32_e32 v2, v29, v37, vcc_lo
	s_delay_alu instid0(VALU_DEP_1) | instskip(NEXT) | instid1(VALU_DEP_1)
	v_xor_b32_e32 v2, v2, v41
	v_dual_mov_b32 v2, v25 :: v_dual_sub_nc_u32 v29, v2, v41
	s_delay_alu instid0(VALU_DEP_1) | instskip(SKIP_3) | instid1(SALU_CYCLE_1)
	v_cmp_ne_u32_e64 s8, v29, v26
	v_cmp_eq_u32_e32 vcc_lo, v29, v26
	s_wait_xcnt 0x0
	s_and_saveexec_b32 s38, s8
	s_xor_b32 s8, exec_lo, s38
; %bb.11:                               ;   in Loop: Header=BB174_10 Depth=2
	v_min_i32_e32 v40, v29, v40
                                        ; implicit-def: $vgpr28
                                        ; implicit-def: $vgpr2
; %bb.12:                               ;   in Loop: Header=BB174_10 Depth=2
	s_or_saveexec_b32 s8, s8
	v_mov_b32_e32 v25, v24
	s_xor_b32 exec_lo, exec_lo, s8
	s_cbranch_execz .LBB174_9
; %bb.13:                               ;   in Loop: Header=BB174_10 Depth=2
	v_ashrrev_i32_e32 v25, 31, v24
	s_delay_alu instid0(VALU_DEP_1)
	v_lshl_add_u64 v[42:43], v[24:25], 3, s[24:25]
	v_sub_nc_u32_e32 v25, v28, v27
	global_load_b64 v[42:43], v[42:43], off
	v_lshl_add_u32 v28, v25, 3, v32
	v_mov_b32_e32 v25, v2
	ds_store_b8 v3, v39 offset:16384
	s_wait_loadcnt 0x0
	ds_store_b64 v28, v[42:43]
	s_branch .LBB174_9
.LBB174_14:                             ;   in Loop: Header=BB174_7 Depth=1
	s_or_b32 exec_lo, exec_lo, s37
.LBB174_15:                             ;   in Loop: Header=BB174_7 Depth=1
	s_delay_alu instid0(SALU_CYCLE_1)
	s_or_b32 exec_lo, exec_lo, s19
	ds_bpermute_b32 v2, v35, v25
	s_wait_dscnt 0x0
	s_barrier_signal -1
	s_barrier_wait -1
	s_mov_b32 s8, 0
	v_min_i32_e32 v2, v2, v25
	ds_load_u8 v25, v3 offset:16384
	ds_bpermute_b32 v24, v36, v2
	s_wait_dscnt 0x0
	v_min_i32_e32 v2, v24, v2
	ds_bpermute_b32 v37, v34, v2
	v_and_b32_e32 v2, 1, v25
	s_delay_alu instid0(VALU_DEP_1)
	v_cmp_eq_u32_e32 vcc_lo, 0, v2
	s_cbranch_vccnz .LBB174_49
; %bb.16:                               ;   in Loop: Header=BB174_7 Depth=1
	s_ashr_i32 s19, s18, 31
	v_dual_add_nc_u32 v2, s22, v26 :: v_dual_mov_b32 v28, s18
	s_mul_u64 s[38:39], s[16:17], s[18:19]
	s_delay_alu instid0(SALU_CYCLE_1) | instskip(NEXT) | instid1(SALU_CYCLE_1)
	s_lshl_b64 s[38:39], s[38:39], 3
	v_add_nc_u64_e32 v[26:27], s[38:39], v[6:7]
	v_add_nc_u64_e32 v[24:25], s[38:39], v[8:9]
	global_store_b32 v28, v2, s[10:11] scale_offset
	s_wait_xcnt 0x0
	s_and_saveexec_b32 s8, s28
	s_cbranch_execz .LBB174_20
; %bb.17:                               ;   in Loop: Header=BB174_7 Depth=1
	s_and_b32 vcc_lo, exec_lo, s23
	s_cbranch_vccz .LBB174_65
; %bb.18:                               ;   in Loop: Header=BB174_7 Depth=1
	ds_load_b64 v[28:29], v38
	v_lshl_add_u64 v[42:43], v[4:5], 3, v[26:27]
	s_wait_dscnt 0x0
	global_store_b64 v[42:43], v[28:29], off
	s_cbranch_execnz .LBB174_20
.LBB174_19:                             ;   in Loop: Header=BB174_7 Depth=1
	s_wait_xcnt 0x0
	ds_load_b64 v[28:29], v38
	s_wait_dscnt 0x0
	global_store_b64 v[24:25], v[28:29], off
.LBB174_20:                             ;   in Loop: Header=BB174_7 Depth=1
	s_wait_xcnt 0x0
	s_or_b32 exec_lo, exec_lo, s8
	s_and_saveexec_b32 s8, s13
	s_cbranch_execz .LBB174_24
; %bb.21:                               ;   in Loop: Header=BB174_7 Depth=1
	ds_load_b64 v[28:29], v38 offset:32
	s_and_not1_b32 vcc_lo, exec_lo, s23
	s_cbranch_vccnz .LBB174_66
; %bb.22:                               ;   in Loop: Header=BB174_7 Depth=1
	v_lshl_add_u64 v[42:43], v[0:1], 3, v[26:27]
	s_wait_dscnt 0x0
	global_store_b64 v[42:43], v[28:29], off
	s_cbranch_execnz .LBB174_24
.LBB174_23:                             ;   in Loop: Header=BB174_7 Depth=1
	s_wait_dscnt 0x0
	global_store_b64 v[24:25], v[28:29], off offset:32
.LBB174_24:                             ;   in Loop: Header=BB174_7 Depth=1
	s_wait_xcnt 0x0
	s_or_b32 exec_lo, exec_lo, s8
	s_and_saveexec_b32 s8, s30
	s_cbranch_execz .LBB174_28
; %bb.25:                               ;   in Loop: Header=BB174_7 Depth=1
	s_wait_dscnt 0x0
	ds_load_b64 v[28:29], v38 offset:64
	s_and_not1_b32 vcc_lo, exec_lo, s23
	s_cbranch_vccnz .LBB174_67
; %bb.26:                               ;   in Loop: Header=BB174_7 Depth=1
	v_lshl_add_u64 v[42:43], v[10:11], 3, v[26:27]
	s_wait_dscnt 0x0
	global_store_b64 v[42:43], v[28:29], off
	s_cbranch_execnz .LBB174_28
.LBB174_27:                             ;   in Loop: Header=BB174_7 Depth=1
	s_wait_dscnt 0x0
	global_store_b64 v[24:25], v[28:29], off offset:64
.LBB174_28:                             ;   in Loop: Header=BB174_7 Depth=1
	s_wait_xcnt 0x0
	s_or_b32 exec_lo, exec_lo, s8
	s_and_saveexec_b32 s8, s31
	s_cbranch_execz .LBB174_32
; %bb.29:                               ;   in Loop: Header=BB174_7 Depth=1
	s_wait_dscnt 0x0
	ds_load_b64 v[28:29], v38 offset:96
	s_and_not1_b32 vcc_lo, exec_lo, s23
	s_cbranch_vccnz .LBB174_68
; %bb.30:                               ;   in Loop: Header=BB174_7 Depth=1
	v_lshl_add_u64 v[42:43], v[12:13], 3, v[26:27]
	s_wait_dscnt 0x0
	global_store_b64 v[42:43], v[28:29], off
	s_cbranch_execnz .LBB174_32
.LBB174_31:                             ;   in Loop: Header=BB174_7 Depth=1
	s_wait_dscnt 0x0
	global_store_b64 v[24:25], v[28:29], off offset:96
.LBB174_32:                             ;   in Loop: Header=BB174_7 Depth=1
	s_wait_xcnt 0x0
	s_or_b32 exec_lo, exec_lo, s8
	s_and_saveexec_b32 s8, s34
	s_cbranch_execz .LBB174_36
; %bb.33:                               ;   in Loop: Header=BB174_7 Depth=1
	s_wait_dscnt 0x0
	ds_load_b64 v[28:29], v38 offset:128
	s_and_not1_b32 vcc_lo, exec_lo, s23
	s_cbranch_vccnz .LBB174_69
; %bb.34:                               ;   in Loop: Header=BB174_7 Depth=1
	v_lshl_add_u64 v[42:43], v[14:15], 3, v[26:27]
	s_wait_dscnt 0x0
	global_store_b64 v[42:43], v[28:29], off
	s_cbranch_execnz .LBB174_36
.LBB174_35:                             ;   in Loop: Header=BB174_7 Depth=1
	s_wait_dscnt 0x0
	global_store_b64 v[24:25], v[28:29], off offset:128
.LBB174_36:                             ;   in Loop: Header=BB174_7 Depth=1
	s_wait_xcnt 0x0
	s_or_b32 exec_lo, exec_lo, s8
	s_and_saveexec_b32 s8, s9
	s_cbranch_execz .LBB174_40
; %bb.37:                               ;   in Loop: Header=BB174_7 Depth=1
	s_wait_dscnt 0x0
	ds_load_b64 v[28:29], v38 offset:160
	s_and_not1_b32 vcc_lo, exec_lo, s23
	s_cbranch_vccnz .LBB174_70
; %bb.38:                               ;   in Loop: Header=BB174_7 Depth=1
	v_lshl_add_u64 v[42:43], v[16:17], 3, v[26:27]
	s_wait_dscnt 0x0
	global_store_b64 v[42:43], v[28:29], off
	s_cbranch_execnz .LBB174_40
.LBB174_39:                             ;   in Loop: Header=BB174_7 Depth=1
	s_wait_dscnt 0x0
	global_store_b64 v[24:25], v[28:29], off offset:160
.LBB174_40:                             ;   in Loop: Header=BB174_7 Depth=1
	s_wait_xcnt 0x0
	s_or_b32 exec_lo, exec_lo, s8
	s_and_saveexec_b32 s8, s35
	s_cbranch_execz .LBB174_44
; %bb.41:                               ;   in Loop: Header=BB174_7 Depth=1
	s_wait_dscnt 0x0
	ds_load_b64 v[28:29], v38 offset:192
	s_and_not1_b32 vcc_lo, exec_lo, s23
	s_cbranch_vccnz .LBB174_71
; %bb.42:                               ;   in Loop: Header=BB174_7 Depth=1
	v_lshl_add_u64 v[42:43], v[18:19], 3, v[26:27]
	s_wait_dscnt 0x0
	global_store_b64 v[42:43], v[28:29], off
	s_cbranch_execnz .LBB174_44
.LBB174_43:                             ;   in Loop: Header=BB174_7 Depth=1
	s_wait_dscnt 0x0
	global_store_b64 v[24:25], v[28:29], off offset:192
.LBB174_44:                             ;   in Loop: Header=BB174_7 Depth=1
	s_wait_xcnt 0x0
	s_or_b32 exec_lo, exec_lo, s8
	s_and_saveexec_b32 s8, s36
	s_cbranch_execz .LBB174_48
; %bb.45:                               ;   in Loop: Header=BB174_7 Depth=1
	s_wait_dscnt 0x0
	ds_load_b64 v[28:29], v38 offset:224
	s_and_not1_b32 vcc_lo, exec_lo, s23
	s_cbranch_vccnz .LBB174_72
; %bb.46:                               ;   in Loop: Header=BB174_7 Depth=1
	v_lshl_add_u64 v[26:27], v[20:21], 3, v[26:27]
	s_wait_dscnt 0x0
	global_store_b64 v[26:27], v[28:29], off
	s_cbranch_execnz .LBB174_48
.LBB174_47:                             ;   in Loop: Header=BB174_7 Depth=1
	s_wait_dscnt 0x0
	global_store_b64 v[24:25], v[28:29], off offset:224
.LBB174_48:                             ;   in Loop: Header=BB174_7 Depth=1
	s_wait_xcnt 0x0
	s_or_b32 exec_lo, exec_lo, s8
	s_mov_b32 s8, 1
.LBB174_49:                             ;   in Loop: Header=BB174_7 Depth=1
	s_wait_storecnt_dscnt 0x0
	s_barrier_signal -1
	s_barrier_wait -1
	ds_store_b32 v33, v40
	s_wait_dscnt 0x0
	s_barrier_signal -1
	s_barrier_wait -1
	s_and_saveexec_b32 s19, s0
	s_cbranch_execz .LBB174_51
; %bb.50:                               ;   in Loop: Header=BB174_7 Depth=1
	ds_load_2addr_stride64_b32 v[24:25], v33 offset1:2
	s_wait_dscnt 0x0
	v_min_i32_e32 v2, v25, v24
	ds_store_b32 v33, v2
.LBB174_51:                             ;   in Loop: Header=BB174_7 Depth=1
	s_or_b32 exec_lo, exec_lo, s19
	s_wait_dscnt 0x0
	s_barrier_signal -1
	s_barrier_wait -1
	s_and_saveexec_b32 s19, s1
	s_cbranch_execz .LBB174_53
; %bb.52:                               ;   in Loop: Header=BB174_7 Depth=1
	ds_load_2addr_stride64_b32 v[24:25], v33 offset1:1
	s_wait_dscnt 0x0
	v_min_i32_e32 v2, v25, v24
	ds_store_b32 v33, v2
.LBB174_53:                             ;   in Loop: Header=BB174_7 Depth=1
	s_or_b32 exec_lo, exec_lo, s19
	s_wait_dscnt 0x0
	s_barrier_signal -1
	s_barrier_wait -1
	s_and_saveexec_b32 s19, s2
	s_cbranch_execz .LBB174_55
; %bb.54:                               ;   in Loop: Header=BB174_7 Depth=1
	ds_load_2addr_b32 v[24:25], v33 offset1:32
	s_wait_dscnt 0x0
	v_min_i32_e32 v2, v25, v24
	ds_store_b32 v33, v2
.LBB174_55:                             ;   in Loop: Header=BB174_7 Depth=1
	s_or_b32 exec_lo, exec_lo, s19
	s_wait_dscnt 0x0
	s_barrier_signal -1
	s_barrier_wait -1
	s_and_saveexec_b32 s19, s3
	s_cbranch_execz .LBB174_57
; %bb.56:                               ;   in Loop: Header=BB174_7 Depth=1
	ds_load_2addr_b32 v[24:25], v33 offset1:16
	s_wait_dscnt 0x0
	v_min_i32_e32 v2, v25, v24
	ds_store_b32 v33, v2
.LBB174_57:                             ;   in Loop: Header=BB174_7 Depth=1
	;; [unrolled: 12-line block ×5, first 2 shown]
	s_or_b32 exec_lo, exec_lo, s19
	s_wait_dscnt 0x0
	s_barrier_signal -1
	s_barrier_wait -1
	s_and_saveexec_b32 s19, s7
	s_cbranch_execz .LBB174_6
; %bb.64:                               ;   in Loop: Header=BB174_7 Depth=1
	ds_load_b64 v[24:25], v3
	s_wait_dscnt 0x0
	v_min_i32_e32 v2, v25, v24
	ds_store_b32 v3, v2
	s_branch .LBB174_6
.LBB174_65:                             ;   in Loop: Header=BB174_7 Depth=1
	s_branch .LBB174_19
.LBB174_66:                             ;   in Loop: Header=BB174_7 Depth=1
	s_branch .LBB174_23
.LBB174_67:                             ;   in Loop: Header=BB174_7 Depth=1
	s_branch .LBB174_27
.LBB174_68:                             ;   in Loop: Header=BB174_7 Depth=1
	s_branch .LBB174_31
.LBB174_69:                             ;   in Loop: Header=BB174_7 Depth=1
	s_branch .LBB174_35
.LBB174_70:                             ;   in Loop: Header=BB174_7 Depth=1
	s_branch .LBB174_39
.LBB174_71:                             ;   in Loop: Header=BB174_7 Depth=1
	s_branch .LBB174_43
.LBB174_72:                             ;   in Loop: Header=BB174_7 Depth=1
	s_branch .LBB174_47
.LBB174_73:
	s_endpgm
	.section	.rodata,"a",@progbits
	.p2align	6, 0x0
	.amdhsa_kernel _ZN9rocsparseL40csr2gebsr_block_per_row_multipass_kernelILj256ELj64ELj32E21rocsparse_complex_numIfEEEv20rocsparse_direction_iiiiii21rocsparse_index_base_PKT2_PKiS9_S4_PS5_PiSB_
		.amdhsa_group_segment_fixed_size 16388
		.amdhsa_private_segment_fixed_size 0
		.amdhsa_kernarg_size 88
		.amdhsa_user_sgpr_count 2
		.amdhsa_user_sgpr_dispatch_ptr 0
		.amdhsa_user_sgpr_queue_ptr 0
		.amdhsa_user_sgpr_kernarg_segment_ptr 1
		.amdhsa_user_sgpr_dispatch_id 0
		.amdhsa_user_sgpr_kernarg_preload_length 0
		.amdhsa_user_sgpr_kernarg_preload_offset 0
		.amdhsa_user_sgpr_private_segment_size 0
		.amdhsa_wavefront_size32 1
		.amdhsa_uses_dynamic_stack 0
		.amdhsa_enable_private_segment 0
		.amdhsa_system_sgpr_workgroup_id_x 1
		.amdhsa_system_sgpr_workgroup_id_y 0
		.amdhsa_system_sgpr_workgroup_id_z 0
		.amdhsa_system_sgpr_workgroup_info 0
		.amdhsa_system_vgpr_workitem_id 0
		.amdhsa_next_free_vgpr 44
		.amdhsa_next_free_sgpr 40
		.amdhsa_named_barrier_count 0
		.amdhsa_reserve_vcc 1
		.amdhsa_float_round_mode_32 0
		.amdhsa_float_round_mode_16_64 0
		.amdhsa_float_denorm_mode_32 3
		.amdhsa_float_denorm_mode_16_64 3
		.amdhsa_fp16_overflow 0
		.amdhsa_memory_ordered 1
		.amdhsa_forward_progress 1
		.amdhsa_inst_pref_size 20
		.amdhsa_round_robin_scheduling 0
		.amdhsa_exception_fp_ieee_invalid_op 0
		.amdhsa_exception_fp_denorm_src 0
		.amdhsa_exception_fp_ieee_div_zero 0
		.amdhsa_exception_fp_ieee_overflow 0
		.amdhsa_exception_fp_ieee_underflow 0
		.amdhsa_exception_fp_ieee_inexact 0
		.amdhsa_exception_int_div_zero 0
	.end_amdhsa_kernel
	.section	.text._ZN9rocsparseL40csr2gebsr_block_per_row_multipass_kernelILj256ELj64ELj32E21rocsparse_complex_numIfEEEv20rocsparse_direction_iiiiii21rocsparse_index_base_PKT2_PKiS9_S4_PS5_PiSB_,"axG",@progbits,_ZN9rocsparseL40csr2gebsr_block_per_row_multipass_kernelILj256ELj64ELj32E21rocsparse_complex_numIfEEEv20rocsparse_direction_iiiiii21rocsparse_index_base_PKT2_PKiS9_S4_PS5_PiSB_,comdat
.Lfunc_end174:
	.size	_ZN9rocsparseL40csr2gebsr_block_per_row_multipass_kernelILj256ELj64ELj32E21rocsparse_complex_numIfEEEv20rocsparse_direction_iiiiii21rocsparse_index_base_PKT2_PKiS9_S4_PS5_PiSB_, .Lfunc_end174-_ZN9rocsparseL40csr2gebsr_block_per_row_multipass_kernelILj256ELj64ELj32E21rocsparse_complex_numIfEEEv20rocsparse_direction_iiiiii21rocsparse_index_base_PKT2_PKiS9_S4_PS5_PiSB_
                                        ; -- End function
	.set _ZN9rocsparseL40csr2gebsr_block_per_row_multipass_kernelILj256ELj64ELj32E21rocsparse_complex_numIfEEEv20rocsparse_direction_iiiiii21rocsparse_index_base_PKT2_PKiS9_S4_PS5_PiSB_.num_vgpr, 44
	.set _ZN9rocsparseL40csr2gebsr_block_per_row_multipass_kernelILj256ELj64ELj32E21rocsparse_complex_numIfEEEv20rocsparse_direction_iiiiii21rocsparse_index_base_PKT2_PKiS9_S4_PS5_PiSB_.num_agpr, 0
	.set _ZN9rocsparseL40csr2gebsr_block_per_row_multipass_kernelILj256ELj64ELj32E21rocsparse_complex_numIfEEEv20rocsparse_direction_iiiiii21rocsparse_index_base_PKT2_PKiS9_S4_PS5_PiSB_.numbered_sgpr, 40
	.set _ZN9rocsparseL40csr2gebsr_block_per_row_multipass_kernelILj256ELj64ELj32E21rocsparse_complex_numIfEEEv20rocsparse_direction_iiiiii21rocsparse_index_base_PKT2_PKiS9_S4_PS5_PiSB_.num_named_barrier, 0
	.set _ZN9rocsparseL40csr2gebsr_block_per_row_multipass_kernelILj256ELj64ELj32E21rocsparse_complex_numIfEEEv20rocsparse_direction_iiiiii21rocsparse_index_base_PKT2_PKiS9_S4_PS5_PiSB_.private_seg_size, 0
	.set _ZN9rocsparseL40csr2gebsr_block_per_row_multipass_kernelILj256ELj64ELj32E21rocsparse_complex_numIfEEEv20rocsparse_direction_iiiiii21rocsparse_index_base_PKT2_PKiS9_S4_PS5_PiSB_.uses_vcc, 1
	.set _ZN9rocsparseL40csr2gebsr_block_per_row_multipass_kernelILj256ELj64ELj32E21rocsparse_complex_numIfEEEv20rocsparse_direction_iiiiii21rocsparse_index_base_PKT2_PKiS9_S4_PS5_PiSB_.uses_flat_scratch, 0
	.set _ZN9rocsparseL40csr2gebsr_block_per_row_multipass_kernelILj256ELj64ELj32E21rocsparse_complex_numIfEEEv20rocsparse_direction_iiiiii21rocsparse_index_base_PKT2_PKiS9_S4_PS5_PiSB_.has_dyn_sized_stack, 0
	.set _ZN9rocsparseL40csr2gebsr_block_per_row_multipass_kernelILj256ELj64ELj32E21rocsparse_complex_numIfEEEv20rocsparse_direction_iiiiii21rocsparse_index_base_PKT2_PKiS9_S4_PS5_PiSB_.has_recursion, 0
	.set _ZN9rocsparseL40csr2gebsr_block_per_row_multipass_kernelILj256ELj64ELj32E21rocsparse_complex_numIfEEEv20rocsparse_direction_iiiiii21rocsparse_index_base_PKT2_PKiS9_S4_PS5_PiSB_.has_indirect_call, 0
	.section	.AMDGPU.csdata,"",@progbits
; Kernel info:
; codeLenInByte = 2488
; TotalNumSgprs: 42
; NumVgprs: 44
; ScratchSize: 0
; MemoryBound: 0
; FloatMode: 240
; IeeeMode: 1
; LDSByteSize: 16388 bytes/workgroup (compile time only)
; SGPRBlocks: 0
; VGPRBlocks: 2
; NumSGPRsForWavesPerEU: 42
; NumVGPRsForWavesPerEU: 44
; NamedBarCnt: 0
; Occupancy: 16
; WaveLimiterHint : 0
; COMPUTE_PGM_RSRC2:SCRATCH_EN: 0
; COMPUTE_PGM_RSRC2:USER_SGPR: 2
; COMPUTE_PGM_RSRC2:TRAP_HANDLER: 0
; COMPUTE_PGM_RSRC2:TGID_X_EN: 1
; COMPUTE_PGM_RSRC2:TGID_Y_EN: 0
; COMPUTE_PGM_RSRC2:TGID_Z_EN: 0
; COMPUTE_PGM_RSRC2:TIDIG_COMP_CNT: 0
	.section	.text._ZN9rocsparseL40csr2gebsr_block_per_row_multipass_kernelILj256ELj64ELj64E21rocsparse_complex_numIfEEEv20rocsparse_direction_iiiiii21rocsparse_index_base_PKT2_PKiS9_S4_PS5_PiSB_,"axG",@progbits,_ZN9rocsparseL40csr2gebsr_block_per_row_multipass_kernelILj256ELj64ELj64E21rocsparse_complex_numIfEEEv20rocsparse_direction_iiiiii21rocsparse_index_base_PKT2_PKiS9_S4_PS5_PiSB_,comdat
	.globl	_ZN9rocsparseL40csr2gebsr_block_per_row_multipass_kernelILj256ELj64ELj64E21rocsparse_complex_numIfEEEv20rocsparse_direction_iiiiii21rocsparse_index_base_PKT2_PKiS9_S4_PS5_PiSB_ ; -- Begin function _ZN9rocsparseL40csr2gebsr_block_per_row_multipass_kernelILj256ELj64ELj64E21rocsparse_complex_numIfEEEv20rocsparse_direction_iiiiii21rocsparse_index_base_PKT2_PKiS9_S4_PS5_PiSB_
	.p2align	8
	.type	_ZN9rocsparseL40csr2gebsr_block_per_row_multipass_kernelILj256ELj64ELj64E21rocsparse_complex_numIfEEEv20rocsparse_direction_iiiiii21rocsparse_index_base_PKT2_PKiS9_S4_PS5_PiSB_,@function
_ZN9rocsparseL40csr2gebsr_block_per_row_multipass_kernelILj256ELj64ELj64E21rocsparse_complex_numIfEEEv20rocsparse_direction_iiiiii21rocsparse_index_base_PKT2_PKiS9_S4_PS5_PiSB_: ; @_ZN9rocsparseL40csr2gebsr_block_per_row_multipass_kernelILj256ELj64ELj64E21rocsparse_complex_numIfEEEv20rocsparse_direction_iiiiii21rocsparse_index_base_PKT2_PKiS9_S4_PS5_PiSB_
; %bb.0:
	s_clause 0x1
	s_load_b128 s[12:15], s[0:1], 0x10
	s_load_b64 s[30:31], s[0:1], 0x0
	s_bfe_u32 s2, ttmp6, 0x4000c
	s_and_b32 s3, ttmp6, 15
	s_add_co_i32 s2, s2, 1
	s_getreg_b32 s4, hwreg(HW_REG_IB_STS2, 6, 4)
	s_mul_i32 s2, ttmp9, s2
	v_dual_mov_b32 v46, 0 :: v_dual_lshrrev_b32 v1, 2, v0
	s_add_co_i32 s3, s3, s2
	s_cmp_eq_u32 s4, 0
	s_load_b64 s[6:7], s[0:1], 0x28
	s_cselect_b32 s4, ttmp9, s3
	v_mov_b32_e32 v53, 0
	s_wait_kmcnt 0x0
	v_mad_u32 v2, s13, s4, v1
	v_cmp_gt_i32_e32 vcc_lo, s13, v1
	s_delay_alu instid0(VALU_DEP_2) | instskip(SKIP_1) | instid1(SALU_CYCLE_1)
	v_cmp_gt_i32_e64 s2, s31, v2
	s_and_b32 s2, vcc_lo, s2
	s_and_saveexec_b32 s3, s2
	s_cbranch_execnz .LBB175_3
; %bb.1:
	s_or_b32 exec_lo, exec_lo, s3
	s_and_saveexec_b32 s3, s2
	s_cbranch_execnz .LBB175_4
.LBB175_2:
	s_or_b32 exec_lo, exec_lo, s3
	s_cmp_lt_i32 s12, 1
	s_cbranch_scc0 .LBB175_5
	s_branch .LBB175_113
.LBB175_3:
	global_load_b32 v3, v2, s[6:7] scale_offset
	s_wait_loadcnt 0x0
	v_subrev_nc_u32_e32 v53, s15, v3
	s_or_b32 exec_lo, exec_lo, s3
	s_and_saveexec_b32 s3, s2
	s_cbranch_execz .LBB175_2
.LBB175_4:
	global_load_b32 v2, v2, s[6:7] offset:4 scale_offset
	s_wait_loadcnt 0x0
	v_subrev_nc_u32_e32 v46, s15, v2
	s_or_b32 exec_lo, exec_lo, s3
	s_cmp_lt_i32 s12, 1
	s_cbranch_scc1 .LBB175_113
.LBB175_5:
	s_clause 0x3
	s_load_b128 s[16:19], s[0:1], 0x40
	s_load_b64 s[10:11], s[0:1], 0x50
	s_load_b96 s[20:22], s[0:1], 0x30
	s_load_b64 s[24:25], s[0:1], 0x20
	s_ashr_i32 s5, s4, 31
	v_mbcnt_lo_u32_b32 v4, -1, 0
	s_lshl_b64 s[4:5], s[4:5], 2
	v_dual_lshlrev_b32 v48, 9, v1 :: v_dual_bitop2_b32 v47, 3, v0 bitop3:0x40
	v_dual_mov_b32 v3, 0 :: v_dual_lshlrev_b32 v2, 3, v1
	v_mul_lo_u32 v6, s14, v1
	v_xor_b32_e32 v1, 2, v4
	v_lshl_or_b32 v50, v4, 2, 12
	v_dual_lshlrev_b32 v49, 2, v0 :: v_dual_lshlrev_b32 v38, 3, v47
	v_mov_b32_e32 v39, v3
	s_delay_alu instid0(VALU_DEP_4)
	v_cmp_gt_i32_e64 s7, 32, v1
	v_xor_b32_e32 v5, 1, v4
	s_wait_xcnt 0x0
	v_cmp_gt_u32_e64 s0, 0x80, v0
	s_wait_kmcnt 0x0
	s_add_nc_u64 s[4:5], s[18:19], s[4:5]
	v_cmp_gt_u32_e64 s1, 64, v0
	s_load_b32 s9, s[4:5], 0x0
	v_cndmask_b32_e64 v1, v4, v1, s7
	v_cmp_gt_i32_e64 s7, 32, v5
	v_cmp_gt_u32_e64 s2, 32, v0
	v_cmp_gt_u32_e64 s3, 16, v0
	s_wait_xcnt 0x0
	v_cmp_gt_u32_e64 s4, 8, v0
	v_cmp_gt_u32_e64 s5, 4, v0
	v_dual_cndmask_b32 v5, v4, v5, s7 :: v_dual_ashrrev_i32 v7, 31, v6
	v_mul_lo_u32 v4, v47, s13
	v_cmp_gt_u32_e64 s6, 2, v0
	v_cmp_gt_u32_e64 s8, s14, v47
	s_delay_alu instid0(VALU_DEP_4)
	v_lshlrev_b32_e32 v52, 2, v5
	v_cmp_eq_u32_e64 s7, 0, v0
	v_or_b32_e32 v0, 8, v47
	s_mov_b32 s27, 0
	s_mov_b32 s26, s13
	;; [unrolled: 1-line block ×3, first 2 shown]
	v_dual_lshlrev_b32 v51, 2, v1 :: v_dual_bitop2_b32 v10, 4, v47 bitop3:0x54
	s_wait_kmcnt 0x0
	s_sub_co_i32 s18, s9, s22
	s_cmp_lg_u32 s30, 0
	v_lshl_add_u64 v[8:9], v[6:7], 3, s[16:17]
	s_cselect_b32 s23, -1, 0
	s_ashr_i32 s29, s14, 31
	s_lshl_b32 s19, s13, 2
	v_add_nc_u64_e32 v[6:7], s[16:17], v[2:3]
	s_mul_u64 s[16:17], s[28:29], s[26:27]
	s_and_b32 s28, vcc_lo, s8
	v_mov_b32_e32 v5, v3
	v_cmp_gt_u32_e64 s8, s14, v0
	v_add_nc_u32_e32 v0, s19, v4
	v_cmp_gt_u32_e64 s9, s14, v10
	v_or_b32_e32 v12, 16, v47
	v_dual_mov_b32 v1, v3 :: v_dual_bitop2_b32 v2, 12, v47 bitop3:0x54
	s_delay_alu instid0(VALU_DEP_4) | instskip(SKIP_1) | instid1(VALU_DEP_3)
	v_add_nc_u32_e32 v10, s19, v0
	s_and_b32 s13, vcc_lo, s9
	v_cmp_gt_u32_e64 s9, s14, v12
	s_and_b32 s30, vcc_lo, s8
	v_cmp_gt_u32_e64 s8, s14, v2
	v_dual_mov_b32 v13, v3 :: v_dual_add_nc_u32 v12, s19, v10
	v_dual_mov_b32 v11, v3 :: v_dual_bitop2_b32 v2, 20, v47 bitop3:0x54
	s_and_b32 s31, vcc_lo, s8
	s_delay_alu instid0(VALU_DEP_2) | instskip(SKIP_1) | instid1(VALU_DEP_3)
	v_dual_mov_b32 v15, v3 :: v_dual_add_nc_u32 v14, s19, v12
	v_or_b32_e32 v18, 28, v47
	v_cmp_gt_u32_e64 s8, s14, v2
	s_delay_alu instid0(VALU_DEP_3) | instskip(SKIP_3) | instid1(VALU_DEP_2)
	v_dual_add_nc_u32 v16, s19, v14 :: v_dual_bitop2_b32 v2, 24, v47 bitop3:0x54
	v_mov_b32_e32 v17, v3
	s_and_b32 s33, vcc_lo, s9
	s_and_b32 s34, vcc_lo, s8
	v_cmp_gt_u32_e64 s8, s14, v2
	v_or_b32_e32 v2, 32, v47
	v_cmp_gt_u32_e64 s9, s14, v18
	v_dual_mov_b32 v19, v3 :: v_dual_add_nc_u32 v18, s19, v16
	s_and_b32 s35, vcc_lo, s8
	v_cmp_gt_u32_e64 s8, s14, v2
	v_dual_mov_b32 v21, v3 :: v_dual_bitop2_b32 v2, 36, v47 bitop3:0x54
	s_delay_alu instid0(VALU_DEP_3) | instskip(SKIP_2) | instid1(VALU_DEP_2)
	v_dual_add_nc_u32 v20, s19, v18 :: v_dual_bitop2_b32 v24, 40, v47 bitop3:0x54
	s_and_b32 s36, vcc_lo, s9
	s_and_b32 s37, vcc_lo, s8
	v_cmp_gt_u32_e64 s8, s14, v2
	s_delay_alu instid0(VALU_DEP_2) | instskip(SKIP_2) | instid1(VALU_DEP_3)
	v_add_nc_u32_e32 v22, s19, v20
	v_cmp_gt_u32_e64 s9, s14, v24
	v_dual_mov_b32 v23, v3 :: v_dual_bitop2_b32 v2, 44, v47 bitop3:0x54
	v_dual_mov_b32 v25, v3 :: v_dual_add_nc_u32 v24, s19, v22
	s_abs_i32 s41, s14
	s_and_b32 s38, vcc_lo, s8
	s_delay_alu instid0(VALU_DEP_2) | instskip(NEXT) | instid1(VALU_DEP_2)
	v_cmp_gt_u32_e64 s8, s14, v2
	v_dual_mov_b32 v27, v3 :: v_dual_add_nc_u32 v26, s19, v24
	v_or_b32_e32 v2, 48, v47
	s_cvt_f32_u32 s26, s41
	v_dual_mov_b32 v29, v3 :: v_dual_bitop2_b32 v30, 52, v47 bitop3:0x54
	s_delay_alu instid0(VALU_DEP_3)
	v_add_nc_u32_e32 v28, s19, v26
	s_and_b32 s40, vcc_lo, s8
	v_cmp_gt_u32_e64 s8, s14, v2
	v_rcp_iflag_f32_e32 v2, s26
	s_and_b32 s39, vcc_lo, s9
	v_cmp_gt_u32_e64 s9, s14, v30
	v_dual_add_nc_u32 v30, s19, v28 :: v_dual_bitop2_b32 v33, 56, v47 bitop3:0x54
	v_mov_b32_e32 v31, v3
	s_and_b32 s42, vcc_lo, s8
	s_delay_alu instid0(TRANS32_DEP_1) | instskip(NEXT) | instid1(VALU_DEP_3)
	v_readfirstlane_b32 s26, v2
	v_add_nc_u32_e32 v32, s19, v30
	v_cmp_gt_u32_e64 s8, s14, v33
	v_dual_mov_b32 v33, v3 :: v_dual_bitop2_b32 v2, 60, v47 bitop3:0x54
	s_mul_f32 s26, s26, 0x4f7ffffe
	v_dual_mov_b32 v35, v3 :: v_dual_add_nc_u32 v34, s19, v32
	v_add_nc_u64_e32 v[8:9], v[8:9], v[38:39]
	s_delay_alu instid0(SALU_CYCLE_1) | instskip(SKIP_1) | instid1(VALU_DEP_2)
	s_cvt_u32_f32 s26, s26
	s_and_b32 s43, vcc_lo, s8
	v_dual_mov_b32 v37, v3 :: v_dual_add_nc_u32 v36, s19, v34
	s_sub_co_i32 s19, 0, s41
	v_cmp_gt_u32_e64 s8, s14, v2
	v_dual_mov_b32 v55, 1 :: v_dual_add_nc_u32 v54, v38, v48
	v_mov_b64_e32 v[38:39], 0
	s_mul_i32 s19, s19, s26
	v_mov_b32_e32 v42, 0
	s_mul_hi_u32 s19, s26, s19
	s_and_b32 s9, vcc_lo, s9
	s_and_b32 s44, vcc_lo, s8
	s_add_co_i32 s26, s26, s19
	s_branch .LBB175_7
.LBB175_6:                              ;   in Loop: Header=BB175_7 Depth=1
	s_or_b32 exec_lo, exec_lo, s19
	s_wait_dscnt 0x0
	s_barrier_signal -1
	s_barrier_wait -1
	ds_load_b32 v42, v3
	s_add_co_i32 s18, s8, s18
	s_wait_dscnt 0x0
	s_barrier_signal -1
	s_barrier_wait -1
	v_cmp_gt_i32_e32 vcc_lo, s12, v42
	s_cbranch_vccz .LBB175_113
.LBB175_7:                              ; =>This Loop Header: Depth=1
                                        ;     Child Loop BB175_10 Depth 2
	v_dual_add_nc_u32 v40, v53, v47 :: v_dual_mov_b32 v56, s12
	v_mov_b32_e32 v41, v46
	s_mov_b32 s19, exec_lo
	ds_store_b8 v3, v3 offset:32768
	ds_store_2addr_b64 v54, v[38:39], v[38:39] offset1:4
	ds_store_2addr_b64 v54, v[38:39], v[38:39] offset0:8 offset1:12
	ds_store_2addr_b64 v54, v[38:39], v[38:39] offset0:16 offset1:20
	;; [unrolled: 1-line block ×7, first 2 shown]
	s_wait_dscnt 0x0
	s_barrier_signal -1
	s_barrier_wait -1
	v_cmpx_lt_i32_e64 v40, v46
	s_cbranch_execz .LBB175_15
; %bb.8:                                ;   in Loop: Header=BB175_7 Depth=1
	v_mul_lo_u32 v43, v42, s14
	v_dual_mov_b32 v56, s12 :: v_dual_mov_b32 v41, v46
	s_mov_b32 s45, 0
	s_branch .LBB175_10
.LBB175_9:                              ;   in Loop: Header=BB175_10 Depth=2
	s_wait_xcnt 0x0
	s_or_b32 exec_lo, exec_lo, s8
	v_add_nc_u32_e32 v40, 4, v40
	s_xor_b32 s46, vcc_lo, -1
	s_delay_alu instid0(VALU_DEP_1) | instskip(SKIP_1) | instid1(SALU_CYCLE_1)
	v_cmp_ge_i32_e64 s8, v40, v46
	s_or_b32 s8, s46, s8
	s_and_b32 s8, exec_lo, s8
	s_delay_alu instid0(SALU_CYCLE_1) | instskip(NEXT) | instid1(SALU_CYCLE_1)
	s_or_b32 s45, s8, s45
	s_and_not1_b32 exec_lo, exec_lo, s45
	s_cbranch_execz .LBB175_14
.LBB175_10:                             ;   Parent Loop BB175_7 Depth=1
                                        ; =>  This Inner Loop Header: Depth=2
	global_load_b32 v2, v40, s[20:21] scale_offset
	s_wait_loadcnt 0x0
	v_subrev_nc_u32_e32 v44, s15, v2
	s_delay_alu instid0(VALU_DEP_1) | instskip(NEXT) | instid1(VALU_DEP_1)
	v_dual_sub_nc_u32 v2, 0, v44 :: v_dual_ashrrev_i32 v57, 31, v44
	v_max_i32_e32 v2, v44, v2
	s_delay_alu instid0(VALU_DEP_2) | instskip(NEXT) | instid1(VALU_DEP_2)
	v_xor_b32_e32 v57, s29, v57
	v_mul_u64_e32 v[58:59], s[26:27], v[2:3]
	s_delay_alu instid0(VALU_DEP_1) | instskip(NEXT) | instid1(VALU_DEP_1)
	v_mul_lo_u32 v45, v59, s41
	v_dual_sub_nc_u32 v2, v2, v45 :: v_dual_add_nc_u32 v45, 1, v59
	s_delay_alu instid0(VALU_DEP_1) | instskip(SKIP_1) | instid1(VALU_DEP_3)
	v_subrev_nc_u32_e32 v53, s41, v2
	v_cmp_le_u32_e32 vcc_lo, s41, v2
	v_cndmask_b32_e32 v45, v59, v45, vcc_lo
	s_delay_alu instid0(VALU_DEP_3) | instskip(NEXT) | instid1(VALU_DEP_2)
	v_cndmask_b32_e32 v2, v2, v53, vcc_lo
	v_add_nc_u32_e32 v53, 1, v45
	s_delay_alu instid0(VALU_DEP_2) | instskip(NEXT) | instid1(VALU_DEP_2)
	v_cmp_le_u32_e32 vcc_lo, s41, v2
	v_cndmask_b32_e32 v2, v45, v53, vcc_lo
	s_delay_alu instid0(VALU_DEP_1) | instskip(NEXT) | instid1(VALU_DEP_1)
	v_xor_b32_e32 v2, v2, v57
	v_dual_mov_b32 v2, v41 :: v_dual_sub_nc_u32 v45, v2, v57
	s_delay_alu instid0(VALU_DEP_1) | instskip(SKIP_3) | instid1(SALU_CYCLE_1)
	v_cmp_ne_u32_e64 s8, v45, v42
	v_cmp_eq_u32_e32 vcc_lo, v45, v42
	s_wait_xcnt 0x0
	s_and_saveexec_b32 s46, s8
	s_xor_b32 s8, exec_lo, s46
; %bb.11:                               ;   in Loop: Header=BB175_10 Depth=2
	v_min_i32_e32 v56, v45, v56
                                        ; implicit-def: $vgpr44
                                        ; implicit-def: $vgpr2
; %bb.12:                               ;   in Loop: Header=BB175_10 Depth=2
	s_or_saveexec_b32 s8, s8
	v_mov_b32_e32 v41, v40
	s_xor_b32 exec_lo, exec_lo, s8
	s_cbranch_execz .LBB175_9
; %bb.13:                               ;   in Loop: Header=BB175_10 Depth=2
	v_ashrrev_i32_e32 v41, 31, v40
	s_delay_alu instid0(VALU_DEP_1)
	v_lshl_add_u64 v[58:59], v[40:41], 3, s[24:25]
	v_sub_nc_u32_e32 v41, v44, v43
	global_load_b64 v[58:59], v[58:59], off
	v_lshl_add_u32 v44, v41, 3, v48
	v_mov_b32_e32 v41, v2
	ds_store_b8 v3, v55 offset:32768
	s_wait_loadcnt 0x0
	ds_store_b64 v44, v[58:59]
	s_branch .LBB175_9
.LBB175_14:                             ;   in Loop: Header=BB175_7 Depth=1
	s_or_b32 exec_lo, exec_lo, s45
.LBB175_15:                             ;   in Loop: Header=BB175_7 Depth=1
	s_delay_alu instid0(SALU_CYCLE_1)
	s_or_b32 exec_lo, exec_lo, s19
	ds_bpermute_b32 v2, v51, v41
	s_wait_dscnt 0x0
	s_barrier_signal -1
	s_barrier_wait -1
	s_mov_b32 s8, 0
	v_min_i32_e32 v2, v2, v41
	ds_load_u8 v41, v3 offset:32768
	ds_bpermute_b32 v40, v52, v2
	s_wait_dscnt 0x0
	v_min_i32_e32 v2, v40, v2
	ds_bpermute_b32 v53, v50, v2
	v_and_b32_e32 v2, 1, v41
	s_delay_alu instid0(VALU_DEP_1)
	v_cmp_eq_u32_e32 vcc_lo, 0, v2
	s_cbranch_vccnz .LBB175_81
; %bb.16:                               ;   in Loop: Header=BB175_7 Depth=1
	s_ashr_i32 s19, s18, 31
	v_dual_add_nc_u32 v2, s22, v42 :: v_dual_mov_b32 v44, s18
	s_mul_u64 s[46:47], s[16:17], s[18:19]
	s_delay_alu instid0(SALU_CYCLE_1) | instskip(NEXT) | instid1(SALU_CYCLE_1)
	s_lshl_b64 s[46:47], s[46:47], 3
	v_add_nc_u64_e32 v[42:43], s[46:47], v[6:7]
	v_add_nc_u64_e32 v[40:41], s[46:47], v[8:9]
	global_store_b32 v44, v2, s[10:11] scale_offset
	s_wait_xcnt 0x0
	s_and_saveexec_b32 s8, s28
	s_cbranch_execz .LBB175_20
; %bb.17:                               ;   in Loop: Header=BB175_7 Depth=1
	s_and_b32 vcc_lo, exec_lo, s23
	s_cbranch_vccz .LBB175_97
; %bb.18:                               ;   in Loop: Header=BB175_7 Depth=1
	ds_load_b64 v[44:45], v54
	v_lshl_add_u64 v[58:59], v[4:5], 3, v[42:43]
	s_wait_dscnt 0x0
	global_store_b64 v[58:59], v[44:45], off
	s_cbranch_execnz .LBB175_20
.LBB175_19:                             ;   in Loop: Header=BB175_7 Depth=1
	s_wait_xcnt 0x0
	ds_load_b64 v[44:45], v54
	s_wait_dscnt 0x0
	global_store_b64 v[40:41], v[44:45], off
.LBB175_20:                             ;   in Loop: Header=BB175_7 Depth=1
	s_wait_xcnt 0x0
	s_or_b32 exec_lo, exec_lo, s8
	s_and_saveexec_b32 s8, s13
	s_cbranch_execz .LBB175_24
; %bb.21:                               ;   in Loop: Header=BB175_7 Depth=1
	ds_load_b64 v[44:45], v54 offset:32
	s_and_not1_b32 vcc_lo, exec_lo, s23
	s_cbranch_vccnz .LBB175_98
; %bb.22:                               ;   in Loop: Header=BB175_7 Depth=1
	v_lshl_add_u64 v[58:59], v[0:1], 3, v[42:43]
	s_wait_dscnt 0x0
	global_store_b64 v[58:59], v[44:45], off
	s_cbranch_execnz .LBB175_24
.LBB175_23:                             ;   in Loop: Header=BB175_7 Depth=1
	s_wait_dscnt 0x0
	global_store_b64 v[40:41], v[44:45], off offset:32
.LBB175_24:                             ;   in Loop: Header=BB175_7 Depth=1
	s_wait_xcnt 0x0
	s_or_b32 exec_lo, exec_lo, s8
	s_and_saveexec_b32 s8, s30
	s_cbranch_execz .LBB175_28
; %bb.25:                               ;   in Loop: Header=BB175_7 Depth=1
	s_wait_dscnt 0x0
	ds_load_b64 v[44:45], v54 offset:64
	s_and_not1_b32 vcc_lo, exec_lo, s23
	s_cbranch_vccnz .LBB175_99
; %bb.26:                               ;   in Loop: Header=BB175_7 Depth=1
	v_lshl_add_u64 v[58:59], v[10:11], 3, v[42:43]
	s_wait_dscnt 0x0
	global_store_b64 v[58:59], v[44:45], off
	s_cbranch_execnz .LBB175_28
.LBB175_27:                             ;   in Loop: Header=BB175_7 Depth=1
	s_wait_dscnt 0x0
	global_store_b64 v[40:41], v[44:45], off offset:64
.LBB175_28:                             ;   in Loop: Header=BB175_7 Depth=1
	s_wait_xcnt 0x0
	s_or_b32 exec_lo, exec_lo, s8
	s_and_saveexec_b32 s8, s31
	s_cbranch_execz .LBB175_32
; %bb.29:                               ;   in Loop: Header=BB175_7 Depth=1
	s_wait_dscnt 0x0
	ds_load_b64 v[44:45], v54 offset:96
	s_and_not1_b32 vcc_lo, exec_lo, s23
	s_cbranch_vccnz .LBB175_100
; %bb.30:                               ;   in Loop: Header=BB175_7 Depth=1
	v_lshl_add_u64 v[58:59], v[12:13], 3, v[42:43]
	s_wait_dscnt 0x0
	global_store_b64 v[58:59], v[44:45], off
	s_cbranch_execnz .LBB175_32
.LBB175_31:                             ;   in Loop: Header=BB175_7 Depth=1
	s_wait_dscnt 0x0
	global_store_b64 v[40:41], v[44:45], off offset:96
.LBB175_32:                             ;   in Loop: Header=BB175_7 Depth=1
	s_wait_xcnt 0x0
	s_or_b32 exec_lo, exec_lo, s8
	s_and_saveexec_b32 s8, s33
	s_cbranch_execz .LBB175_36
; %bb.33:                               ;   in Loop: Header=BB175_7 Depth=1
	s_wait_dscnt 0x0
	ds_load_b64 v[44:45], v54 offset:128
	s_and_not1_b32 vcc_lo, exec_lo, s23
	s_cbranch_vccnz .LBB175_101
; %bb.34:                               ;   in Loop: Header=BB175_7 Depth=1
	v_lshl_add_u64 v[58:59], v[14:15], 3, v[42:43]
	s_wait_dscnt 0x0
	global_store_b64 v[58:59], v[44:45], off
	s_cbranch_execnz .LBB175_36
.LBB175_35:                             ;   in Loop: Header=BB175_7 Depth=1
	s_wait_dscnt 0x0
	global_store_b64 v[40:41], v[44:45], off offset:128
.LBB175_36:                             ;   in Loop: Header=BB175_7 Depth=1
	s_wait_xcnt 0x0
	s_or_b32 exec_lo, exec_lo, s8
	s_and_saveexec_b32 s8, s34
	s_cbranch_execz .LBB175_40
; %bb.37:                               ;   in Loop: Header=BB175_7 Depth=1
	s_wait_dscnt 0x0
	ds_load_b64 v[44:45], v54 offset:160
	s_and_not1_b32 vcc_lo, exec_lo, s23
	s_cbranch_vccnz .LBB175_102
; %bb.38:                               ;   in Loop: Header=BB175_7 Depth=1
	v_lshl_add_u64 v[58:59], v[16:17], 3, v[42:43]
	s_wait_dscnt 0x0
	global_store_b64 v[58:59], v[44:45], off
	s_cbranch_execnz .LBB175_40
.LBB175_39:                             ;   in Loop: Header=BB175_7 Depth=1
	s_wait_dscnt 0x0
	global_store_b64 v[40:41], v[44:45], off offset:160
.LBB175_40:                             ;   in Loop: Header=BB175_7 Depth=1
	s_wait_xcnt 0x0
	s_or_b32 exec_lo, exec_lo, s8
	s_and_saveexec_b32 s8, s35
	s_cbranch_execz .LBB175_44
; %bb.41:                               ;   in Loop: Header=BB175_7 Depth=1
	s_wait_dscnt 0x0
	ds_load_b64 v[44:45], v54 offset:192
	s_and_not1_b32 vcc_lo, exec_lo, s23
	s_cbranch_vccnz .LBB175_103
; %bb.42:                               ;   in Loop: Header=BB175_7 Depth=1
	v_lshl_add_u64 v[58:59], v[18:19], 3, v[42:43]
	s_wait_dscnt 0x0
	global_store_b64 v[58:59], v[44:45], off
	s_cbranch_execnz .LBB175_44
.LBB175_43:                             ;   in Loop: Header=BB175_7 Depth=1
	s_wait_dscnt 0x0
	global_store_b64 v[40:41], v[44:45], off offset:192
.LBB175_44:                             ;   in Loop: Header=BB175_7 Depth=1
	s_wait_xcnt 0x0
	s_or_b32 exec_lo, exec_lo, s8
	s_and_saveexec_b32 s8, s36
	s_cbranch_execz .LBB175_48
; %bb.45:                               ;   in Loop: Header=BB175_7 Depth=1
	s_wait_dscnt 0x0
	ds_load_b64 v[44:45], v54 offset:224
	s_and_not1_b32 vcc_lo, exec_lo, s23
	s_cbranch_vccnz .LBB175_104
; %bb.46:                               ;   in Loop: Header=BB175_7 Depth=1
	v_lshl_add_u64 v[58:59], v[20:21], 3, v[42:43]
	s_wait_dscnt 0x0
	global_store_b64 v[58:59], v[44:45], off
	s_cbranch_execnz .LBB175_48
.LBB175_47:                             ;   in Loop: Header=BB175_7 Depth=1
	s_wait_dscnt 0x0
	global_store_b64 v[40:41], v[44:45], off offset:224
.LBB175_48:                             ;   in Loop: Header=BB175_7 Depth=1
	s_wait_xcnt 0x0
	s_or_b32 exec_lo, exec_lo, s8
	s_and_saveexec_b32 s8, s37
	s_cbranch_execz .LBB175_52
; %bb.49:                               ;   in Loop: Header=BB175_7 Depth=1
	s_wait_dscnt 0x0
	ds_load_b64 v[44:45], v54 offset:256
	s_and_not1_b32 vcc_lo, exec_lo, s23
	s_cbranch_vccnz .LBB175_105
; %bb.50:                               ;   in Loop: Header=BB175_7 Depth=1
	v_lshl_add_u64 v[58:59], v[22:23], 3, v[42:43]
	s_wait_dscnt 0x0
	global_store_b64 v[58:59], v[44:45], off
	s_cbranch_execnz .LBB175_52
.LBB175_51:                             ;   in Loop: Header=BB175_7 Depth=1
	s_wait_dscnt 0x0
	global_store_b64 v[40:41], v[44:45], off offset:256
.LBB175_52:                             ;   in Loop: Header=BB175_7 Depth=1
	s_wait_xcnt 0x0
	s_or_b32 exec_lo, exec_lo, s8
	s_and_saveexec_b32 s8, s38
	s_cbranch_execz .LBB175_56
; %bb.53:                               ;   in Loop: Header=BB175_7 Depth=1
	s_wait_dscnt 0x0
	ds_load_b64 v[44:45], v54 offset:288
	s_and_not1_b32 vcc_lo, exec_lo, s23
	s_cbranch_vccnz .LBB175_106
; %bb.54:                               ;   in Loop: Header=BB175_7 Depth=1
	v_lshl_add_u64 v[58:59], v[24:25], 3, v[42:43]
	s_wait_dscnt 0x0
	global_store_b64 v[58:59], v[44:45], off
	s_cbranch_execnz .LBB175_56
.LBB175_55:                             ;   in Loop: Header=BB175_7 Depth=1
	s_wait_dscnt 0x0
	global_store_b64 v[40:41], v[44:45], off offset:288
.LBB175_56:                             ;   in Loop: Header=BB175_7 Depth=1
	s_wait_xcnt 0x0
	s_or_b32 exec_lo, exec_lo, s8
	s_and_saveexec_b32 s8, s39
	s_cbranch_execz .LBB175_60
; %bb.57:                               ;   in Loop: Header=BB175_7 Depth=1
	s_wait_dscnt 0x0
	ds_load_b64 v[44:45], v54 offset:320
	s_and_not1_b32 vcc_lo, exec_lo, s23
	s_cbranch_vccnz .LBB175_107
; %bb.58:                               ;   in Loop: Header=BB175_7 Depth=1
	v_lshl_add_u64 v[58:59], v[26:27], 3, v[42:43]
	s_wait_dscnt 0x0
	global_store_b64 v[58:59], v[44:45], off
	s_cbranch_execnz .LBB175_60
.LBB175_59:                             ;   in Loop: Header=BB175_7 Depth=1
	s_wait_dscnt 0x0
	global_store_b64 v[40:41], v[44:45], off offset:320
.LBB175_60:                             ;   in Loop: Header=BB175_7 Depth=1
	s_wait_xcnt 0x0
	s_or_b32 exec_lo, exec_lo, s8
	s_and_saveexec_b32 s8, s40
	s_cbranch_execz .LBB175_64
; %bb.61:                               ;   in Loop: Header=BB175_7 Depth=1
	s_wait_dscnt 0x0
	ds_load_b64 v[44:45], v54 offset:352
	s_and_not1_b32 vcc_lo, exec_lo, s23
	s_cbranch_vccnz .LBB175_108
; %bb.62:                               ;   in Loop: Header=BB175_7 Depth=1
	v_lshl_add_u64 v[58:59], v[28:29], 3, v[42:43]
	s_wait_dscnt 0x0
	global_store_b64 v[58:59], v[44:45], off
	s_cbranch_execnz .LBB175_64
.LBB175_63:                             ;   in Loop: Header=BB175_7 Depth=1
	s_wait_dscnt 0x0
	global_store_b64 v[40:41], v[44:45], off offset:352
.LBB175_64:                             ;   in Loop: Header=BB175_7 Depth=1
	s_wait_xcnt 0x0
	s_or_b32 exec_lo, exec_lo, s8
	s_and_saveexec_b32 s8, s42
	s_cbranch_execz .LBB175_68
; %bb.65:                               ;   in Loop: Header=BB175_7 Depth=1
	s_wait_dscnt 0x0
	ds_load_b64 v[44:45], v54 offset:384
	s_and_not1_b32 vcc_lo, exec_lo, s23
	s_cbranch_vccnz .LBB175_109
; %bb.66:                               ;   in Loop: Header=BB175_7 Depth=1
	v_lshl_add_u64 v[58:59], v[30:31], 3, v[42:43]
	s_wait_dscnt 0x0
	global_store_b64 v[58:59], v[44:45], off
	s_cbranch_execnz .LBB175_68
.LBB175_67:                             ;   in Loop: Header=BB175_7 Depth=1
	s_wait_dscnt 0x0
	global_store_b64 v[40:41], v[44:45], off offset:384
.LBB175_68:                             ;   in Loop: Header=BB175_7 Depth=1
	s_wait_xcnt 0x0
	s_or_b32 exec_lo, exec_lo, s8
	s_and_saveexec_b32 s8, s9
	s_cbranch_execz .LBB175_72
; %bb.69:                               ;   in Loop: Header=BB175_7 Depth=1
	s_wait_dscnt 0x0
	ds_load_b64 v[44:45], v54 offset:416
	s_and_not1_b32 vcc_lo, exec_lo, s23
	s_cbranch_vccnz .LBB175_110
; %bb.70:                               ;   in Loop: Header=BB175_7 Depth=1
	v_lshl_add_u64 v[58:59], v[32:33], 3, v[42:43]
	s_wait_dscnt 0x0
	global_store_b64 v[58:59], v[44:45], off
	s_cbranch_execnz .LBB175_72
.LBB175_71:                             ;   in Loop: Header=BB175_7 Depth=1
	s_wait_dscnt 0x0
	global_store_b64 v[40:41], v[44:45], off offset:416
.LBB175_72:                             ;   in Loop: Header=BB175_7 Depth=1
	s_wait_xcnt 0x0
	s_or_b32 exec_lo, exec_lo, s8
	s_and_saveexec_b32 s8, s43
	s_cbranch_execz .LBB175_76
; %bb.73:                               ;   in Loop: Header=BB175_7 Depth=1
	s_wait_dscnt 0x0
	ds_load_b64 v[44:45], v54 offset:448
	s_and_not1_b32 vcc_lo, exec_lo, s23
	s_cbranch_vccnz .LBB175_111
; %bb.74:                               ;   in Loop: Header=BB175_7 Depth=1
	v_lshl_add_u64 v[58:59], v[34:35], 3, v[42:43]
	s_wait_dscnt 0x0
	global_store_b64 v[58:59], v[44:45], off
	s_cbranch_execnz .LBB175_76
.LBB175_75:                             ;   in Loop: Header=BB175_7 Depth=1
	s_wait_dscnt 0x0
	global_store_b64 v[40:41], v[44:45], off offset:448
.LBB175_76:                             ;   in Loop: Header=BB175_7 Depth=1
	s_wait_xcnt 0x0
	s_or_b32 exec_lo, exec_lo, s8
	s_and_saveexec_b32 s8, s44
	s_cbranch_execz .LBB175_80
; %bb.77:                               ;   in Loop: Header=BB175_7 Depth=1
	s_wait_dscnt 0x0
	ds_load_b64 v[44:45], v54 offset:480
	s_and_not1_b32 vcc_lo, exec_lo, s23
	s_cbranch_vccnz .LBB175_112
; %bb.78:                               ;   in Loop: Header=BB175_7 Depth=1
	v_lshl_add_u64 v[42:43], v[36:37], 3, v[42:43]
	s_wait_dscnt 0x0
	global_store_b64 v[42:43], v[44:45], off
	s_cbranch_execnz .LBB175_80
.LBB175_79:                             ;   in Loop: Header=BB175_7 Depth=1
	s_wait_dscnt 0x0
	global_store_b64 v[40:41], v[44:45], off offset:480
.LBB175_80:                             ;   in Loop: Header=BB175_7 Depth=1
	s_wait_xcnt 0x0
	s_or_b32 exec_lo, exec_lo, s8
	s_mov_b32 s8, 1
.LBB175_81:                             ;   in Loop: Header=BB175_7 Depth=1
	s_wait_storecnt_dscnt 0x0
	s_barrier_signal -1
	s_barrier_wait -1
	ds_store_b32 v49, v56
	s_wait_dscnt 0x0
	s_barrier_signal -1
	s_barrier_wait -1
	s_and_saveexec_b32 s19, s0
	s_cbranch_execz .LBB175_83
; %bb.82:                               ;   in Loop: Header=BB175_7 Depth=1
	ds_load_2addr_stride64_b32 v[40:41], v49 offset1:2
	s_wait_dscnt 0x0
	v_min_i32_e32 v2, v41, v40
	ds_store_b32 v49, v2
.LBB175_83:                             ;   in Loop: Header=BB175_7 Depth=1
	s_or_b32 exec_lo, exec_lo, s19
	s_wait_dscnt 0x0
	s_barrier_signal -1
	s_barrier_wait -1
	s_and_saveexec_b32 s19, s1
	s_cbranch_execz .LBB175_85
; %bb.84:                               ;   in Loop: Header=BB175_7 Depth=1
	ds_load_2addr_stride64_b32 v[40:41], v49 offset1:1
	s_wait_dscnt 0x0
	v_min_i32_e32 v2, v41, v40
	ds_store_b32 v49, v2
.LBB175_85:                             ;   in Loop: Header=BB175_7 Depth=1
	s_or_b32 exec_lo, exec_lo, s19
	s_wait_dscnt 0x0
	s_barrier_signal -1
	s_barrier_wait -1
	s_and_saveexec_b32 s19, s2
	s_cbranch_execz .LBB175_87
; %bb.86:                               ;   in Loop: Header=BB175_7 Depth=1
	ds_load_2addr_b32 v[40:41], v49 offset1:32
	s_wait_dscnt 0x0
	v_min_i32_e32 v2, v41, v40
	ds_store_b32 v49, v2
.LBB175_87:                             ;   in Loop: Header=BB175_7 Depth=1
	s_or_b32 exec_lo, exec_lo, s19
	s_wait_dscnt 0x0
	s_barrier_signal -1
	s_barrier_wait -1
	s_and_saveexec_b32 s19, s3
	s_cbranch_execz .LBB175_89
; %bb.88:                               ;   in Loop: Header=BB175_7 Depth=1
	ds_load_2addr_b32 v[40:41], v49 offset1:16
	s_wait_dscnt 0x0
	v_min_i32_e32 v2, v41, v40
	ds_store_b32 v49, v2
.LBB175_89:                             ;   in Loop: Header=BB175_7 Depth=1
	;; [unrolled: 12-line block ×5, first 2 shown]
	s_or_b32 exec_lo, exec_lo, s19
	s_wait_dscnt 0x0
	s_barrier_signal -1
	s_barrier_wait -1
	s_and_saveexec_b32 s19, s7
	s_cbranch_execz .LBB175_6
; %bb.96:                               ;   in Loop: Header=BB175_7 Depth=1
	ds_load_b64 v[40:41], v3
	s_wait_dscnt 0x0
	v_min_i32_e32 v2, v41, v40
	ds_store_b32 v3, v2
	s_branch .LBB175_6
.LBB175_97:                             ;   in Loop: Header=BB175_7 Depth=1
	s_branch .LBB175_19
.LBB175_98:                             ;   in Loop: Header=BB175_7 Depth=1
	s_branch .LBB175_23
.LBB175_99:                             ;   in Loop: Header=BB175_7 Depth=1
	s_branch .LBB175_27
.LBB175_100:                            ;   in Loop: Header=BB175_7 Depth=1
	s_branch .LBB175_31
.LBB175_101:                            ;   in Loop: Header=BB175_7 Depth=1
	s_branch .LBB175_35
.LBB175_102:                            ;   in Loop: Header=BB175_7 Depth=1
	s_branch .LBB175_39
.LBB175_103:                            ;   in Loop: Header=BB175_7 Depth=1
	s_branch .LBB175_43
.LBB175_104:                            ;   in Loop: Header=BB175_7 Depth=1
	s_branch .LBB175_47
.LBB175_105:                            ;   in Loop: Header=BB175_7 Depth=1
	s_branch .LBB175_51
.LBB175_106:                            ;   in Loop: Header=BB175_7 Depth=1
	s_branch .LBB175_55
.LBB175_107:                            ;   in Loop: Header=BB175_7 Depth=1
	s_branch .LBB175_59
.LBB175_108:                            ;   in Loop: Header=BB175_7 Depth=1
	s_branch .LBB175_63
.LBB175_109:                            ;   in Loop: Header=BB175_7 Depth=1
	s_branch .LBB175_67
.LBB175_110:                            ;   in Loop: Header=BB175_7 Depth=1
	s_branch .LBB175_71
.LBB175_111:                            ;   in Loop: Header=BB175_7 Depth=1
	s_branch .LBB175_75
.LBB175_112:                            ;   in Loop: Header=BB175_7 Depth=1
	s_branch .LBB175_79
.LBB175_113:
	s_endpgm
	.section	.rodata,"a",@progbits
	.p2align	6, 0x0
	.amdhsa_kernel _ZN9rocsparseL40csr2gebsr_block_per_row_multipass_kernelILj256ELj64ELj64E21rocsparse_complex_numIfEEEv20rocsparse_direction_iiiiii21rocsparse_index_base_PKT2_PKiS9_S4_PS5_PiSB_
		.amdhsa_group_segment_fixed_size 32772
		.amdhsa_private_segment_fixed_size 0
		.amdhsa_kernarg_size 88
		.amdhsa_user_sgpr_count 2
		.amdhsa_user_sgpr_dispatch_ptr 0
		.amdhsa_user_sgpr_queue_ptr 0
		.amdhsa_user_sgpr_kernarg_segment_ptr 1
		.amdhsa_user_sgpr_dispatch_id 0
		.amdhsa_user_sgpr_kernarg_preload_length 0
		.amdhsa_user_sgpr_kernarg_preload_offset 0
		.amdhsa_user_sgpr_private_segment_size 0
		.amdhsa_wavefront_size32 1
		.amdhsa_uses_dynamic_stack 0
		.amdhsa_enable_private_segment 0
		.amdhsa_system_sgpr_workgroup_id_x 1
		.amdhsa_system_sgpr_workgroup_id_y 0
		.amdhsa_system_sgpr_workgroup_id_z 0
		.amdhsa_system_sgpr_workgroup_info 0
		.amdhsa_system_vgpr_workitem_id 0
		.amdhsa_next_free_vgpr 60
		.amdhsa_next_free_sgpr 48
		.amdhsa_named_barrier_count 0
		.amdhsa_reserve_vcc 1
		.amdhsa_float_round_mode_32 0
		.amdhsa_float_round_mode_16_64 0
		.amdhsa_float_denorm_mode_32 3
		.amdhsa_float_denorm_mode_16_64 3
		.amdhsa_fp16_overflow 0
		.amdhsa_memory_ordered 1
		.amdhsa_forward_progress 1
		.amdhsa_inst_pref_size 27
		.amdhsa_round_robin_scheduling 0
		.amdhsa_exception_fp_ieee_invalid_op 0
		.amdhsa_exception_fp_denorm_src 0
		.amdhsa_exception_fp_ieee_div_zero 0
		.amdhsa_exception_fp_ieee_overflow 0
		.amdhsa_exception_fp_ieee_underflow 0
		.amdhsa_exception_fp_ieee_inexact 0
		.amdhsa_exception_int_div_zero 0
	.end_amdhsa_kernel
	.section	.text._ZN9rocsparseL40csr2gebsr_block_per_row_multipass_kernelILj256ELj64ELj64E21rocsparse_complex_numIfEEEv20rocsparse_direction_iiiiii21rocsparse_index_base_PKT2_PKiS9_S4_PS5_PiSB_,"axG",@progbits,_ZN9rocsparseL40csr2gebsr_block_per_row_multipass_kernelILj256ELj64ELj64E21rocsparse_complex_numIfEEEv20rocsparse_direction_iiiiii21rocsparse_index_base_PKT2_PKiS9_S4_PS5_PiSB_,comdat
.Lfunc_end175:
	.size	_ZN9rocsparseL40csr2gebsr_block_per_row_multipass_kernelILj256ELj64ELj64E21rocsparse_complex_numIfEEEv20rocsparse_direction_iiiiii21rocsparse_index_base_PKT2_PKiS9_S4_PS5_PiSB_, .Lfunc_end175-_ZN9rocsparseL40csr2gebsr_block_per_row_multipass_kernelILj256ELj64ELj64E21rocsparse_complex_numIfEEEv20rocsparse_direction_iiiiii21rocsparse_index_base_PKT2_PKiS9_S4_PS5_PiSB_
                                        ; -- End function
	.set _ZN9rocsparseL40csr2gebsr_block_per_row_multipass_kernelILj256ELj64ELj64E21rocsparse_complex_numIfEEEv20rocsparse_direction_iiiiii21rocsparse_index_base_PKT2_PKiS9_S4_PS5_PiSB_.num_vgpr, 60
	.set _ZN9rocsparseL40csr2gebsr_block_per_row_multipass_kernelILj256ELj64ELj64E21rocsparse_complex_numIfEEEv20rocsparse_direction_iiiiii21rocsparse_index_base_PKT2_PKiS9_S4_PS5_PiSB_.num_agpr, 0
	.set _ZN9rocsparseL40csr2gebsr_block_per_row_multipass_kernelILj256ELj64ELj64E21rocsparse_complex_numIfEEEv20rocsparse_direction_iiiiii21rocsparse_index_base_PKT2_PKiS9_S4_PS5_PiSB_.numbered_sgpr, 48
	.set _ZN9rocsparseL40csr2gebsr_block_per_row_multipass_kernelILj256ELj64ELj64E21rocsparse_complex_numIfEEEv20rocsparse_direction_iiiiii21rocsparse_index_base_PKT2_PKiS9_S4_PS5_PiSB_.num_named_barrier, 0
	.set _ZN9rocsparseL40csr2gebsr_block_per_row_multipass_kernelILj256ELj64ELj64E21rocsparse_complex_numIfEEEv20rocsparse_direction_iiiiii21rocsparse_index_base_PKT2_PKiS9_S4_PS5_PiSB_.private_seg_size, 0
	.set _ZN9rocsparseL40csr2gebsr_block_per_row_multipass_kernelILj256ELj64ELj64E21rocsparse_complex_numIfEEEv20rocsparse_direction_iiiiii21rocsparse_index_base_PKT2_PKiS9_S4_PS5_PiSB_.uses_vcc, 1
	.set _ZN9rocsparseL40csr2gebsr_block_per_row_multipass_kernelILj256ELj64ELj64E21rocsparse_complex_numIfEEEv20rocsparse_direction_iiiiii21rocsparse_index_base_PKT2_PKiS9_S4_PS5_PiSB_.uses_flat_scratch, 0
	.set _ZN9rocsparseL40csr2gebsr_block_per_row_multipass_kernelILj256ELj64ELj64E21rocsparse_complex_numIfEEEv20rocsparse_direction_iiiiii21rocsparse_index_base_PKT2_PKiS9_S4_PS5_PiSB_.has_dyn_sized_stack, 0
	.set _ZN9rocsparseL40csr2gebsr_block_per_row_multipass_kernelILj256ELj64ELj64E21rocsparse_complex_numIfEEEv20rocsparse_direction_iiiiii21rocsparse_index_base_PKT2_PKiS9_S4_PS5_PiSB_.has_recursion, 0
	.set _ZN9rocsparseL40csr2gebsr_block_per_row_multipass_kernelILj256ELj64ELj64E21rocsparse_complex_numIfEEEv20rocsparse_direction_iiiiii21rocsparse_index_base_PKT2_PKiS9_S4_PS5_PiSB_.has_indirect_call, 0
	.section	.AMDGPU.csdata,"",@progbits
; Kernel info:
; codeLenInByte = 3432
; TotalNumSgprs: 50
; NumVgprs: 60
; ScratchSize: 0
; MemoryBound: 0
; FloatMode: 240
; IeeeMode: 1
; LDSByteSize: 32772 bytes/workgroup (compile time only)
; SGPRBlocks: 0
; VGPRBlocks: 3
; NumSGPRsForWavesPerEU: 50
; NumVGPRsForWavesPerEU: 60
; NamedBarCnt: 0
; Occupancy: 16
; WaveLimiterHint : 0
; COMPUTE_PGM_RSRC2:SCRATCH_EN: 0
; COMPUTE_PGM_RSRC2:USER_SGPR: 2
; COMPUTE_PGM_RSRC2:TRAP_HANDLER: 0
; COMPUTE_PGM_RSRC2:TGID_X_EN: 1
; COMPUTE_PGM_RSRC2:TGID_Y_EN: 0
; COMPUTE_PGM_RSRC2:TGID_Z_EN: 0
; COMPUTE_PGM_RSRC2:TIDIG_COMP_CNT: 0
	.section	.text._ZN9rocsparseL23csr2gebsr_65_inf_kernelILi32E21rocsparse_complex_numIfEEEv20rocsparse_direction_iiiiiii21rocsparse_index_base_PKT0_PKiS9_S4_PS5_PiSB_SB_SA_,"axG",@progbits,_ZN9rocsparseL23csr2gebsr_65_inf_kernelILi32E21rocsparse_complex_numIfEEEv20rocsparse_direction_iiiiiii21rocsparse_index_base_PKT0_PKiS9_S4_PS5_PiSB_SB_SA_,comdat
	.globl	_ZN9rocsparseL23csr2gebsr_65_inf_kernelILi32E21rocsparse_complex_numIfEEEv20rocsparse_direction_iiiiiii21rocsparse_index_base_PKT0_PKiS9_S4_PS5_PiSB_SB_SA_ ; -- Begin function _ZN9rocsparseL23csr2gebsr_65_inf_kernelILi32E21rocsparse_complex_numIfEEEv20rocsparse_direction_iiiiiii21rocsparse_index_base_PKT0_PKiS9_S4_PS5_PiSB_SB_SA_
	.p2align	8
	.type	_ZN9rocsparseL23csr2gebsr_65_inf_kernelILi32E21rocsparse_complex_numIfEEEv20rocsparse_direction_iiiiiii21rocsparse_index_base_PKT0_PKiS9_S4_PS5_PiSB_SB_SA_,@function
_ZN9rocsparseL23csr2gebsr_65_inf_kernelILi32E21rocsparse_complex_numIfEEEv20rocsparse_direction_iiiiiii21rocsparse_index_base_PKT0_PKiS9_S4_PS5_PiSB_SB_SA_: ; @_ZN9rocsparseL23csr2gebsr_65_inf_kernelILi32E21rocsparse_complex_numIfEEEv20rocsparse_direction_iiiiiii21rocsparse_index_base_PKT0_PKiS9_S4_PS5_PiSB_SB_SA_
; %bb.0:
	s_clause 0x2
	s_load_b128 s[4:7], s[0:1], 0x0
	s_load_b64 s[2:3], s[0:1], 0x60
	s_load_b32 s24, s[0:1], 0x40
	s_bfe_u32 s8, ttmp6, 0x4000c
	s_and_b32 s9, ttmp6, 15
	s_add_co_i32 s8, s8, 1
	s_getreg_b32 s10, hwreg(HW_REG_IB_STS2, 6, 4)
	s_mul_i32 s8, ttmp9, s8
	s_delay_alu instid0(SALU_CYCLE_1)
	s_add_co_i32 s9, s9, s8
	s_cmp_eq_u32 s10, 0
	s_cselect_b32 s18, ttmp9, s9
	s_wait_kmcnt 0x0
	s_cmp_ge_i32 s18, s7
	s_mov_b32 s7, 0
	s_cbranch_scc1 .LBB176_2
; %bb.1:
	s_load_b64 s[8:9], s[0:1], 0x50
	s_ashr_i32 s19, s18, 31
	s_delay_alu instid0(SALU_CYCLE_1)
	s_lshl_b64 s[10:11], s[18:19], 2
	s_wait_kmcnt 0x0
	s_add_nc_u64 s[8:9], s[8:9], s[10:11]
	s_load_b32 s7, s[8:9], 0x0
	s_wait_kmcnt 0x0
	s_sub_co_i32 s7, s7, s24
.LBB176_2:
	s_load_b128 s[8:11], s[0:1], 0x14
	s_wait_kmcnt 0x0
	v_mul_lo_u32 v8, s10, v0
	s_mul_i32 s12, s18, s10
	s_lshl_b32 s22, s10, 5
	s_mulk_i32 s12, 0x60
	s_ashr_i32 s23, s22, 31
	s_ashr_i32 s13, s12, 31
	s_delay_alu instid0(SALU_CYCLE_1) | instskip(SKIP_3) | instid1(VALU_DEP_1)
	s_lshl_b64 s[12:13], s[12:13], 2
	s_cmp_gt_i32 s10, 0
	s_add_nc_u64 s[20:21], s[2:3], s[12:13]
	s_cselect_b32 s25, -1, 0
	v_ashrrev_i32_e32 v9, 31, v8
	s_cmp_lt_i32 s10, 1
	s_delay_alu instid0(VALU_DEP_1)
	v_lshl_add_u64 v[2:3], v[8:9], 2, s[20:21]
	s_cbranch_scc1 .LBB176_7
; %bb.3:
	s_load_b64 s[12:13], s[0:1], 0x30
	s_delay_alu instid0(VALU_DEP_1)
	v_mov_b64_e32 v[4:5], v[2:3]
	v_dual_mov_b32 v1, 0 :: v_dual_mov_b32 v12, v0
	s_mul_i32 s3, s8, s18
	s_lshl_b64 s[14:15], s[22:23], 2
	s_mov_b32 s16, s10
	s_branch .LBB176_5
.LBB176_4:                              ;   in Loop: Header=BB176_5 Depth=1
	s_wait_xcnt 0x0
	s_or_b32 exec_lo, exec_lo, s2
	v_add_nc_u64_e32 v[4:5], 4, v[4:5]
	v_add_nc_u32_e32 v12, 32, v12
	s_add_co_i32 s16, s16, -1
	s_delay_alu instid0(SALU_CYCLE_1)
	s_cmp_eq_u32 s16, 0
	s_cbranch_scc1 .LBB176_7
.LBB176_5:                              ; =>This Inner Loop Header: Depth=1
	s_delay_alu instid0(VALU_DEP_1) | instskip(NEXT) | instid1(VALU_DEP_3)
	v_add_nc_u32_e32 v10, s3, v12
	v_add_nc_u64_e32 v[6:7], s[14:15], v[4:5]
	v_cmp_gt_i32_e64 s2, s8, v12
	global_store_b32 v[4:5], v1, off
	v_cmp_gt_i32_e32 vcc_lo, s5, v10
	global_store_b32 v[6:7], v1, off
	s_and_b32 s17, vcc_lo, s2
	s_wait_xcnt 0x0
	s_and_saveexec_b32 s2, s17
	s_cbranch_execz .LBB176_4
; %bb.6:                                ;   in Loop: Header=BB176_5 Depth=1
	v_ashrrev_i32_e32 v11, 31, v10
	s_wait_kmcnt 0x0
	s_delay_alu instid0(VALU_DEP_1)
	v_lshl_add_u64 v[10:11], v[10:11], 2, s[12:13]
	global_load_b64 v[10:11], v[10:11], off
	s_wait_loadcnt 0x0
	v_subrev_nc_u32_e32 v10, s11, v10
	v_subrev_nc_u32_e32 v11, s11, v11
	s_clause 0x1
	global_store_b32 v[4:5], v10, off
	global_store_b32 v[6:7], v11, off
	s_branch .LBB176_4
.LBB176_7:
	s_cmp_lt_i32 s6, 1
	s_cbranch_scc1 .LBB176_37
; %bb.8:
	s_clause 0x1
	s_load_b64 s[26:27], s[0:1], 0x68
	s_load_b64 s[2:3], s[0:1], 0x58
	s_wait_kmcnt 0x0
	s_clause 0x2
	s_load_b64 s[12:13], s[0:1], 0x48
	s_load_b64 s[14:15], s[0:1], 0x28
	;; [unrolled: 1-line block ×3, first 2 shown]
	v_mbcnt_lo_u32_b32 v10, -1, 0
	v_lshlrev_b64_e32 v[6:7], 2, v[8:9]
	s_mul_i32 s18, s22, s18
	s_wait_xcnt 0x0
	s_lshl_b64 s[0:1], s[22:23], 2
	s_ashr_i32 s29, s10, 31
	v_xor_b32_e32 v11, 8, v10
	v_xor_b32_e32 v1, 16, v10
	s_mov_b32 s28, s10
	s_ashr_i32 s19, s18, 31
	s_add_nc_u64 s[0:1], s[20:21], s[0:1]
	s_lshl_b64 s[20:21], s[28:29], 7
	s_lshl_b64 s[18:19], s[18:19], 3
	v_cmp_gt_i32_e32 vcc_lo, 32, v1
	s_add_nc_u64 s[20:21], s[0:1], s[20:21]
	v_add_nc_u64_e32 v[4:5], s[0:1], v[6:7]
	s_add_nc_u64 s[0:1], s[26:27], s[18:19]
	s_cmp_lg_u32 s4, 0
	v_lshl_add_u64 v[8:9], v[8:9], 3, s[0:1]
	s_cselect_b32 s1, -1, 0
	s_abs_i32 s26, s9
	v_dual_cndmask_b32 v1, v10, v1, vcc_lo :: v_dual_bitop2_b32 v12, 4, v10 bitop3:0x14
	s_cvt_f32_u32 s0, s26
	v_cmp_gt_i32_e32 vcc_lo, 32, v11
	s_delay_alu instid0(VALU_DEP_2) | instskip(NEXT) | instid1(SALU_CYCLE_1)
	v_dual_lshlrev_b32 v1, 2, v1 :: v_dual_bitop2_b32 v13, 2, v10 bitop3:0x14
	v_rcp_iflag_f32_e32 v15, s0
	v_mul_lo_u32 v33, v0, s9
	v_cndmask_b32_e32 v11, v10, v11, vcc_lo
	v_cmp_gt_i32_e32 vcc_lo, 32, v12
	s_sub_co_i32 s18, 0, s26
	v_add_nc_u64_e32 v[6:7], s[20:21], v[6:7]
	v_cmp_eq_u32_e64 s0, 31, v0
	v_readfirstlane_b32 s4, v15
	v_cndmask_b32_e32 v12, v10, v12, vcc_lo
	v_cmp_gt_i32_e32 vcc_lo, 32, v13
	v_dual_lshlrev_b32 v28, 2, v11 :: v_dual_bitop2_b32 v14, 1, v10 bitop3:0x14
	s_mul_f32 s4, s4, 0x4f7ffffe
	v_dual_mov_b32 v32, 0x7c :: v_dual_cndmask_b32 v13, v10, v13
	s_delay_alu instid0(VALU_DEP_2) | instskip(NEXT) | instid1(SALU_CYCLE_1)
	v_cmp_gt_i32_e32 vcc_lo, 32, v14
	s_cvt_u32_f32 s4, s4
	v_dual_lshlrev_b32 v29, 2, v12 :: v_dual_mov_b32 v11, 0
	v_dual_mov_b32 v34, 0 :: v_dual_cndmask_b32 v10, v10, v14, vcc_lo
	v_lshlrev_b32_e32 v30, 2, v13
	v_mov_b64_e32 v[12:13], 0
	s_mul_i32 s22, s18, s4
	s_delay_alu instid0(VALU_DEP_3)
	v_dual_mov_b32 v35, 0 :: v_dual_lshlrev_b32 v31, 2, v10
	v_mov_b32_e32 v10, 0
	s_mov_b32 s5, 0
	s_ashr_i32 s21, s8, 31
	s_mov_b32 s20, s8
	s_ashr_i32 s19, s9, 31
	s_mov_b32 s18, s9
	s_mul_hi_u32 s22, s4, s22
	s_add_co_i32 s27, s7, -1
	s_mul_u64 s[20:21], s[18:19], s[20:21]
	s_add_co_i32 s22, s4, s22
	s_mov_b32 s23, s5
	s_lshl_b32 s18, s9, 5
	s_mov_b32 s28, 0
	s_branch .LBB176_10
.LBB176_9:                              ;   in Loop: Header=BB176_10 Depth=1
	s_wait_dscnt 0x1
	v_add_nc_u32_e32 v10, 1, v36
	s_delay_alu instid0(VALU_DEP_1) | instskip(SKIP_1) | instid1(SALU_CYCLE_1)
	v_cmp_le_i32_e32 vcc_lo, s6, v10
	s_or_b32 s28, vcc_lo, s28
	s_and_not1_b32 exec_lo, exec_lo, s28
	s_cbranch_execz .LBB176_37
.LBB176_10:                             ; =>This Loop Header: Depth=1
                                        ;     Child Loop BB176_14 Depth 2
                                        ;       Child Loop BB176_17 Depth 3
                                        ;     Child Loop BB176_31 Depth 2
	v_mov_b32_e32 v26, s6
	s_and_not1_b32 vcc_lo, exec_lo, s25
	s_cbranch_vccnz .LBB176_23
; %bb.11:                               ;   in Loop: Header=BB176_10 Depth=1
	v_mov_b32_e32 v26, s6
	s_mov_b32 s4, 0
	s_branch .LBB176_14
.LBB176_12:                             ;   in Loop: Header=BB176_14 Depth=2
	s_wait_xcnt 0x0
	s_or_b32 exec_lo, exec_lo, s30
.LBB176_13:                             ;   in Loop: Header=BB176_14 Depth=2
	s_delay_alu instid0(SALU_CYCLE_1) | instskip(SKIP_1) | instid1(SALU_CYCLE_1)
	s_or_b32 exec_lo, exec_lo, s29
	s_add_co_i32 s4, s4, 1
	s_cmp_eq_u32 s4, s10
	s_cbranch_scc1 .LBB176_23
.LBB176_14:                             ;   Parent Loop BB176_10 Depth=1
                                        ; =>  This Loop Header: Depth=2
                                        ;       Child Loop BB176_17 Depth 3
	s_lshl_b64 s[30:31], s[4:5], 2
	v_mov_b32_e32 v20, s6
	v_add_nc_u64_e32 v[14:15], s[30:31], v[6:7]
	v_add_nc_u64_e32 v[16:17], s[30:31], v[2:3]
	;; [unrolled: 1-line block ×3, first 2 shown]
	s_mov_b32 s29, exec_lo
	s_clause 0x2
	global_store_b32 v[14:15], v20, off
	global_load_b32 v22, v[16:17], off
	global_load_b32 v36, v[18:19], off
	s_wait_xcnt 0x0
	v_lshl_add_u64 v[18:19], s[4:5], 3, v[8:9]
	global_store_b64 v[18:19], v[12:13], off
	s_wait_loadcnt 0x0
	s_wait_xcnt 0x0
	v_cmpx_lt_i32_e64 v22, v36
	s_cbranch_execz .LBB176_13
; %bb.15:                               ;   in Loop: Header=BB176_14 Depth=2
	v_ashrrev_i32_e32 v23, 31, v22
	s_mov_b32 s30, 0
                                        ; implicit-def: $sgpr31
                                        ; implicit-def: $sgpr34
                                        ; implicit-def: $sgpr33
	s_wait_kmcnt 0x0
	s_delay_alu instid0(VALU_DEP_1)
	v_lshl_add_u64 v[24:25], v[22:23], 2, s[16:17]
	s_branch .LBB176_17
.LBB176_16:                             ;   in Loop: Header=BB176_17 Depth=3
	s_or_b32 exec_lo, exec_lo, s35
	s_delay_alu instid0(SALU_CYCLE_1) | instskip(NEXT) | instid1(SALU_CYCLE_1)
	s_and_b32 s35, exec_lo, s34
	s_or_b32 s30, s35, s30
	s_and_not1_b32 s31, s31, exec_lo
	s_and_b32 s35, s33, exec_lo
	s_delay_alu instid0(SALU_CYCLE_1)
	s_or_b32 s31, s31, s35
	s_and_not1_b32 exec_lo, exec_lo, s30
	s_cbranch_execz .LBB176_19
.LBB176_17:                             ;   Parent Loop BB176_10 Depth=1
                                        ;     Parent Loop BB176_14 Depth=2
                                        ; =>    This Inner Loop Header: Depth=3
	global_load_b32 v20, v[24:25], off
	s_or_b32 s33, s33, exec_lo
	s_or_b32 s34, s34, exec_lo
	s_mov_b32 s35, exec_lo
	s_wait_loadcnt 0x0
	v_subrev_nc_u32_e32 v27, s11, v20
	v_mov_b64_e32 v[20:21], v[22:23]
                                        ; implicit-def: $vgpr22_vgpr23
	s_wait_xcnt 0x0
	s_delay_alu instid0(VALU_DEP_2)
	v_cmpx_lt_i32_e64 v27, v10
	s_cbranch_execz .LBB176_16
; %bb.18:                               ;   in Loop: Header=BB176_17 Depth=3
	s_delay_alu instid0(VALU_DEP_2) | instskip(SKIP_3) | instid1(VALU_DEP_2)
	v_add_nc_u64_e32 v[22:23], 1, v[20:21]
	v_add_nc_u64_e32 v[24:25], 4, v[24:25]
	s_and_not1_b32 s34, s34, exec_lo
	s_and_not1_b32 s33, s33, exec_lo
	v_cmp_ge_i32_e32 vcc_lo, v22, v36
	s_and_b32 s36, vcc_lo, exec_lo
	s_delay_alu instid0(SALU_CYCLE_1)
	s_or_b32 s34, s34, s36
	s_branch .LBB176_16
.LBB176_19:                             ;   in Loop: Header=BB176_14 Depth=2
	s_or_b32 exec_lo, exec_lo, s30
	v_lshl_add_u64 v[22:23], v[20:21], 3, s[14:15]
	s_xor_b32 s30, s31, -1
	s_delay_alu instid0(SALU_CYCLE_1) | instskip(NEXT) | instid1(SALU_CYCLE_1)
	s_and_saveexec_b32 s31, s30
	s_xor_b32 s30, exec_lo, s31
	s_cbranch_execz .LBB176_21
; %bb.20:                               ;   in Loop: Header=BB176_14 Depth=2
	global_load_b64 v[16:17], v[22:23], off
                                        ; implicit-def: $vgpr22_vgpr23
	global_store_b32 v[14:15], v27, off
	s_wait_loadcnt 0x0
	global_store_b64 v[18:19], v[16:17], off
                                        ; implicit-def: $vgpr14_vgpr15
                                        ; implicit-def: $vgpr18_vgpr19
                                        ; implicit-def: $vgpr16_vgpr17
.LBB176_21:                             ;   in Loop: Header=BB176_14 Depth=2
	s_wait_xcnt 0x0
	s_and_not1_saveexec_b32 s30, s30
	s_cbranch_execz .LBB176_12
; %bb.22:                               ;   in Loop: Header=BB176_14 Depth=2
	global_load_b64 v[22:23], v[22:23], off
	v_min_i32_e32 v26, v27, v26
	global_store_b32 v[14:15], v27, off
	s_wait_loadcnt 0x0
	global_store_b64 v[18:19], v[22:23], off
	global_store_b32 v[16:17], v20, off
	s_branch .LBB176_12
.LBB176_23:                             ;   in Loop: Header=BB176_10 Depth=1
	ds_bpermute_b32 v10, v1, v26
	s_wait_dscnt 0x0
	v_min_i32_e32 v10, v10, v26
	ds_bpermute_b32 v14, v28, v10
	s_wait_dscnt 0x0
	v_min_i32_e32 v10, v14, v10
	;; [unrolled: 3-line block ×5, first 2 shown]
	s_delay_alu instid0(VALU_DEP_1) | instskip(SKIP_1) | instid1(SALU_CYCLE_1)
	v_cmp_gt_i32_e32 vcc_lo, s6, v14
	s_and_b32 s29, s0, vcc_lo
	s_and_saveexec_b32 s4, s29
	s_cbranch_execz .LBB176_27
; %bb.24:                               ;   in Loop: Header=BB176_10 Depth=1
	v_sub_nc_u32_e32 v10, 0, v14
	s_mov_b32 s29, exec_lo
	s_delay_alu instid0(VALU_DEP_1) | instskip(NEXT) | instid1(VALU_DEP_1)
	v_max_i32_e32 v10, v14, v10
	v_mul_u64_e32 v[16:17], s[22:23], v[10:11]
	s_delay_alu instid0(VALU_DEP_1) | instskip(NEXT) | instid1(VALU_DEP_1)
	v_mul_lo_u32 v15, v17, s26
	v_dual_sub_nc_u32 v10, v10, v15 :: v_dual_add_nc_u32 v15, 1, v17
	s_delay_alu instid0(VALU_DEP_1) | instskip(NEXT) | instid1(VALU_DEP_2)
	v_cmp_le_u32_e32 vcc_lo, s26, v10
	v_dual_cndmask_b32 v15, v17, v15, vcc_lo :: v_dual_ashrrev_i32 v17, 31, v14
	v_subrev_nc_u32_e32 v16, s26, v10
	s_delay_alu instid0(VALU_DEP_1) | instskip(NEXT) | instid1(VALU_DEP_1)
	v_dual_cndmask_b32 v10, v10, v16, vcc_lo :: v_dual_add_nc_u32 v16, 1, v15
	v_cmp_le_u32_e32 vcc_lo, s26, v10
	s_delay_alu instid0(VALU_DEP_2) | instskip(NEXT) | instid1(VALU_DEP_1)
	v_dual_cndmask_b32 v10, v15, v16, vcc_lo :: v_dual_bitop2_b32 v17, s19, v17 bitop3:0x14
	v_xor_b32_e32 v10, v10, v17
	s_delay_alu instid0(VALU_DEP_1) | instskip(NEXT) | instid1(VALU_DEP_1)
	v_sub_nc_u32_e32 v10, v10, v17
	v_cmpx_ge_i32_e64 v10, v34
	s_cbranch_execz .LBB176_26
; %bb.25:                               ;   in Loop: Header=BB176_10 Depth=1
	v_dual_add_nc_u32 v15, 1, v35 :: v_dual_add_nc_u32 v34, 1, v10
	v_dual_add_nc_u32 v16, s7, v35 :: v_dual_add_nc_u32 v10, s24, v10
	s_delay_alu instid0(VALU_DEP_2)
	v_mov_b32_e32 v35, v15
	global_store_b32 v16, v10, s[2:3] scale_offset
.LBB176_26:                             ;   in Loop: Header=BB176_10 Depth=1
	s_wait_xcnt 0x0
	s_or_b32 exec_lo, exec_lo, s29
.LBB176_27:                             ;   in Loop: Header=BB176_10 Depth=1
	s_delay_alu instid0(SALU_CYCLE_1)
	s_or_b32 exec_lo, exec_lo, s4
	ds_bpermute_b32 v36, v32, v14
	ds_bpermute_b32 v35, v32, v35
	s_and_not1_b32 vcc_lo, exec_lo, s25
	s_cbranch_vccnz .LBB176_9
; %bb.28:                               ;   in Loop: Header=BB176_10 Depth=1
	s_wait_dscnt 0x0
	v_dual_sub_nc_u32 v10, 0, v36 :: v_dual_add_nc_u32 v16, s27, v35
	s_mov_b32 s4, s10
	v_dual_mov_b32 v18, v0 :: v_dual_mov_b32 v38, v33
	s_delay_alu instid0(VALU_DEP_2) | instskip(NEXT) | instid1(VALU_DEP_1)
	v_dual_ashrrev_i32 v17, 31, v16 :: v_dual_max_i32 v10, v36, v10
	v_mul_u64_e32 v[14:15], s[22:23], v[10:11]
	s_delay_alu instid0(VALU_DEP_2) | instskip(NEXT) | instid1(VALU_DEP_2)
	v_mul_u64_e32 v[20:21], s[20:21], v[16:17]
	v_mul_lo_u32 v14, v15, s26
	s_wait_kmcnt 0x0
	s_delay_alu instid0(VALU_DEP_2) | instskip(NEXT) | instid1(VALU_DEP_2)
	v_lshl_add_u64 v[20:21], v[20:21], 3, s[12:13]
	v_dual_sub_nc_u32 v10, v10, v14 :: v_dual_add_nc_u32 v14, 1, v15
	s_delay_alu instid0(VALU_DEP_1) | instskip(SKIP_1) | instid1(VALU_DEP_3)
	v_subrev_nc_u32_e32 v16, s26, v10
	v_cmp_le_u32_e32 vcc_lo, s26, v10
	v_dual_cndmask_b32 v14, v15, v14 :: v_dual_ashrrev_i32 v15, 31, v36
	s_delay_alu instid0(VALU_DEP_1) | instskip(NEXT) | instid1(VALU_DEP_1)
	v_dual_cndmask_b32 v10, v10, v16, vcc_lo :: v_dual_add_nc_u32 v16, 1, v14
	v_cmp_le_u32_e32 vcc_lo, s26, v10
	s_delay_alu instid0(VALU_DEP_2) | instskip(SKIP_2) | instid1(VALU_DEP_3)
	v_dual_cndmask_b32 v10, v14, v16, vcc_lo :: v_dual_bitop2_b32 v19, s19, v15 bitop3:0x14
	v_mov_b64_e32 v[14:15], v[8:9]
	v_mov_b64_e32 v[16:17], v[6:7]
	v_xor_b32_e32 v10, v10, v19
	s_delay_alu instid0(VALU_DEP_1)
	v_sub_nc_u32_e32 v37, v10, v19
	s_branch .LBB176_31
.LBB176_29:                             ;   in Loop: Header=BB176_31 Depth=2
	s_delay_alu instid0(VALU_DEP_3) | instskip(NEXT) | instid1(VALU_DEP_1)
	v_ashrrev_i32_e32 v27, 31, v26
	v_lshl_add_u64 v[26:27], v[26:27], 3, v[20:21]
	s_delay_alu instid0(VALU_DEP_1)
	v_lshl_add_u64 v[24:25], v[24:25], 3, v[26:27]
	s_wait_loadcnt 0x0
	global_store_b64 v[24:25], v[22:23], off
.LBB176_30:                             ;   in Loop: Header=BB176_31 Depth=2
	s_wait_xcnt 0x0
	s_or_b32 exec_lo, exec_lo, s29
	v_add_nc_u64_e32 v[16:17], 4, v[16:17]
	v_add_nc_u64_e32 v[14:15], 8, v[14:15]
	v_add_nc_u32_e32 v38, s18, v38
	v_add_nc_u32_e32 v18, 32, v18
	s_add_co_i32 s4, s4, -1
	s_delay_alu instid0(SALU_CYCLE_1)
	s_cmp_eq_u32 s4, 0
	s_cbranch_scc1 .LBB176_9
.LBB176_31:                             ;   Parent Loop BB176_10 Depth=1
                                        ; =>  This Inner Loop Header: Depth=2
	global_load_b32 v19, v[16:17], off
	s_mov_b32 s29, exec_lo
	s_wait_loadcnt 0x0
	v_cmpx_gt_i32_e64 s6, v19
	s_cbranch_execz .LBB176_30
; %bb.32:                               ;   in Loop: Header=BB176_31 Depth=2
	v_dual_sub_nc_u32 v10, 0, v19 :: v_dual_ashrrev_i32 v27, 31, v19
	s_delay_alu instid0(VALU_DEP_1) | instskip(NEXT) | instid1(VALU_DEP_1)
	v_max_i32_e32 v10, v19, v10
	v_mul_u64_e32 v[22:23], s[22:23], v[10:11]
	s_delay_alu instid0(VALU_DEP_1) | instskip(NEXT) | instid1(VALU_DEP_1)
	v_mul_lo_u32 v22, v23, s26
	v_dual_add_nc_u32 v24, 1, v23 :: v_dual_sub_nc_u32 v22, v10, v22
	s_delay_alu instid0(VALU_DEP_1) | instskip(SKIP_1) | instid1(VALU_DEP_2)
	v_subrev_nc_u32_e32 v25, s26, v22
	v_cmp_le_u32_e32 vcc_lo, s26, v22
	v_dual_cndmask_b32 v23, v23, v24 :: v_dual_cndmask_b32 v22, v22, v25
	s_delay_alu instid0(VALU_DEP_1) | instskip(NEXT) | instid1(VALU_DEP_2)
	v_add_nc_u32_e32 v24, 1, v23
	v_cmp_le_u32_e32 vcc_lo, s26, v22
	s_delay_alu instid0(VALU_DEP_2) | instskip(NEXT) | instid1(VALU_DEP_1)
	v_dual_cndmask_b32 v22, v23, v24, vcc_lo :: v_dual_bitop2_b32 v25, s19, v27 bitop3:0x14
	v_xor_b32_e32 v22, v22, v25
	s_delay_alu instid0(VALU_DEP_1) | instskip(NEXT) | instid1(VALU_DEP_1)
	v_sub_nc_u32_e32 v22, v22, v25
	v_cmp_eq_u32_e32 vcc_lo, v22, v37
	s_and_b32 exec_lo, exec_lo, vcc_lo
	s_cbranch_execz .LBB176_30
; %bb.33:                               ;   in Loop: Header=BB176_31 Depth=2
	global_load_b64 v[22:23], v[14:15], off
	s_and_b32 vcc_lo, exec_lo, s1
	s_cbranch_vccz .LBB176_35
; %bb.34:                               ;   in Loop: Header=BB176_31 Depth=2
	v_mul_lo_u32 v24, v37, s9
	s_delay_alu instid0(VALU_DEP_1) | instskip(NEXT) | instid1(VALU_DEP_1)
	v_sub_nc_u32_e32 v19, v19, v24
	v_mul_lo_u32 v26, v19, s8
	v_mov_b32_e32 v19, v11
	s_delay_alu instid0(VALU_DEP_1)
	v_mov_b64_e32 v[24:25], v[18:19]
	s_cbranch_execnz .LBB176_29
	s_branch .LBB176_36
.LBB176_35:                             ;   in Loop: Header=BB176_31 Depth=2
                                        ; implicit-def: $vgpr24_vgpr25
                                        ; implicit-def: $vgpr26
.LBB176_36:                             ;   in Loop: Header=BB176_31 Depth=2
	v_mul_u64_e32 v[24:25], s[22:23], v[10:11]
	v_mov_b32_e32 v26, v38
	s_delay_alu instid0(VALU_DEP_2) | instskip(NEXT) | instid1(VALU_DEP_1)
	v_mul_lo_u32 v19, v25, s26
	v_sub_nc_u32_e32 v10, v10, v19
	s_delay_alu instid0(VALU_DEP_1) | instskip(SKIP_1) | instid1(VALU_DEP_2)
	v_subrev_nc_u32_e32 v19, s26, v10
	v_cmp_le_u32_e32 vcc_lo, s26, v10
	v_cndmask_b32_e32 v10, v10, v19, vcc_lo
	s_delay_alu instid0(VALU_DEP_1) | instskip(SKIP_1) | instid1(VALU_DEP_2)
	v_subrev_nc_u32_e32 v19, s26, v10
	v_cmp_le_u32_e32 vcc_lo, s26, v10
	v_cndmask_b32_e32 v10, v10, v19, vcc_lo
	s_delay_alu instid0(VALU_DEP_1) | instskip(NEXT) | instid1(VALU_DEP_1)
	v_xor_b32_e32 v10, v10, v27
	v_sub_nc_u32_e32 v24, v10, v27
	s_delay_alu instid0(VALU_DEP_1)
	v_ashrrev_i32_e32 v25, 31, v24
	s_branch .LBB176_29
.LBB176_37:
	s_endpgm
	.section	.rodata,"a",@progbits
	.p2align	6, 0x0
	.amdhsa_kernel _ZN9rocsparseL23csr2gebsr_65_inf_kernelILi32E21rocsparse_complex_numIfEEEv20rocsparse_direction_iiiiiii21rocsparse_index_base_PKT0_PKiS9_S4_PS5_PiSB_SB_SA_
		.amdhsa_group_segment_fixed_size 0
		.amdhsa_private_segment_fixed_size 0
		.amdhsa_kernarg_size 112
		.amdhsa_user_sgpr_count 2
		.amdhsa_user_sgpr_dispatch_ptr 0
		.amdhsa_user_sgpr_queue_ptr 0
		.amdhsa_user_sgpr_kernarg_segment_ptr 1
		.amdhsa_user_sgpr_dispatch_id 0
		.amdhsa_user_sgpr_kernarg_preload_length 0
		.amdhsa_user_sgpr_kernarg_preload_offset 0
		.amdhsa_user_sgpr_private_segment_size 0
		.amdhsa_wavefront_size32 1
		.amdhsa_uses_dynamic_stack 0
		.amdhsa_enable_private_segment 0
		.amdhsa_system_sgpr_workgroup_id_x 1
		.amdhsa_system_sgpr_workgroup_id_y 0
		.amdhsa_system_sgpr_workgroup_id_z 0
		.amdhsa_system_sgpr_workgroup_info 0
		.amdhsa_system_vgpr_workitem_id 0
		.amdhsa_next_free_vgpr 39
		.amdhsa_next_free_sgpr 37
		.amdhsa_named_barrier_count 0
		.amdhsa_reserve_vcc 1
		.amdhsa_float_round_mode_32 0
		.amdhsa_float_round_mode_16_64 0
		.amdhsa_float_denorm_mode_32 3
		.amdhsa_float_denorm_mode_16_64 3
		.amdhsa_fp16_overflow 0
		.amdhsa_memory_ordered 1
		.amdhsa_forward_progress 1
		.amdhsa_inst_pref_size 18
		.amdhsa_round_robin_scheduling 0
		.amdhsa_exception_fp_ieee_invalid_op 0
		.amdhsa_exception_fp_denorm_src 0
		.amdhsa_exception_fp_ieee_div_zero 0
		.amdhsa_exception_fp_ieee_overflow 0
		.amdhsa_exception_fp_ieee_underflow 0
		.amdhsa_exception_fp_ieee_inexact 0
		.amdhsa_exception_int_div_zero 0
	.end_amdhsa_kernel
	.section	.text._ZN9rocsparseL23csr2gebsr_65_inf_kernelILi32E21rocsparse_complex_numIfEEEv20rocsparse_direction_iiiiiii21rocsparse_index_base_PKT0_PKiS9_S4_PS5_PiSB_SB_SA_,"axG",@progbits,_ZN9rocsparseL23csr2gebsr_65_inf_kernelILi32E21rocsparse_complex_numIfEEEv20rocsparse_direction_iiiiiii21rocsparse_index_base_PKT0_PKiS9_S4_PS5_PiSB_SB_SA_,comdat
.Lfunc_end176:
	.size	_ZN9rocsparseL23csr2gebsr_65_inf_kernelILi32E21rocsparse_complex_numIfEEEv20rocsparse_direction_iiiiiii21rocsparse_index_base_PKT0_PKiS9_S4_PS5_PiSB_SB_SA_, .Lfunc_end176-_ZN9rocsparseL23csr2gebsr_65_inf_kernelILi32E21rocsparse_complex_numIfEEEv20rocsparse_direction_iiiiiii21rocsparse_index_base_PKT0_PKiS9_S4_PS5_PiSB_SB_SA_
                                        ; -- End function
	.set _ZN9rocsparseL23csr2gebsr_65_inf_kernelILi32E21rocsparse_complex_numIfEEEv20rocsparse_direction_iiiiiii21rocsparse_index_base_PKT0_PKiS9_S4_PS5_PiSB_SB_SA_.num_vgpr, 39
	.set _ZN9rocsparseL23csr2gebsr_65_inf_kernelILi32E21rocsparse_complex_numIfEEEv20rocsparse_direction_iiiiiii21rocsparse_index_base_PKT0_PKiS9_S4_PS5_PiSB_SB_SA_.num_agpr, 0
	.set _ZN9rocsparseL23csr2gebsr_65_inf_kernelILi32E21rocsparse_complex_numIfEEEv20rocsparse_direction_iiiiiii21rocsparse_index_base_PKT0_PKiS9_S4_PS5_PiSB_SB_SA_.numbered_sgpr, 37
	.set _ZN9rocsparseL23csr2gebsr_65_inf_kernelILi32E21rocsparse_complex_numIfEEEv20rocsparse_direction_iiiiiii21rocsparse_index_base_PKT0_PKiS9_S4_PS5_PiSB_SB_SA_.num_named_barrier, 0
	.set _ZN9rocsparseL23csr2gebsr_65_inf_kernelILi32E21rocsparse_complex_numIfEEEv20rocsparse_direction_iiiiiii21rocsparse_index_base_PKT0_PKiS9_S4_PS5_PiSB_SB_SA_.private_seg_size, 0
	.set _ZN9rocsparseL23csr2gebsr_65_inf_kernelILi32E21rocsparse_complex_numIfEEEv20rocsparse_direction_iiiiiii21rocsparse_index_base_PKT0_PKiS9_S4_PS5_PiSB_SB_SA_.uses_vcc, 1
	.set _ZN9rocsparseL23csr2gebsr_65_inf_kernelILi32E21rocsparse_complex_numIfEEEv20rocsparse_direction_iiiiiii21rocsparse_index_base_PKT0_PKiS9_S4_PS5_PiSB_SB_SA_.uses_flat_scratch, 0
	.set _ZN9rocsparseL23csr2gebsr_65_inf_kernelILi32E21rocsparse_complex_numIfEEEv20rocsparse_direction_iiiiiii21rocsparse_index_base_PKT0_PKiS9_S4_PS5_PiSB_SB_SA_.has_dyn_sized_stack, 0
	.set _ZN9rocsparseL23csr2gebsr_65_inf_kernelILi32E21rocsparse_complex_numIfEEEv20rocsparse_direction_iiiiiii21rocsparse_index_base_PKT0_PKiS9_S4_PS5_PiSB_SB_SA_.has_recursion, 0
	.set _ZN9rocsparseL23csr2gebsr_65_inf_kernelILi32E21rocsparse_complex_numIfEEEv20rocsparse_direction_iiiiiii21rocsparse_index_base_PKT0_PKiS9_S4_PS5_PiSB_SB_SA_.has_indirect_call, 0
	.section	.AMDGPU.csdata,"",@progbits
; Kernel info:
; codeLenInByte = 2180
; TotalNumSgprs: 39
; NumVgprs: 39
; ScratchSize: 0
; MemoryBound: 0
; FloatMode: 240
; IeeeMode: 1
; LDSByteSize: 0 bytes/workgroup (compile time only)
; SGPRBlocks: 0
; VGPRBlocks: 2
; NumSGPRsForWavesPerEU: 39
; NumVGPRsForWavesPerEU: 39
; NamedBarCnt: 0
; Occupancy: 16
; WaveLimiterHint : 0
; COMPUTE_PGM_RSRC2:SCRATCH_EN: 0
; COMPUTE_PGM_RSRC2:USER_SGPR: 2
; COMPUTE_PGM_RSRC2:TRAP_HANDLER: 0
; COMPUTE_PGM_RSRC2:TGID_X_EN: 1
; COMPUTE_PGM_RSRC2:TGID_Y_EN: 0
; COMPUTE_PGM_RSRC2:TGID_Z_EN: 0
; COMPUTE_PGM_RSRC2:TIDIG_COMP_CNT: 0
	.section	.text._ZN9rocsparseL20csr2gebsr_kernel_bm1ILi256E21rocsparse_complex_numIdEEEviiii21rocsparse_index_base_PKT0_PKiS8_20rocsparse_direction_S3_PS4_S8_Piii,"axG",@progbits,_ZN9rocsparseL20csr2gebsr_kernel_bm1ILi256E21rocsparse_complex_numIdEEEviiii21rocsparse_index_base_PKT0_PKiS8_20rocsparse_direction_S3_PS4_S8_Piii,comdat
	.globl	_ZN9rocsparseL20csr2gebsr_kernel_bm1ILi256E21rocsparse_complex_numIdEEEviiii21rocsparse_index_base_PKT0_PKiS8_20rocsparse_direction_S3_PS4_S8_Piii ; -- Begin function _ZN9rocsparseL20csr2gebsr_kernel_bm1ILi256E21rocsparse_complex_numIdEEEviiii21rocsparse_index_base_PKT0_PKiS8_20rocsparse_direction_S3_PS4_S8_Piii
	.p2align	8
	.type	_ZN9rocsparseL20csr2gebsr_kernel_bm1ILi256E21rocsparse_complex_numIdEEEviiii21rocsparse_index_base_PKT0_PKiS8_20rocsparse_direction_S3_PS4_S8_Piii,@function
_ZN9rocsparseL20csr2gebsr_kernel_bm1ILi256E21rocsparse_complex_numIdEEEviiii21rocsparse_index_base_PKT0_PKiS8_20rocsparse_direction_S3_PS4_S8_Piii: ; @_ZN9rocsparseL20csr2gebsr_kernel_bm1ILi256E21rocsparse_complex_numIdEEEviiii21rocsparse_index_base_PKT0_PKiS8_20rocsparse_direction_S3_PS4_S8_Piii
; %bb.0:
	s_load_b32 s2, s[0:1], 0x0
	s_bfe_u32 s3, ttmp6, 0x4000c
	s_and_b32 s4, ttmp6, 15
	s_add_co_i32 s3, s3, 1
	s_getreg_b32 s5, hwreg(HW_REG_IB_STS2, 6, 4)
	s_mul_i32 s3, ttmp9, s3
	s_delay_alu instid0(SALU_CYCLE_1) | instskip(SKIP_2) | instid1(SALU_CYCLE_1)
	s_add_co_i32 s4, s4, s3
	s_cmp_eq_u32 s5, 0
	s_cselect_b32 s3, ttmp9, s4
	v_lshl_or_b32 v4, s3, 8, v0
	s_wait_kmcnt 0x0
	s_delay_alu instid0(VALU_DEP_1)
	v_cmp_gt_i32_e32 vcc_lo, s2, v4
	s_and_saveexec_b32 s2, vcc_lo
	s_cbranch_execz .LBB177_6
; %bb.1:
	s_load_b128 s[16:19], s[0:1], 0x18
	v_ashrrev_i32_e32 v5, 31, v4
	s_wait_kmcnt 0x0
	s_delay_alu instid0(VALU_DEP_1)
	v_lshl_add_u64 v[0:1], v[4:5], 2, s[18:19]
	global_load_b64 v[2:3], v[0:1], off
	s_wait_loadcnt 0x0
	v_cmp_lt_i32_e32 vcc_lo, v2, v3
	s_and_b32 exec_lo, exec_lo, vcc_lo
	s_cbranch_execz .LBB177_6
; %bb.2:
	s_clause 0x1
	s_load_b256 s[4:11], s[0:1], 0x28
	s_load_b128 s[12:15], s[0:1], 0x48
	s_wait_kmcnt 0x0
	v_lshl_add_u64 v[4:5], v[4:5], 2, s[10:11]
	s_ashr_i32 s19, s14, 31
	s_ashr_i32 s3, s15, 31
	s_cmp_eq_u32 s6, 0
	s_load_b32 s6, s[0:1], 0x10
	global_load_b32 v4, v[4:5], off
	s_cselect_b32 s10, s14, 1
	s_abs_i32 s11, s15
	s_mov_b32 s18, s14
	s_cvt_f32_u32 s0, s11
	s_sub_co_i32 s2, 0, s11
	s_mov_b32 s1, 0
	s_delay_alu instid0(SALU_CYCLE_1) | instskip(SKIP_1) | instid1(TRANS32_DEP_1)
	v_rcp_iflag_f32_e32 v3, s0
	v_nop
	v_readfirstlane_b32 s0, v3
	s_wait_kmcnt 0x0
	v_subrev_nc_u32_e32 v2, s6, v2
	s_mul_f32 s0, s0, 0x4f7ffffe
	s_delay_alu instid0(VALU_DEP_1) | instskip(NEXT) | instid1(SALU_CYCLE_2)
	v_dual_mov_b32 v12, -1 :: v_dual_ashrrev_i32 v3, 31, v2
	s_cvt_u32_f32 s0, s0
	s_delay_alu instid0(SALU_CYCLE_3) | instskip(NEXT) | instid1(VALU_DEP_1)
	s_mul_i32 s14, s2, s0
	v_lshl_add_u64 v[6:7], v[2:3], 4, s[16:17]
	s_mov_b32 s2, s15
	s_mul_hi_u32 s14, s0, s14
	s_delay_alu instid0(SALU_CYCLE_1)
	s_add_co_i32 s0, s0, s14
	s_wait_loadcnt 0x0
	v_xad_u32 v13, s7, -1, v4
	v_lshl_add_u64 v[4:5], v[2:3], 2, s[4:5]
	v_mov_b32_e32 v9, 0
	s_mul_u64 s[4:5], s[2:3], s[18:19]
	s_mov_b32 s2, s1
	v_mov_b32_e32 v10, v13
	s_branch .LBB177_4
.LBB177_3:                              ;   in Loop: Header=BB177_4 Depth=1
	s_or_b32 exec_lo, exec_lo, s14
	global_load_b128 v[14:17], v[6:7], off
	v_mul_lo_u32 v8, v8, s15
	v_ashrrev_i32_e32 v11, 31, v10
	v_add_nc_u64_e32 v[4:5], 4, v[4:5]
	s_wait_xcnt 0x0
	v_add_nc_u64_e32 v[6:7], 16, v[6:7]
	s_delay_alu instid0(VALU_DEP_4) | instskip(SKIP_1) | instid1(VALU_DEP_2)
	v_dual_add_nc_u32 v2, 1, v2 :: v_dual_sub_nc_u32 v3, v3, v8
	v_mul_u64_e32 v[18:19], s[4:5], v[10:11]
	v_mul_lo_u32 v20, v3, s10
	s_delay_alu instid0(VALU_DEP_1) | instskip(NEXT) | instid1(VALU_DEP_3)
	v_ashrrev_i32_e32 v21, 31, v20
	v_lshl_add_u64 v[18:19], v[18:19], 4, s[8:9]
	s_delay_alu instid0(VALU_DEP_1)
	v_lshl_add_u64 v[18:19], v[20:21], 4, v[18:19]
	s_wait_loadcnt 0x0
	global_store_b128 v[18:19], v[14:17], off
	global_load_b32 v3, v[0:1], off offset:4
	s_wait_loadcnt 0x0
	v_subrev_nc_u32_e32 v3, s6, v3
	s_delay_alu instid0(VALU_DEP_1)
	v_cmp_ge_i32_e32 vcc_lo, v2, v3
	s_or_b32 s2, vcc_lo, s2
	s_wait_xcnt 0x0
	s_and_not1_b32 exec_lo, exec_lo, s2
	s_cbranch_execz .LBB177_6
.LBB177_4:                              ; =>This Inner Loop Header: Depth=1
	global_load_b32 v3, v[4:5], off
	s_mov_b32 s14, exec_lo
	s_wait_loadcnt 0x0
	v_subrev_nc_u32_e32 v3, s6, v3
	s_delay_alu instid0(VALU_DEP_1) | instskip(NEXT) | instid1(VALU_DEP_1)
	v_sub_nc_u32_e32 v8, 0, v3
	v_max_i32_e32 v8, v3, v8
	s_delay_alu instid0(VALU_DEP_1) | instskip(NEXT) | instid1(VALU_DEP_1)
	v_mul_u64_e32 v[14:15], s[0:1], v[8:9]
	v_mul_lo_u32 v11, v15, s11
	s_delay_alu instid0(VALU_DEP_1) | instskip(SKIP_1) | instid1(VALU_DEP_2)
	v_sub_nc_u32_e32 v8, v8, v11
	v_add_nc_u32_e32 v11, 1, v15
	v_cmp_le_u32_e32 vcc_lo, s11, v8
	s_delay_alu instid0(VALU_DEP_2) | instskip(SKIP_1) | instid1(VALU_DEP_1)
	v_cndmask_b32_e32 v11, v15, v11, vcc_lo
	v_subrev_nc_u32_e32 v14, s11, v8
	v_dual_cndmask_b32 v8, v8, v14 :: v_dual_ashrrev_i32 v15, 31, v3
	s_delay_alu instid0(VALU_DEP_3) | instskip(NEXT) | instid1(VALU_DEP_2)
	v_add_nc_u32_e32 v14, 1, v11
	v_cmp_le_u32_e32 vcc_lo, s11, v8
	s_delay_alu instid0(VALU_DEP_2) | instskip(NEXT) | instid1(VALU_DEP_1)
	v_dual_cndmask_b32 v8, v11, v14, vcc_lo :: v_dual_bitop2_b32 v15, s3, v15 bitop3:0x14
	v_xor_b32_e32 v8, v8, v15
	s_delay_alu instid0(VALU_DEP_1) | instskip(SKIP_1) | instid1(VALU_DEP_1)
	v_sub_nc_u32_e32 v8, v8, v15
	s_wait_xcnt 0x0
	v_cmpx_ne_u32_e64 v8, v12
	s_cbranch_execz .LBB177_3
; %bb.5:                                ;   in Loop: Header=BB177_4 Depth=1
	v_dual_add_nc_u32 v11, s7, v8 :: v_dual_add_nc_u32 v12, 1, v13
	v_add_nc_u32_e32 v10, 1, v10
	global_store_b32 v13, v11, s[12:13] offset:4 scale_offset
	s_wait_xcnt 0x0
	v_dual_mov_b32 v13, v12 :: v_dual_mov_b32 v12, v8
	s_branch .LBB177_3
.LBB177_6:
	s_endpgm
	.section	.rodata,"a",@progbits
	.p2align	6, 0x0
	.amdhsa_kernel _ZN9rocsparseL20csr2gebsr_kernel_bm1ILi256E21rocsparse_complex_numIdEEEviiii21rocsparse_index_base_PKT0_PKiS8_20rocsparse_direction_S3_PS4_S8_Piii
		.amdhsa_group_segment_fixed_size 0
		.amdhsa_private_segment_fixed_size 0
		.amdhsa_kernarg_size 88
		.amdhsa_user_sgpr_count 2
		.amdhsa_user_sgpr_dispatch_ptr 0
		.amdhsa_user_sgpr_queue_ptr 0
		.amdhsa_user_sgpr_kernarg_segment_ptr 1
		.amdhsa_user_sgpr_dispatch_id 0
		.amdhsa_user_sgpr_kernarg_preload_length 0
		.amdhsa_user_sgpr_kernarg_preload_offset 0
		.amdhsa_user_sgpr_private_segment_size 0
		.amdhsa_wavefront_size32 1
		.amdhsa_uses_dynamic_stack 0
		.amdhsa_enable_private_segment 0
		.amdhsa_system_sgpr_workgroup_id_x 1
		.amdhsa_system_sgpr_workgroup_id_y 0
		.amdhsa_system_sgpr_workgroup_id_z 0
		.amdhsa_system_sgpr_workgroup_info 0
		.amdhsa_system_vgpr_workitem_id 0
		.amdhsa_next_free_vgpr 22
		.amdhsa_next_free_sgpr 20
		.amdhsa_named_barrier_count 0
		.amdhsa_reserve_vcc 1
		.amdhsa_float_round_mode_32 0
		.amdhsa_float_round_mode_16_64 0
		.amdhsa_float_denorm_mode_32 3
		.amdhsa_float_denorm_mode_16_64 3
		.amdhsa_fp16_overflow 0
		.amdhsa_memory_ordered 1
		.amdhsa_forward_progress 1
		.amdhsa_inst_pref_size 6
		.amdhsa_round_robin_scheduling 0
		.amdhsa_exception_fp_ieee_invalid_op 0
		.amdhsa_exception_fp_denorm_src 0
		.amdhsa_exception_fp_ieee_div_zero 0
		.amdhsa_exception_fp_ieee_overflow 0
		.amdhsa_exception_fp_ieee_underflow 0
		.amdhsa_exception_fp_ieee_inexact 0
		.amdhsa_exception_int_div_zero 0
	.end_amdhsa_kernel
	.section	.text._ZN9rocsparseL20csr2gebsr_kernel_bm1ILi256E21rocsparse_complex_numIdEEEviiii21rocsparse_index_base_PKT0_PKiS8_20rocsparse_direction_S3_PS4_S8_Piii,"axG",@progbits,_ZN9rocsparseL20csr2gebsr_kernel_bm1ILi256E21rocsparse_complex_numIdEEEviiii21rocsparse_index_base_PKT0_PKiS8_20rocsparse_direction_S3_PS4_S8_Piii,comdat
.Lfunc_end177:
	.size	_ZN9rocsparseL20csr2gebsr_kernel_bm1ILi256E21rocsparse_complex_numIdEEEviiii21rocsparse_index_base_PKT0_PKiS8_20rocsparse_direction_S3_PS4_S8_Piii, .Lfunc_end177-_ZN9rocsparseL20csr2gebsr_kernel_bm1ILi256E21rocsparse_complex_numIdEEEviiii21rocsparse_index_base_PKT0_PKiS8_20rocsparse_direction_S3_PS4_S8_Piii
                                        ; -- End function
	.set _ZN9rocsparseL20csr2gebsr_kernel_bm1ILi256E21rocsparse_complex_numIdEEEviiii21rocsparse_index_base_PKT0_PKiS8_20rocsparse_direction_S3_PS4_S8_Piii.num_vgpr, 22
	.set _ZN9rocsparseL20csr2gebsr_kernel_bm1ILi256E21rocsparse_complex_numIdEEEviiii21rocsparse_index_base_PKT0_PKiS8_20rocsparse_direction_S3_PS4_S8_Piii.num_agpr, 0
	.set _ZN9rocsparseL20csr2gebsr_kernel_bm1ILi256E21rocsparse_complex_numIdEEEviiii21rocsparse_index_base_PKT0_PKiS8_20rocsparse_direction_S3_PS4_S8_Piii.numbered_sgpr, 20
	.set _ZN9rocsparseL20csr2gebsr_kernel_bm1ILi256E21rocsparse_complex_numIdEEEviiii21rocsparse_index_base_PKT0_PKiS8_20rocsparse_direction_S3_PS4_S8_Piii.num_named_barrier, 0
	.set _ZN9rocsparseL20csr2gebsr_kernel_bm1ILi256E21rocsparse_complex_numIdEEEviiii21rocsparse_index_base_PKT0_PKiS8_20rocsparse_direction_S3_PS4_S8_Piii.private_seg_size, 0
	.set _ZN9rocsparseL20csr2gebsr_kernel_bm1ILi256E21rocsparse_complex_numIdEEEviiii21rocsparse_index_base_PKT0_PKiS8_20rocsparse_direction_S3_PS4_S8_Piii.uses_vcc, 1
	.set _ZN9rocsparseL20csr2gebsr_kernel_bm1ILi256E21rocsparse_complex_numIdEEEviiii21rocsparse_index_base_PKT0_PKiS8_20rocsparse_direction_S3_PS4_S8_Piii.uses_flat_scratch, 0
	.set _ZN9rocsparseL20csr2gebsr_kernel_bm1ILi256E21rocsparse_complex_numIdEEEviiii21rocsparse_index_base_PKT0_PKiS8_20rocsparse_direction_S3_PS4_S8_Piii.has_dyn_sized_stack, 0
	.set _ZN9rocsparseL20csr2gebsr_kernel_bm1ILi256E21rocsparse_complex_numIdEEEviiii21rocsparse_index_base_PKT0_PKiS8_20rocsparse_direction_S3_PS4_S8_Piii.has_recursion, 0
	.set _ZN9rocsparseL20csr2gebsr_kernel_bm1ILi256E21rocsparse_complex_numIdEEEviiii21rocsparse_index_base_PKT0_PKiS8_20rocsparse_direction_S3_PS4_S8_Piii.has_indirect_call, 0
	.section	.AMDGPU.csdata,"",@progbits
; Kernel info:
; codeLenInByte = 688
; TotalNumSgprs: 22
; NumVgprs: 22
; ScratchSize: 0
; MemoryBound: 0
; FloatMode: 240
; IeeeMode: 1
; LDSByteSize: 0 bytes/workgroup (compile time only)
; SGPRBlocks: 0
; VGPRBlocks: 1
; NumSGPRsForWavesPerEU: 22
; NumVGPRsForWavesPerEU: 22
; NamedBarCnt: 0
; Occupancy: 16
; WaveLimiterHint : 1
; COMPUTE_PGM_RSRC2:SCRATCH_EN: 0
; COMPUTE_PGM_RSRC2:USER_SGPR: 2
; COMPUTE_PGM_RSRC2:TRAP_HANDLER: 0
; COMPUTE_PGM_RSRC2:TGID_X_EN: 1
; COMPUTE_PGM_RSRC2:TGID_Y_EN: 0
; COMPUTE_PGM_RSRC2:TGID_Z_EN: 0
; COMPUTE_PGM_RSRC2:TIDIG_COMP_CNT: 0
	.section	.text._ZN9rocsparseL44csr2gebsr_wavefront_per_row_multipass_kernelILi256ELi2ELi2ELi4E21rocsparse_complex_numIdEEEv20rocsparse_direction_iiiiii21rocsparse_index_base_PKT3_PKiS9_S4_PS5_PiSB_,"axG",@progbits,_ZN9rocsparseL44csr2gebsr_wavefront_per_row_multipass_kernelILi256ELi2ELi2ELi4E21rocsparse_complex_numIdEEEv20rocsparse_direction_iiiiii21rocsparse_index_base_PKT3_PKiS9_S4_PS5_PiSB_,comdat
	.globl	_ZN9rocsparseL44csr2gebsr_wavefront_per_row_multipass_kernelILi256ELi2ELi2ELi4E21rocsparse_complex_numIdEEEv20rocsparse_direction_iiiiii21rocsparse_index_base_PKT3_PKiS9_S4_PS5_PiSB_ ; -- Begin function _ZN9rocsparseL44csr2gebsr_wavefront_per_row_multipass_kernelILi256ELi2ELi2ELi4E21rocsparse_complex_numIdEEEv20rocsparse_direction_iiiiii21rocsparse_index_base_PKT3_PKiS9_S4_PS5_PiSB_
	.p2align	8
	.type	_ZN9rocsparseL44csr2gebsr_wavefront_per_row_multipass_kernelILi256ELi2ELi2ELi4E21rocsparse_complex_numIdEEEv20rocsparse_direction_iiiiii21rocsparse_index_base_PKT3_PKiS9_S4_PS5_PiSB_,@function
_ZN9rocsparseL44csr2gebsr_wavefront_per_row_multipass_kernelILi256ELi2ELi2ELi4E21rocsparse_complex_numIdEEEv20rocsparse_direction_iiiiii21rocsparse_index_base_PKT3_PKiS9_S4_PS5_PiSB_: ; @_ZN9rocsparseL44csr2gebsr_wavefront_per_row_multipass_kernelILi256ELi2ELi2ELi4E21rocsparse_complex_numIdEEEv20rocsparse_direction_iiiiii21rocsparse_index_base_PKT3_PKiS9_S4_PS5_PiSB_
; %bb.0:
	s_clause 0x1
	s_load_b128 s[4:7], s[0:1], 0xc
	s_load_b64 s[14:15], s[0:1], 0x0
	s_bfe_u32 s2, ttmp6, 0x4000c
	s_and_b32 s3, ttmp6, 15
	s_add_co_i32 s2, s2, 1
	s_getreg_b32 s8, hwreg(HW_REG_IB_STS2, 6, 4)
	s_mul_i32 s2, ttmp9, s2
	v_dual_lshrrev_b32 v16, 2, v0 :: v_dual_mov_b32 v4, 0
	s_add_co_i32 s3, s3, s2
	s_cmp_eq_u32 s8, 0
	v_bfe_u32 v1, v0, 1, 1
	s_cselect_b32 s2, ttmp9, s3
	s_clause 0x1
	s_load_b32 s18, s[0:1], 0x1c
	s_load_b64 s[8:9], s[0:1], 0x28
	v_lshl_or_b32 v2, s2, 6, v16
	v_mov_b32_e32 v10, 0
	s_wait_kmcnt 0x0
	s_delay_alu instid0(VALU_DEP_2) | instskip(SKIP_1) | instid1(VALU_DEP_2)
	v_mad_u32 v3, v2, s6, v1
	v_cmp_gt_i32_e32 vcc_lo, s6, v1
	v_cmp_gt_i32_e64 s2, s15, v3
	s_and_b32 s2, vcc_lo, s2
	s_delay_alu instid0(SALU_CYCLE_1)
	s_and_saveexec_b32 s3, s2
	s_cbranch_execz .LBB178_2
; %bb.1:
	global_load_b32 v5, v3, s[8:9] scale_offset
	s_wait_loadcnt 0x0
	v_subrev_nc_u32_e32 v10, s18, v5
.LBB178_2:
	s_or_b32 exec_lo, exec_lo, s3
	v_mov_b32_e32 v17, 0
	s_and_saveexec_b32 s3, s2
	s_cbranch_execz .LBB178_4
; %bb.3:
	global_load_b32 v3, v3, s[8:9] offset:4 scale_offset
	s_wait_loadcnt 0x0
	v_subrev_nc_u32_e32 v17, s18, v3
.LBB178_4:
	s_or_b32 exec_lo, exec_lo, s3
	s_load_b32 s19, s[0:1], 0x38
	s_mov_b32 s3, exec_lo
	v_cmpx_gt_i32_e64 s4, v2
	s_cbranch_execz .LBB178_6
; %bb.5:
	s_load_b64 s[8:9], s[0:1], 0x48
	s_wait_kmcnt 0x0
	global_load_b32 v2, v2, s[8:9] scale_offset
	s_wait_loadcnt 0x0
	v_subrev_nc_u32_e32 v4, s19, v2
.LBB178_6:
	s_or_b32 exec_lo, exec_lo, s3
	s_cmp_lt_i32 s5, 1
	s_cbranch_scc1 .LBB178_21
; %bb.7:
	s_load_b64 s[16:17], s[0:1], 0x40
	v_dual_lshlrev_b32 v7, 5, v1 :: v_dual_bitop2_b32 v6, 1, v0 bitop3:0x40
	v_mul_lo_u32 v2, s7, v1
	s_clause 0x2
	s_load_b64 s[2:3], s[0:1], 0x50
	s_load_b64 s[8:9], s[0:1], 0x20
	;; [unrolled: 1-line block ×3, first 2 shown]
	v_mov_b32_e32 v9, 0
	v_mul_lo_u32 v8, s6, v6
	s_wait_xcnt 0x0
	v_cmp_gt_u32_e64 s0, s7, v6
	v_and_b32_e32 v5, 0xfc, v0
	v_mbcnt_lo_u32_b32 v11, -1, 0
	s_mov_b32 s12, s6
	v_mov_b32_e32 v24, 1
	s_and_b32 s1, vcc_lo, s0
	s_cmp_eq_u32 s14, 0
	v_ashrrev_i32_e32 v3, 31, v2
	s_cselect_b32 vcc_lo, -1, 0
	s_abs_i32 s4, s7
	v_dual_mov_b32 v13, v9 :: v_dual_lshlrev_b32 v12, 4, v6
	s_cvt_f32_u32 s0, s4
	s_wait_kmcnt 0x0
	v_lshl_add_u64 v[14:15], v[8:9], 4, s[16:17]
	v_lshlrev_b32_e32 v8, 4, v1
	v_lshl_add_u64 v[0:1], v[2:3], 4, s[16:17]
	v_lshl_or_b32 v18, v5, 4, v7
	v_xor_b32_e32 v5, 1, v11
	v_xor_b32_e32 v20, 2, v11
	v_add_nc_u64_e32 v[2:3], v[14:15], v[8:9]
	v_add_nc_u64_e32 v[14:15], v[0:1], v[12:13]
	v_rcp_iflag_f32_e32 v13, s0
	v_cmp_gt_i32_e64 s0, 32, v5
	v_dual_mov_b32 v0, v9 :: v_dual_mov_b32 v1, v9
	v_dual_mov_b32 v7, v9 :: v_dual_lshlrev_b32 v8, 2, v11
	s_delay_alu instid0(VALU_DEP_3) | instskip(NEXT) | instid1(TRANS32_DEP_1)
	v_cndmask_b32_e64 v5, v11, v5, s0
	v_readfirstlane_b32 s6, v13
	v_cmp_gt_i32_e64 s0, 32, v20
	s_delay_alu instid0(VALU_DEP_4) | instskip(SKIP_1) | instid1(VALU_DEP_3)
	v_or_b32_e32 v19, 4, v8
	v_dual_cndmask_b32 v13, v3, v15, vcc_lo :: v_dual_bitop2_b32 v21, 12, v8 bitop3:0x54
	v_dual_lshlrev_b32 v22, 2, v5 :: v_dual_cndmask_b32 v11, v11, v20, s0
	s_mul_f32 s0, s6, 0x4f7ffffe
	s_sub_co_i32 s6, 0, s4
	v_or_b32_e32 v20, v18, v12
	v_cndmask_b32_e32 v12, v2, v14, vcc_lo
	s_cvt_u32_f32 s0, s0
	v_dual_mov_b32 v2, v9 :: v_dual_lshlrev_b32 v23, 2, v11
	v_mov_b32_e32 v3, v9
	s_delay_alu instid0(SALU_CYCLE_1)
	s_mul_i32 s6, s6, s0
	v_mov_b32_e32 v5, 0
	s_mov_b32 s13, 0
	s_mov_b32 s14, s7
	s_ashr_i32 s15, s7, 31
	s_mul_hi_u32 s6, s0, s6
	s_mul_u64 s[16:17], s[14:15], s[12:13]
	s_add_co_i32 s12, s0, s6
	s_mov_b32 s6, s13
	s_branch .LBB178_10
.LBB178_8:                              ;   in Loop: Header=BB178_10 Depth=1
	s_wait_xcnt 0x0
	s_or_b32 exec_lo, exec_lo, s14
	v_mov_b32_e32 v8, 1
.LBB178_9:                              ;   in Loop: Header=BB178_10 Depth=1
	s_or_b32 exec_lo, exec_lo, s0
	ds_bpermute_b32 v5, v23, v25
	s_wait_storecnt_dscnt 0x0
	v_dual_add_nc_u32 v4, v8, v4 :: v_dual_min_i32 v5, v5, v25
	ds_bpermute_b32 v11, v22, v5
	s_wait_dscnt 0x0
	v_min_i32_e32 v5, v11, v5
	ds_bpermute_b32 v5, v21, v5
	s_wait_dscnt 0x0
	v_cmp_le_i32_e32 vcc_lo, s5, v5
	s_or_b32 s6, vcc_lo, s6
	s_delay_alu instid0(SALU_CYCLE_1)
	s_and_not1_b32 exec_lo, exec_lo, s6
	s_cbranch_execz .LBB178_21
.LBB178_10:                             ; =>This Loop Header: Depth=1
                                        ;     Child Loop BB178_13 Depth 2
	v_dual_mov_b32 v25, s5 :: v_dual_add_nc_u32 v26, v10, v6
	v_mov_b32_e32 v28, v17
	s_mov_b32 s14, exec_lo
	ds_store_b8 v16, v9 offset:4096
	ds_store_b128 v20, v[0:3]
	s_wait_dscnt 0x0
	v_cmpx_lt_i32_e64 v26, v17
	s_cbranch_execz .LBB178_18
; %bb.11:                               ;   in Loop: Header=BB178_10 Depth=1
	v_dual_ashrrev_i32 v11, 31, v10 :: v_dual_mov_b32 v25, s5
	v_mul_lo_u32 v27, v5, s7
	v_mov_b32_e32 v28, v17
	s_mov_b32 s20, 0
	s_delay_alu instid0(VALU_DEP_3) | instskip(NEXT) | instid1(VALU_DEP_1)
	v_add_nc_u64_e32 v[14:15], v[6:7], v[10:11]
	v_lshl_add_u64 v[10:11], v[14:15], 2, s[10:11]
	v_lshl_add_u64 v[14:15], v[14:15], 4, s[8:9]
	s_branch .LBB178_13
.LBB178_12:                             ;   in Loop: Header=BB178_13 Depth=2
	s_wait_xcnt 0x0
	s_or_b32 exec_lo, exec_lo, s0
	v_add_nc_u32_e32 v26, 2, v26
	s_xor_b32 s21, vcc_lo, -1
	v_add_nc_u64_e32 v[10:11], 8, v[10:11]
	v_add_nc_u64_e32 v[14:15], 32, v[14:15]
	s_delay_alu instid0(VALU_DEP_3) | instskip(SKIP_1) | instid1(SALU_CYCLE_1)
	v_cmp_ge_i32_e64 s0, v26, v17
	s_or_b32 s0, s21, s0
	s_and_b32 s0, exec_lo, s0
	s_delay_alu instid0(SALU_CYCLE_1) | instskip(NEXT) | instid1(SALU_CYCLE_1)
	s_or_b32 s20, s0, s20
	s_and_not1_b32 exec_lo, exec_lo, s20
	s_cbranch_execz .LBB178_17
.LBB178_13:                             ;   Parent Loop BB178_10 Depth=1
                                        ; =>  This Inner Loop Header: Depth=2
	global_load_b32 v8, v[10:11], off
	s_wait_loadcnt 0x0
	v_subrev_nc_u32_e32 v29, s18, v8
	s_delay_alu instid0(VALU_DEP_1) | instskip(NEXT) | instid1(VALU_DEP_1)
	v_sub_nc_u32_e32 v8, 0, v29
	v_max_i32_e32 v8, v29, v8
	s_delay_alu instid0(VALU_DEP_1) | instskip(NEXT) | instid1(VALU_DEP_1)
	v_mul_u64_e32 v[30:31], s[12:13], v[8:9]
	v_mul_lo_u32 v30, v31, s4
	s_delay_alu instid0(VALU_DEP_1) | instskip(NEXT) | instid1(VALU_DEP_1)
	v_dual_sub_nc_u32 v8, v8, v30 :: v_dual_add_nc_u32 v30, 1, v31
	v_cmp_le_u32_e32 vcc_lo, s4, v8
	s_delay_alu instid0(VALU_DEP_2) | instskip(SKIP_1) | instid1(VALU_DEP_1)
	v_dual_cndmask_b32 v30, v31, v30 :: v_dual_ashrrev_i32 v31, 31, v29
	v_subrev_nc_u32_e32 v32, s4, v8
	v_dual_cndmask_b32 v8, v8, v32, vcc_lo :: v_dual_add_nc_u32 v32, 1, v30
	s_delay_alu instid0(VALU_DEP_1) | instskip(NEXT) | instid1(VALU_DEP_2)
	v_cmp_le_u32_e32 vcc_lo, s4, v8
	v_dual_cndmask_b32 v8, v30, v32, vcc_lo :: v_dual_bitop2_b32 v31, s15, v31 bitop3:0x14
	s_delay_alu instid0(VALU_DEP_1) | instskip(NEXT) | instid1(VALU_DEP_1)
	v_xor_b32_e32 v8, v8, v31
	v_sub_nc_u32_e32 v30, v8, v31
	v_mov_b32_e32 v8, v28
	s_delay_alu instid0(VALU_DEP_2) | instskip(SKIP_3) | instid1(SALU_CYCLE_1)
	v_cmp_ne_u32_e64 s0, v30, v5
	v_cmp_eq_u32_e32 vcc_lo, v30, v5
	s_wait_xcnt 0x0
	s_and_saveexec_b32 s21, s0
	s_xor_b32 s0, exec_lo, s21
; %bb.14:                               ;   in Loop: Header=BB178_13 Depth=2
	v_min_i32_e32 v25, v30, v25
                                        ; implicit-def: $vgpr29
                                        ; implicit-def: $vgpr8
; %bb.15:                               ;   in Loop: Header=BB178_13 Depth=2
	s_or_saveexec_b32 s0, s0
	v_mov_b32_e32 v28, v26
	s_xor_b32 exec_lo, exec_lo, s0
	s_cbranch_execz .LBB178_12
; %bb.16:                               ;   in Loop: Header=BB178_13 Depth=2
	global_load_b128 v[30:33], v[14:15], off
	v_sub_nc_u32_e32 v28, v29, v27
	s_delay_alu instid0(VALU_DEP_1)
	v_lshl_add_u32 v29, v28, 4, v18
	v_mov_b32_e32 v28, v8
	ds_store_b8 v16, v24 offset:4096
	s_wait_loadcnt 0x0
	ds_store_2addr_b64 v29, v[30:31], v[32:33] offset1:1
	s_branch .LBB178_12
.LBB178_17:                             ;   in Loop: Header=BB178_10 Depth=1
	s_or_b32 exec_lo, exec_lo, s20
.LBB178_18:                             ;   in Loop: Header=BB178_10 Depth=1
	s_delay_alu instid0(SALU_CYCLE_1)
	s_or_b32 exec_lo, exec_lo, s14
	ds_bpermute_b32 v8, v22, v28
	s_wait_dscnt 0x0
	ds_load_u8 v11, v16 offset:4096
	v_min_i32_e32 v8, v8, v28
	ds_bpermute_b32 v10, v19, v8
	s_wait_dscnt 0x1
	v_and_b32_e32 v8, 1, v11
	s_delay_alu instid0(VALU_DEP_1)
	v_cmp_eq_u32_e32 vcc_lo, 1, v8
	v_mov_b32_e32 v8, 0
	s_and_saveexec_b32 s0, vcc_lo
	s_cbranch_execz .LBB178_9
; %bb.19:                               ;   in Loop: Header=BB178_10 Depth=1
	v_add_nc_u32_e32 v5, s19, v5
	global_store_b32 v4, v5, s[2:3] scale_offset
	s_wait_xcnt 0x0
	s_and_saveexec_b32 s14, s1
	s_cbranch_execz .LBB178_8
; %bb.20:                               ;   in Loop: Header=BB178_10 Depth=1
	v_ashrrev_i32_e32 v5, 31, v4
	ds_load_2addr_b64 v[26:29], v20 offset1:1
	v_mul_u64_e32 v[14:15], s[16:17], v[4:5]
	s_delay_alu instid0(VALU_DEP_1)
	v_lshl_add_u64 v[14:15], v[14:15], 4, v[12:13]
	s_wait_dscnt 0x0
	global_store_b128 v[14:15], v[26:29], off
	s_branch .LBB178_8
.LBB178_21:
	s_endpgm
	.section	.rodata,"a",@progbits
	.p2align	6, 0x0
	.amdhsa_kernel _ZN9rocsparseL44csr2gebsr_wavefront_per_row_multipass_kernelILi256ELi2ELi2ELi4E21rocsparse_complex_numIdEEEv20rocsparse_direction_iiiiii21rocsparse_index_base_PKT3_PKiS9_S4_PS5_PiSB_
		.amdhsa_group_segment_fixed_size 4160
		.amdhsa_private_segment_fixed_size 0
		.amdhsa_kernarg_size 88
		.amdhsa_user_sgpr_count 2
		.amdhsa_user_sgpr_dispatch_ptr 0
		.amdhsa_user_sgpr_queue_ptr 0
		.amdhsa_user_sgpr_kernarg_segment_ptr 1
		.amdhsa_user_sgpr_dispatch_id 0
		.amdhsa_user_sgpr_kernarg_preload_length 0
		.amdhsa_user_sgpr_kernarg_preload_offset 0
		.amdhsa_user_sgpr_private_segment_size 0
		.amdhsa_wavefront_size32 1
		.amdhsa_uses_dynamic_stack 0
		.amdhsa_enable_private_segment 0
		.amdhsa_system_sgpr_workgroup_id_x 1
		.amdhsa_system_sgpr_workgroup_id_y 0
		.amdhsa_system_sgpr_workgroup_id_z 0
		.amdhsa_system_sgpr_workgroup_info 0
		.amdhsa_system_vgpr_workitem_id 0
		.amdhsa_next_free_vgpr 34
		.amdhsa_next_free_sgpr 22
		.amdhsa_named_barrier_count 0
		.amdhsa_reserve_vcc 1
		.amdhsa_float_round_mode_32 0
		.amdhsa_float_round_mode_16_64 0
		.amdhsa_float_denorm_mode_32 3
		.amdhsa_float_denorm_mode_16_64 3
		.amdhsa_fp16_overflow 0
		.amdhsa_memory_ordered 1
		.amdhsa_forward_progress 1
		.amdhsa_inst_pref_size 10
		.amdhsa_round_robin_scheduling 0
		.amdhsa_exception_fp_ieee_invalid_op 0
		.amdhsa_exception_fp_denorm_src 0
		.amdhsa_exception_fp_ieee_div_zero 0
		.amdhsa_exception_fp_ieee_overflow 0
		.amdhsa_exception_fp_ieee_underflow 0
		.amdhsa_exception_fp_ieee_inexact 0
		.amdhsa_exception_int_div_zero 0
	.end_amdhsa_kernel
	.section	.text._ZN9rocsparseL44csr2gebsr_wavefront_per_row_multipass_kernelILi256ELi2ELi2ELi4E21rocsparse_complex_numIdEEEv20rocsparse_direction_iiiiii21rocsparse_index_base_PKT3_PKiS9_S4_PS5_PiSB_,"axG",@progbits,_ZN9rocsparseL44csr2gebsr_wavefront_per_row_multipass_kernelILi256ELi2ELi2ELi4E21rocsparse_complex_numIdEEEv20rocsparse_direction_iiiiii21rocsparse_index_base_PKT3_PKiS9_S4_PS5_PiSB_,comdat
.Lfunc_end178:
	.size	_ZN9rocsparseL44csr2gebsr_wavefront_per_row_multipass_kernelILi256ELi2ELi2ELi4E21rocsparse_complex_numIdEEEv20rocsparse_direction_iiiiii21rocsparse_index_base_PKT3_PKiS9_S4_PS5_PiSB_, .Lfunc_end178-_ZN9rocsparseL44csr2gebsr_wavefront_per_row_multipass_kernelILi256ELi2ELi2ELi4E21rocsparse_complex_numIdEEEv20rocsparse_direction_iiiiii21rocsparse_index_base_PKT3_PKiS9_S4_PS5_PiSB_
                                        ; -- End function
	.set _ZN9rocsparseL44csr2gebsr_wavefront_per_row_multipass_kernelILi256ELi2ELi2ELi4E21rocsparse_complex_numIdEEEv20rocsparse_direction_iiiiii21rocsparse_index_base_PKT3_PKiS9_S4_PS5_PiSB_.num_vgpr, 34
	.set _ZN9rocsparseL44csr2gebsr_wavefront_per_row_multipass_kernelILi256ELi2ELi2ELi4E21rocsparse_complex_numIdEEEv20rocsparse_direction_iiiiii21rocsparse_index_base_PKT3_PKiS9_S4_PS5_PiSB_.num_agpr, 0
	.set _ZN9rocsparseL44csr2gebsr_wavefront_per_row_multipass_kernelILi256ELi2ELi2ELi4E21rocsparse_complex_numIdEEEv20rocsparse_direction_iiiiii21rocsparse_index_base_PKT3_PKiS9_S4_PS5_PiSB_.numbered_sgpr, 22
	.set _ZN9rocsparseL44csr2gebsr_wavefront_per_row_multipass_kernelILi256ELi2ELi2ELi4E21rocsparse_complex_numIdEEEv20rocsparse_direction_iiiiii21rocsparse_index_base_PKT3_PKiS9_S4_PS5_PiSB_.num_named_barrier, 0
	.set _ZN9rocsparseL44csr2gebsr_wavefront_per_row_multipass_kernelILi256ELi2ELi2ELi4E21rocsparse_complex_numIdEEEv20rocsparse_direction_iiiiii21rocsparse_index_base_PKT3_PKiS9_S4_PS5_PiSB_.private_seg_size, 0
	.set _ZN9rocsparseL44csr2gebsr_wavefront_per_row_multipass_kernelILi256ELi2ELi2ELi4E21rocsparse_complex_numIdEEEv20rocsparse_direction_iiiiii21rocsparse_index_base_PKT3_PKiS9_S4_PS5_PiSB_.uses_vcc, 1
	.set _ZN9rocsparseL44csr2gebsr_wavefront_per_row_multipass_kernelILi256ELi2ELi2ELi4E21rocsparse_complex_numIdEEEv20rocsparse_direction_iiiiii21rocsparse_index_base_PKT3_PKiS9_S4_PS5_PiSB_.uses_flat_scratch, 0
	.set _ZN9rocsparseL44csr2gebsr_wavefront_per_row_multipass_kernelILi256ELi2ELi2ELi4E21rocsparse_complex_numIdEEEv20rocsparse_direction_iiiiii21rocsparse_index_base_PKT3_PKiS9_S4_PS5_PiSB_.has_dyn_sized_stack, 0
	.set _ZN9rocsparseL44csr2gebsr_wavefront_per_row_multipass_kernelILi256ELi2ELi2ELi4E21rocsparse_complex_numIdEEEv20rocsparse_direction_iiiiii21rocsparse_index_base_PKT3_PKiS9_S4_PS5_PiSB_.has_recursion, 0
	.set _ZN9rocsparseL44csr2gebsr_wavefront_per_row_multipass_kernelILi256ELi2ELi2ELi4E21rocsparse_complex_numIdEEEv20rocsparse_direction_iiiiii21rocsparse_index_base_PKT3_PKiS9_S4_PS5_PiSB_.has_indirect_call, 0
	.section	.AMDGPU.csdata,"",@progbits
; Kernel info:
; codeLenInByte = 1268
; TotalNumSgprs: 24
; NumVgprs: 34
; ScratchSize: 0
; MemoryBound: 0
; FloatMode: 240
; IeeeMode: 1
; LDSByteSize: 4160 bytes/workgroup (compile time only)
; SGPRBlocks: 0
; VGPRBlocks: 2
; NumSGPRsForWavesPerEU: 24
; NumVGPRsForWavesPerEU: 34
; NamedBarCnt: 0
; Occupancy: 16
; WaveLimiterHint : 0
; COMPUTE_PGM_RSRC2:SCRATCH_EN: 0
; COMPUTE_PGM_RSRC2:USER_SGPR: 2
; COMPUTE_PGM_RSRC2:TRAP_HANDLER: 0
; COMPUTE_PGM_RSRC2:TGID_X_EN: 1
; COMPUTE_PGM_RSRC2:TGID_Y_EN: 0
; COMPUTE_PGM_RSRC2:TGID_Z_EN: 0
; COMPUTE_PGM_RSRC2:TIDIG_COMP_CNT: 0
	.section	.text._ZN9rocsparseL44csr2gebsr_wavefront_per_row_multipass_kernelILi256ELi2ELi4ELi8E21rocsparse_complex_numIdEEEv20rocsparse_direction_iiiiii21rocsparse_index_base_PKT3_PKiS9_S4_PS5_PiSB_,"axG",@progbits,_ZN9rocsparseL44csr2gebsr_wavefront_per_row_multipass_kernelILi256ELi2ELi4ELi8E21rocsparse_complex_numIdEEEv20rocsparse_direction_iiiiii21rocsparse_index_base_PKT3_PKiS9_S4_PS5_PiSB_,comdat
	.globl	_ZN9rocsparseL44csr2gebsr_wavefront_per_row_multipass_kernelILi256ELi2ELi4ELi8E21rocsparse_complex_numIdEEEv20rocsparse_direction_iiiiii21rocsparse_index_base_PKT3_PKiS9_S4_PS5_PiSB_ ; -- Begin function _ZN9rocsparseL44csr2gebsr_wavefront_per_row_multipass_kernelILi256ELi2ELi4ELi8E21rocsparse_complex_numIdEEEv20rocsparse_direction_iiiiii21rocsparse_index_base_PKT3_PKiS9_S4_PS5_PiSB_
	.p2align	8
	.type	_ZN9rocsparseL44csr2gebsr_wavefront_per_row_multipass_kernelILi256ELi2ELi4ELi8E21rocsparse_complex_numIdEEEv20rocsparse_direction_iiiiii21rocsparse_index_base_PKT3_PKiS9_S4_PS5_PiSB_,@function
_ZN9rocsparseL44csr2gebsr_wavefront_per_row_multipass_kernelILi256ELi2ELi4ELi8E21rocsparse_complex_numIdEEEv20rocsparse_direction_iiiiii21rocsparse_index_base_PKT3_PKiS9_S4_PS5_PiSB_: ; @_ZN9rocsparseL44csr2gebsr_wavefront_per_row_multipass_kernelILi256ELi2ELi4ELi8E21rocsparse_complex_numIdEEEv20rocsparse_direction_iiiiii21rocsparse_index_base_PKT3_PKiS9_S4_PS5_PiSB_
; %bb.0:
	s_clause 0x1
	s_load_b128 s[4:7], s[0:1], 0xc
	s_load_b64 s[12:13], s[0:1], 0x0
	s_bfe_u32 s2, ttmp6, 0x4000c
	s_and_b32 s3, ttmp6, 15
	s_add_co_i32 s2, s2, 1
	s_getreg_b32 s8, hwreg(HW_REG_IB_STS2, 6, 4)
	s_mul_i32 s2, ttmp9, s2
	v_dual_lshrrev_b32 v16, 3, v0 :: v_dual_mov_b32 v4, 0
	s_add_co_i32 s3, s3, s2
	s_cmp_eq_u32 s8, 0
	v_bfe_u32 v1, v0, 2, 1
	s_cselect_b32 s2, ttmp9, s3
	s_clause 0x1
	s_load_b32 s16, s[0:1], 0x1c
	s_load_b64 s[8:9], s[0:1], 0x28
	v_lshl_or_b32 v2, s2, 5, v16
	v_mov_b32_e32 v10, 0
	s_wait_kmcnt 0x0
	s_delay_alu instid0(VALU_DEP_2) | instskip(SKIP_1) | instid1(VALU_DEP_2)
	v_mad_u32 v3, v2, s6, v1
	v_cmp_gt_i32_e32 vcc_lo, s6, v1
	v_cmp_gt_i32_e64 s2, s13, v3
	s_and_b32 s2, vcc_lo, s2
	s_delay_alu instid0(SALU_CYCLE_1)
	s_and_saveexec_b32 s3, s2
	s_cbranch_execz .LBB179_2
; %bb.1:
	global_load_b32 v5, v3, s[8:9] scale_offset
	s_wait_loadcnt 0x0
	v_subrev_nc_u32_e32 v10, s16, v5
.LBB179_2:
	s_or_b32 exec_lo, exec_lo, s3
	v_mov_b32_e32 v17, 0
	s_and_saveexec_b32 s3, s2
	s_cbranch_execz .LBB179_4
; %bb.3:
	global_load_b32 v3, v3, s[8:9] offset:4 scale_offset
	s_wait_loadcnt 0x0
	v_subrev_nc_u32_e32 v17, s16, v3
.LBB179_4:
	s_or_b32 exec_lo, exec_lo, s3
	s_load_b32 s17, s[0:1], 0x38
	s_mov_b32 s3, exec_lo
	v_cmpx_gt_i32_e64 s4, v2
	s_cbranch_execz .LBB179_6
; %bb.5:
	s_load_b64 s[8:9], s[0:1], 0x48
	s_wait_kmcnt 0x0
	global_load_b32 v2, v2, s[8:9] scale_offset
	s_wait_loadcnt 0x0
	v_subrev_nc_u32_e32 v4, s17, v2
.LBB179_6:
	s_or_b32 exec_lo, exec_lo, s3
	s_cmp_lt_i32 s5, 1
	s_cbranch_scc1 .LBB179_21
; %bb.7:
	s_load_b64 s[14:15], s[0:1], 0x40
	v_dual_lshlrev_b32 v3, 6, v1 :: v_dual_bitop2_b32 v6, 3, v0 bitop3:0x40
	v_mul_lo_u32 v2, s7, v1
	v_and_b32_e32 v0, 0xf8, v0
	v_mbcnt_lo_u32_b32 v5, -1, 0
	s_delay_alu instid0(VALU_DEP_4)
	v_mul_lo_u32 v8, s6, v6
	s_clause 0x2
	s_load_b64 s[2:3], s[0:1], 0x50
	s_load_b64 s[8:9], s[0:1], 0x20
	s_load_b64 s[10:11], s[0:1], 0x30
	s_wait_xcnt 0x0
	v_cmp_gt_u32_e64 s0, s7, v6
	v_dual_mov_b32 v9, 0 :: v_dual_bitop2_b32 v7, 2, v5 bitop3:0x14
	v_lshl_or_b32 v18, v0, 4, v3
	v_lshlrev_b32_e32 v12, 4, v6
	s_and_b32 s4, vcc_lo, s0
	s_delay_alu instid0(VALU_DEP_3)
	v_dual_ashrrev_i32 v3, 31, v2 :: v_dual_mov_b32 v13, v9
	s_cmp_eq_u32 s12, 0
	v_cmp_gt_i32_e64 s0, 32, v7
	s_cselect_b32 vcc_lo, -1, 0
	s_abs_i32 s18, s7
	s_wait_kmcnt 0x0
	v_lshl_add_u64 v[14:15], v[8:9], 4, s[14:15]
	v_lshlrev_b32_e32 v8, 4, v1
	v_lshl_add_u64 v[0:1], v[2:3], 4, s[14:15]
	v_dual_cndmask_b32 v7, v5, v7, s0 :: v_dual_bitop2_b32 v11, 1, v5 bitop3:0x14
	s_cvt_f32_u32 s1, s18
	s_delay_alu instid0(VALU_DEP_3) | instskip(NEXT) | instid1(VALU_DEP_3)
	v_add_nc_u64_e32 v[2:3], v[14:15], v[8:9]
	v_add_nc_u64_e32 v[0:1], v[0:1], v[12:13]
	s_delay_alu instid0(VALU_DEP_3)
	v_cmp_gt_i32_e64 s0, 32, v11
	v_rcp_iflag_f32_e32 v13, s1
	s_mov_b32 s12, s6
	s_mov_b32 s13, 0
	v_dual_mov_b32 v25, 1 :: v_dual_cndmask_b32 v8, v5, v11, s0
	v_dual_lshlrev_b32 v11, 2, v5 :: v_dual_lshlrev_b32 v19, 2, v7
	v_xor_b32_e32 v7, 4, v5
	s_delay_alu instid0(TRANS32_DEP_1) | instskip(NEXT) | instid1(VALU_DEP_3)
	v_readfirstlane_b32 s14, v13
	v_dual_lshlrev_b32 v20, 2, v8 :: v_dual_bitop2_b32 v21, 12, v11 bitop3:0x54
	v_dual_cndmask_b32 v13, v3, v1, vcc_lo :: v_dual_bitop2_b32 v24, 28, v11 bitop3:0x54
	s_delay_alu instid0(VALU_DEP_4)
	v_cmp_gt_i32_e64 s0, 32, v7
	s_mul_f32 s6, s14, 0x4f7ffffe
	v_or_b32_e32 v22, v18, v12
	s_sub_co_i32 s14, 0, s18
	v_dual_cndmask_b32 v12, v2, v0, vcc_lo :: v_dual_mov_b32 v0, v9
	v_cndmask_b32_e64 v5, v5, v7, s0
	s_cvt_u32_f32 s6, s6
	v_dual_mov_b32 v7, v9 :: v_dual_mov_b32 v1, v9
	v_mov_b32_e32 v2, v9
	s_delay_alu instid0(SALU_CYCLE_1)
	s_mul_i32 s14, s14, s6
	v_dual_lshlrev_b32 v23, 2, v5 :: v_dual_mov_b32 v3, v9
	v_mov_b32_e32 v5, 0
	s_ashr_i32 s1, s7, 31
	s_mov_b32 s0, s7
	s_mul_hi_u32 s19, s6, s14
	s_mul_u64 s[14:15], s[0:1], s[12:13]
	s_add_co_i32 s12, s6, s19
	s_mov_b32 s6, s13
	s_branch .LBB179_10
.LBB179_8:                              ;   in Loop: Header=BB179_10 Depth=1
	s_wait_xcnt 0x0
	s_or_b32 exec_lo, exec_lo, s19
	v_mov_b32_e32 v8, 1
.LBB179_9:                              ;   in Loop: Header=BB179_10 Depth=1
	s_or_b32 exec_lo, exec_lo, s0
	ds_bpermute_b32 v5, v23, v26
	s_wait_storecnt_dscnt 0x0
	v_dual_add_nc_u32 v4, v8, v4 :: v_dual_min_i32 v5, v5, v26
	ds_bpermute_b32 v11, v19, v5
	s_wait_dscnt 0x0
	v_min_i32_e32 v5, v11, v5
	ds_bpermute_b32 v11, v20, v5
	s_wait_dscnt 0x0
	v_min_i32_e32 v5, v11, v5
	ds_bpermute_b32 v5, v24, v5
	s_wait_dscnt 0x0
	v_cmp_le_i32_e32 vcc_lo, s5, v5
	s_or_b32 s6, vcc_lo, s6
	s_delay_alu instid0(SALU_CYCLE_1)
	s_and_not1_b32 exec_lo, exec_lo, s6
	s_cbranch_execz .LBB179_21
.LBB179_10:                             ; =>This Loop Header: Depth=1
                                        ;     Child Loop BB179_13 Depth 2
	v_dual_mov_b32 v26, s5 :: v_dual_add_nc_u32 v27, v10, v6
	v_mov_b32_e32 v29, v17
	s_mov_b32 s19, exec_lo
	ds_store_b8 v16, v9 offset:4096
	ds_store_b128 v22, v[0:3]
	s_wait_dscnt 0x0
	v_cmpx_lt_i32_e64 v27, v17
	s_cbranch_execz .LBB179_18
; %bb.11:                               ;   in Loop: Header=BB179_10 Depth=1
	v_dual_mov_b32 v26, s5 :: v_dual_ashrrev_i32 v11, 31, v10
	v_mul_lo_u32 v28, v5, s7
	v_mov_b32_e32 v29, v17
	s_mov_b32 s20, 0
	s_delay_alu instid0(VALU_DEP_3) | instskip(NEXT) | instid1(VALU_DEP_1)
	v_add_nc_u64_e32 v[14:15], v[6:7], v[10:11]
	v_lshl_add_u64 v[10:11], v[14:15], 2, s[10:11]
	v_lshl_add_u64 v[14:15], v[14:15], 4, s[8:9]
	s_branch .LBB179_13
.LBB179_12:                             ;   in Loop: Header=BB179_13 Depth=2
	s_wait_xcnt 0x0
	s_or_b32 exec_lo, exec_lo, s0
	v_add_nc_u32_e32 v27, 4, v27
	s_xor_b32 s21, vcc_lo, -1
	v_add_nc_u64_e32 v[10:11], 16, v[10:11]
	v_add_nc_u64_e32 v[14:15], 64, v[14:15]
	s_delay_alu instid0(VALU_DEP_3) | instskip(SKIP_1) | instid1(SALU_CYCLE_1)
	v_cmp_ge_i32_e64 s0, v27, v17
	s_or_b32 s0, s21, s0
	s_and_b32 s0, exec_lo, s0
	s_delay_alu instid0(SALU_CYCLE_1) | instskip(NEXT) | instid1(SALU_CYCLE_1)
	s_or_b32 s20, s0, s20
	s_and_not1_b32 exec_lo, exec_lo, s20
	s_cbranch_execz .LBB179_17
.LBB179_13:                             ;   Parent Loop BB179_10 Depth=1
                                        ; =>  This Inner Loop Header: Depth=2
	global_load_b32 v8, v[10:11], off
	s_wait_loadcnt 0x0
	v_subrev_nc_u32_e32 v30, s16, v8
	s_delay_alu instid0(VALU_DEP_1) | instskip(NEXT) | instid1(VALU_DEP_1)
	v_sub_nc_u32_e32 v8, 0, v30
	v_max_i32_e32 v8, v30, v8
	s_delay_alu instid0(VALU_DEP_1) | instskip(NEXT) | instid1(VALU_DEP_1)
	v_mul_u64_e32 v[32:33], s[12:13], v[8:9]
	v_mul_lo_u32 v31, v33, s18
	s_delay_alu instid0(VALU_DEP_1) | instskip(NEXT) | instid1(VALU_DEP_1)
	v_dual_sub_nc_u32 v8, v8, v31 :: v_dual_add_nc_u32 v31, 1, v33
	v_cmp_le_u32_e32 vcc_lo, s18, v8
	s_delay_alu instid0(VALU_DEP_2) | instskip(SKIP_1) | instid1(VALU_DEP_1)
	v_dual_cndmask_b32 v31, v33, v31, vcc_lo :: v_dual_ashrrev_i32 v33, 31, v30
	v_subrev_nc_u32_e32 v32, s18, v8
	v_dual_cndmask_b32 v8, v8, v32, vcc_lo :: v_dual_add_nc_u32 v32, 1, v31
	s_delay_alu instid0(VALU_DEP_1) | instskip(NEXT) | instid1(VALU_DEP_2)
	v_cmp_le_u32_e32 vcc_lo, s18, v8
	v_dual_cndmask_b32 v8, v31, v32, vcc_lo :: v_dual_bitop2_b32 v33, s1, v33 bitop3:0x14
	s_delay_alu instid0(VALU_DEP_1) | instskip(NEXT) | instid1(VALU_DEP_1)
	v_xor_b32_e32 v8, v8, v33
	v_dual_mov_b32 v8, v29 :: v_dual_sub_nc_u32 v31, v8, v33
	s_delay_alu instid0(VALU_DEP_1) | instskip(SKIP_3) | instid1(SALU_CYCLE_1)
	v_cmp_ne_u32_e64 s0, v31, v5
	v_cmp_eq_u32_e32 vcc_lo, v31, v5
	s_wait_xcnt 0x0
	s_and_saveexec_b32 s21, s0
	s_xor_b32 s0, exec_lo, s21
; %bb.14:                               ;   in Loop: Header=BB179_13 Depth=2
	v_min_i32_e32 v26, v31, v26
                                        ; implicit-def: $vgpr30
                                        ; implicit-def: $vgpr8
; %bb.15:                               ;   in Loop: Header=BB179_13 Depth=2
	s_or_saveexec_b32 s0, s0
	v_mov_b32_e32 v29, v27
	s_xor_b32 exec_lo, exec_lo, s0
	s_cbranch_execz .LBB179_12
; %bb.16:                               ;   in Loop: Header=BB179_13 Depth=2
	global_load_b128 v[32:35], v[14:15], off
	v_sub_nc_u32_e32 v29, v30, v28
	s_delay_alu instid0(VALU_DEP_1)
	v_lshl_add_u32 v30, v29, 4, v18
	v_mov_b32_e32 v29, v8
	ds_store_b8 v16, v25 offset:4096
	s_wait_loadcnt 0x0
	ds_store_2addr_b64 v30, v[32:33], v[34:35] offset1:1
	s_branch .LBB179_12
.LBB179_17:                             ;   in Loop: Header=BB179_10 Depth=1
	s_or_b32 exec_lo, exec_lo, s20
.LBB179_18:                             ;   in Loop: Header=BB179_10 Depth=1
	s_delay_alu instid0(SALU_CYCLE_1)
	s_or_b32 exec_lo, exec_lo, s19
	ds_bpermute_b32 v8, v19, v29
	s_wait_dscnt 0x0
	ds_load_u8 v11, v16 offset:4096
	v_min_i32_e32 v8, v8, v29
	ds_bpermute_b32 v10, v20, v8
	s_wait_dscnt 0x0
	v_min_i32_e32 v8, v10, v8
	ds_bpermute_b32 v10, v21, v8
	v_and_b32_e32 v8, 1, v11
	s_delay_alu instid0(VALU_DEP_1)
	v_cmp_eq_u32_e32 vcc_lo, 1, v8
	v_mov_b32_e32 v8, 0
	s_and_saveexec_b32 s0, vcc_lo
	s_cbranch_execz .LBB179_9
; %bb.19:                               ;   in Loop: Header=BB179_10 Depth=1
	v_add_nc_u32_e32 v5, s17, v5
	global_store_b32 v4, v5, s[2:3] scale_offset
	s_wait_xcnt 0x0
	s_and_saveexec_b32 s19, s4
	s_cbranch_execz .LBB179_8
; %bb.20:                               ;   in Loop: Header=BB179_10 Depth=1
	v_ashrrev_i32_e32 v5, 31, v4
	ds_load_2addr_b64 v[28:31], v22 offset1:1
	v_mul_u64_e32 v[14:15], s[14:15], v[4:5]
	s_delay_alu instid0(VALU_DEP_1)
	v_lshl_add_u64 v[14:15], v[14:15], 4, v[12:13]
	s_wait_dscnt 0x0
	global_store_b128 v[14:15], v[28:31], off
	s_branch .LBB179_8
.LBB179_21:
	s_endpgm
	.section	.rodata,"a",@progbits
	.p2align	6, 0x0
	.amdhsa_kernel _ZN9rocsparseL44csr2gebsr_wavefront_per_row_multipass_kernelILi256ELi2ELi4ELi8E21rocsparse_complex_numIdEEEv20rocsparse_direction_iiiiii21rocsparse_index_base_PKT3_PKiS9_S4_PS5_PiSB_
		.amdhsa_group_segment_fixed_size 4128
		.amdhsa_private_segment_fixed_size 0
		.amdhsa_kernarg_size 88
		.amdhsa_user_sgpr_count 2
		.amdhsa_user_sgpr_dispatch_ptr 0
		.amdhsa_user_sgpr_queue_ptr 0
		.amdhsa_user_sgpr_kernarg_segment_ptr 1
		.amdhsa_user_sgpr_dispatch_id 0
		.amdhsa_user_sgpr_kernarg_preload_length 0
		.amdhsa_user_sgpr_kernarg_preload_offset 0
		.amdhsa_user_sgpr_private_segment_size 0
		.amdhsa_wavefront_size32 1
		.amdhsa_uses_dynamic_stack 0
		.amdhsa_enable_private_segment 0
		.amdhsa_system_sgpr_workgroup_id_x 1
		.amdhsa_system_sgpr_workgroup_id_y 0
		.amdhsa_system_sgpr_workgroup_id_z 0
		.amdhsa_system_sgpr_workgroup_info 0
		.amdhsa_system_vgpr_workitem_id 0
		.amdhsa_next_free_vgpr 36
		.amdhsa_next_free_sgpr 22
		.amdhsa_named_barrier_count 0
		.amdhsa_reserve_vcc 1
		.amdhsa_float_round_mode_32 0
		.amdhsa_float_round_mode_16_64 0
		.amdhsa_float_denorm_mode_32 3
		.amdhsa_float_denorm_mode_16_64 3
		.amdhsa_fp16_overflow 0
		.amdhsa_memory_ordered 1
		.amdhsa_forward_progress 1
		.amdhsa_inst_pref_size 11
		.amdhsa_round_robin_scheduling 0
		.amdhsa_exception_fp_ieee_invalid_op 0
		.amdhsa_exception_fp_denorm_src 0
		.amdhsa_exception_fp_ieee_div_zero 0
		.amdhsa_exception_fp_ieee_overflow 0
		.amdhsa_exception_fp_ieee_underflow 0
		.amdhsa_exception_fp_ieee_inexact 0
		.amdhsa_exception_int_div_zero 0
	.end_amdhsa_kernel
	.section	.text._ZN9rocsparseL44csr2gebsr_wavefront_per_row_multipass_kernelILi256ELi2ELi4ELi8E21rocsparse_complex_numIdEEEv20rocsparse_direction_iiiiii21rocsparse_index_base_PKT3_PKiS9_S4_PS5_PiSB_,"axG",@progbits,_ZN9rocsparseL44csr2gebsr_wavefront_per_row_multipass_kernelILi256ELi2ELi4ELi8E21rocsparse_complex_numIdEEEv20rocsparse_direction_iiiiii21rocsparse_index_base_PKT3_PKiS9_S4_PS5_PiSB_,comdat
.Lfunc_end179:
	.size	_ZN9rocsparseL44csr2gebsr_wavefront_per_row_multipass_kernelILi256ELi2ELi4ELi8E21rocsparse_complex_numIdEEEv20rocsparse_direction_iiiiii21rocsparse_index_base_PKT3_PKiS9_S4_PS5_PiSB_, .Lfunc_end179-_ZN9rocsparseL44csr2gebsr_wavefront_per_row_multipass_kernelILi256ELi2ELi4ELi8E21rocsparse_complex_numIdEEEv20rocsparse_direction_iiiiii21rocsparse_index_base_PKT3_PKiS9_S4_PS5_PiSB_
                                        ; -- End function
	.set _ZN9rocsparseL44csr2gebsr_wavefront_per_row_multipass_kernelILi256ELi2ELi4ELi8E21rocsparse_complex_numIdEEEv20rocsparse_direction_iiiiii21rocsparse_index_base_PKT3_PKiS9_S4_PS5_PiSB_.num_vgpr, 36
	.set _ZN9rocsparseL44csr2gebsr_wavefront_per_row_multipass_kernelILi256ELi2ELi4ELi8E21rocsparse_complex_numIdEEEv20rocsparse_direction_iiiiii21rocsparse_index_base_PKT3_PKiS9_S4_PS5_PiSB_.num_agpr, 0
	.set _ZN9rocsparseL44csr2gebsr_wavefront_per_row_multipass_kernelILi256ELi2ELi4ELi8E21rocsparse_complex_numIdEEEv20rocsparse_direction_iiiiii21rocsparse_index_base_PKT3_PKiS9_S4_PS5_PiSB_.numbered_sgpr, 22
	.set _ZN9rocsparseL44csr2gebsr_wavefront_per_row_multipass_kernelILi256ELi2ELi4ELi8E21rocsparse_complex_numIdEEEv20rocsparse_direction_iiiiii21rocsparse_index_base_PKT3_PKiS9_S4_PS5_PiSB_.num_named_barrier, 0
	.set _ZN9rocsparseL44csr2gebsr_wavefront_per_row_multipass_kernelILi256ELi2ELi4ELi8E21rocsparse_complex_numIdEEEv20rocsparse_direction_iiiiii21rocsparse_index_base_PKT3_PKiS9_S4_PS5_PiSB_.private_seg_size, 0
	.set _ZN9rocsparseL44csr2gebsr_wavefront_per_row_multipass_kernelILi256ELi2ELi4ELi8E21rocsparse_complex_numIdEEEv20rocsparse_direction_iiiiii21rocsparse_index_base_PKT3_PKiS9_S4_PS5_PiSB_.uses_vcc, 1
	.set _ZN9rocsparseL44csr2gebsr_wavefront_per_row_multipass_kernelILi256ELi2ELi4ELi8E21rocsparse_complex_numIdEEEv20rocsparse_direction_iiiiii21rocsparse_index_base_PKT3_PKiS9_S4_PS5_PiSB_.uses_flat_scratch, 0
	.set _ZN9rocsparseL44csr2gebsr_wavefront_per_row_multipass_kernelILi256ELi2ELi4ELi8E21rocsparse_complex_numIdEEEv20rocsparse_direction_iiiiii21rocsparse_index_base_PKT3_PKiS9_S4_PS5_PiSB_.has_dyn_sized_stack, 0
	.set _ZN9rocsparseL44csr2gebsr_wavefront_per_row_multipass_kernelILi256ELi2ELi4ELi8E21rocsparse_complex_numIdEEEv20rocsparse_direction_iiiiii21rocsparse_index_base_PKT3_PKiS9_S4_PS5_PiSB_.has_recursion, 0
	.set _ZN9rocsparseL44csr2gebsr_wavefront_per_row_multipass_kernelILi256ELi2ELi4ELi8E21rocsparse_complex_numIdEEEv20rocsparse_direction_iiiiii21rocsparse_index_base_PKT3_PKiS9_S4_PS5_PiSB_.has_indirect_call, 0
	.section	.AMDGPU.csdata,"",@progbits
; Kernel info:
; codeLenInByte = 1364
; TotalNumSgprs: 24
; NumVgprs: 36
; ScratchSize: 0
; MemoryBound: 0
; FloatMode: 240
; IeeeMode: 1
; LDSByteSize: 4128 bytes/workgroup (compile time only)
; SGPRBlocks: 0
; VGPRBlocks: 2
; NumSGPRsForWavesPerEU: 24
; NumVGPRsForWavesPerEU: 36
; NamedBarCnt: 0
; Occupancy: 16
; WaveLimiterHint : 0
; COMPUTE_PGM_RSRC2:SCRATCH_EN: 0
; COMPUTE_PGM_RSRC2:USER_SGPR: 2
; COMPUTE_PGM_RSRC2:TRAP_HANDLER: 0
; COMPUTE_PGM_RSRC2:TGID_X_EN: 1
; COMPUTE_PGM_RSRC2:TGID_Y_EN: 0
; COMPUTE_PGM_RSRC2:TGID_Z_EN: 0
; COMPUTE_PGM_RSRC2:TIDIG_COMP_CNT: 0
	.section	.text._ZN9rocsparseL44csr2gebsr_wavefront_per_row_multipass_kernelILi256ELi2ELi8ELi16E21rocsparse_complex_numIdEEEv20rocsparse_direction_iiiiii21rocsparse_index_base_PKT3_PKiS9_S4_PS5_PiSB_,"axG",@progbits,_ZN9rocsparseL44csr2gebsr_wavefront_per_row_multipass_kernelILi256ELi2ELi8ELi16E21rocsparse_complex_numIdEEEv20rocsparse_direction_iiiiii21rocsparse_index_base_PKT3_PKiS9_S4_PS5_PiSB_,comdat
	.globl	_ZN9rocsparseL44csr2gebsr_wavefront_per_row_multipass_kernelILi256ELi2ELi8ELi16E21rocsparse_complex_numIdEEEv20rocsparse_direction_iiiiii21rocsparse_index_base_PKT3_PKiS9_S4_PS5_PiSB_ ; -- Begin function _ZN9rocsparseL44csr2gebsr_wavefront_per_row_multipass_kernelILi256ELi2ELi8ELi16E21rocsparse_complex_numIdEEEv20rocsparse_direction_iiiiii21rocsparse_index_base_PKT3_PKiS9_S4_PS5_PiSB_
	.p2align	8
	.type	_ZN9rocsparseL44csr2gebsr_wavefront_per_row_multipass_kernelILi256ELi2ELi8ELi16E21rocsparse_complex_numIdEEEv20rocsparse_direction_iiiiii21rocsparse_index_base_PKT3_PKiS9_S4_PS5_PiSB_,@function
_ZN9rocsparseL44csr2gebsr_wavefront_per_row_multipass_kernelILi256ELi2ELi8ELi16E21rocsparse_complex_numIdEEEv20rocsparse_direction_iiiiii21rocsparse_index_base_PKT3_PKiS9_S4_PS5_PiSB_: ; @_ZN9rocsparseL44csr2gebsr_wavefront_per_row_multipass_kernelILi256ELi2ELi8ELi16E21rocsparse_complex_numIdEEEv20rocsparse_direction_iiiiii21rocsparse_index_base_PKT3_PKiS9_S4_PS5_PiSB_
; %bb.0:
	s_clause 0x1
	s_load_b128 s[4:7], s[0:1], 0xc
	s_load_b64 s[12:13], s[0:1], 0x0
	s_bfe_u32 s2, ttmp6, 0x4000c
	s_and_b32 s3, ttmp6, 15
	s_add_co_i32 s2, s2, 1
	s_getreg_b32 s8, hwreg(HW_REG_IB_STS2, 6, 4)
	s_mul_i32 s2, ttmp9, s2
	v_dual_lshrrev_b32 v16, 4, v0 :: v_dual_mov_b32 v4, 0
	s_add_co_i32 s3, s3, s2
	s_cmp_eq_u32 s8, 0
	v_bfe_u32 v1, v0, 3, 1
	s_cselect_b32 s2, ttmp9, s3
	s_clause 0x1
	s_load_b32 s16, s[0:1], 0x1c
	s_load_b64 s[8:9], s[0:1], 0x28
	v_lshl_or_b32 v2, s2, 4, v16
	v_mov_b32_e32 v10, 0
	s_wait_kmcnt 0x0
	s_delay_alu instid0(VALU_DEP_2) | instskip(SKIP_1) | instid1(VALU_DEP_2)
	v_mad_u32 v3, v2, s6, v1
	v_cmp_gt_i32_e32 vcc_lo, s6, v1
	v_cmp_gt_i32_e64 s2, s13, v3
	s_and_b32 s2, vcc_lo, s2
	s_delay_alu instid0(SALU_CYCLE_1)
	s_and_saveexec_b32 s3, s2
	s_cbranch_execz .LBB180_2
; %bb.1:
	global_load_b32 v5, v3, s[8:9] scale_offset
	s_wait_loadcnt 0x0
	v_subrev_nc_u32_e32 v10, s16, v5
.LBB180_2:
	s_or_b32 exec_lo, exec_lo, s3
	v_mov_b32_e32 v17, 0
	s_and_saveexec_b32 s3, s2
	s_cbranch_execz .LBB180_4
; %bb.3:
	global_load_b32 v3, v3, s[8:9] offset:4 scale_offset
	s_wait_loadcnt 0x0
	v_subrev_nc_u32_e32 v17, s16, v3
.LBB180_4:
	s_or_b32 exec_lo, exec_lo, s3
	s_load_b32 s17, s[0:1], 0x38
	s_mov_b32 s3, exec_lo
	v_cmpx_gt_i32_e64 s4, v2
	s_cbranch_execz .LBB180_6
; %bb.5:
	s_load_b64 s[8:9], s[0:1], 0x48
	s_wait_kmcnt 0x0
	global_load_b32 v2, v2, s[8:9] scale_offset
	s_wait_loadcnt 0x0
	v_subrev_nc_u32_e32 v4, s17, v2
.LBB180_6:
	s_or_b32 exec_lo, exec_lo, s3
	s_cmp_lt_i32 s5, 1
	s_cbranch_scc1 .LBB180_21
; %bb.7:
	s_clause 0x3
	s_load_b64 s[14:15], s[0:1], 0x40
	s_load_b64 s[2:3], s[0:1], 0x50
	;; [unrolled: 1-line block ×4, first 2 shown]
	v_dual_lshlrev_b32 v3, 7, v1 :: v_dual_bitop2_b32 v6, 7, v0 bitop3:0x40
	v_mul_lo_u32 v2, s7, v1
	v_mbcnt_lo_u32_b32 v5, -1, 0
	v_and_b32_e32 v0, 0xf0, v0
	s_delay_alu instid0(VALU_DEP_4)
	v_mul_lo_u32 v8, s6, v6
	v_mov_b32_e32 v9, 0
	s_wait_xcnt 0x0
	v_cmp_gt_u32_e64 s0, s7, v6
	v_xor_b32_e32 v7, 4, v5
	v_lshl_or_b32 v18, v0, 4, v3
	v_dual_lshlrev_b32 v0, 4, v6 :: v_dual_bitop2_b32 v11, 2, v5 bitop3:0x14
	s_and_b32 s4, vcc_lo, s0
	s_delay_alu instid0(VALU_DEP_3) | instskip(SKIP_1) | instid1(VALU_DEP_3)
	v_cmp_gt_i32_e64 s1, 32, v7
	v_ashrrev_i32_e32 v3, 31, v2
	v_cmp_gt_i32_e64 s0, 32, v11
	s_wait_kmcnt 0x0
	v_lshl_add_u64 v[12:13], v[8:9], 4, s[14:15]
	v_dual_mov_b32 v1, v9 :: v_dual_lshlrev_b32 v8, 4, v1
	v_cndmask_b32_e64 v7, v5, v7, s1
	v_lshl_add_u64 v[2:3], v[2:3], 4, s[14:15]
	v_xor_b32_e32 v14, 1, v5
	s_cmp_eq_u32 s12, 0
	v_add_nc_u64_e32 v[12:13], v[12:13], v[8:9]
	s_cselect_b32 vcc_lo, -1, 0
	s_abs_i32 s18, s7
	v_add_nc_u64_e32 v[2:3], v[2:3], v[0:1]
	v_cndmask_b32_e64 v1, v5, v11, s0
	v_cmp_gt_i32_e64 s0, 32, v14
	s_cvt_f32_u32 s1, s18
	v_dual_lshlrev_b32 v11, 2, v5 :: v_dual_lshlrev_b32 v19, 2, v7
	v_dual_lshlrev_b32 v20, 2, v1 :: v_dual_cndmask_b32 v8, v5, v14, s0
	s_delay_alu instid0(SALU_CYCLE_1) | instskip(SKIP_4) | instid1(VALU_DEP_3)
	v_rcp_iflag_f32_e32 v14, s1
	v_xor_b32_e32 v1, 8, v5
	s_mov_b32 s12, s6
	v_dual_mov_b32 v7, v9 :: v_dual_bitop2_b32 v23, v18, v0 bitop3:0x54
	v_lshlrev_b32_e32 v21, 2, v8
	v_cmp_gt_i32_e64 s0, 32, v1
	s_delay_alu instid0(TRANS32_DEP_1) | instskip(SKIP_2) | instid1(VALU_DEP_4)
	v_readfirstlane_b32 s14, v14
	v_or_b32_e32 v22, 28, v11
	v_dual_cndmask_b32 v13, v13, v3 :: v_dual_cndmask_b32 v12, v12, v2
	v_cndmask_b32_e64 v0, v5, v1, s0
	s_mul_f32 s6, s14, 0x4f7ffffe
	s_sub_co_i32 s14, 0, s18
	v_dual_mov_b32 v1, v9 :: v_dual_bitop2_b32 v25, 60, v11 bitop3:0x54
	s_delay_alu instid0(SALU_CYCLE_1) | instskip(SKIP_2) | instid1(SALU_CYCLE_1)
	s_cvt_u32_f32 s6, s6
	v_dual_lshlrev_b32 v24, 2, v0 :: v_dual_mov_b32 v0, v9
	v_dual_mov_b32 v2, v9 :: v_dual_mov_b32 v3, v9
	s_mul_i32 s14, s14, s6
	v_dual_mov_b32 v26, 1 :: v_dual_mov_b32 v5, 0
	s_mov_b32 s13, 0
	s_ashr_i32 s1, s7, 31
	s_mov_b32 s0, s7
	s_mul_hi_u32 s19, s6, s14
	s_mul_u64 s[14:15], s[0:1], s[12:13]
	s_add_co_i32 s12, s6, s19
	s_mov_b32 s6, s13
	s_branch .LBB180_10
.LBB180_8:                              ;   in Loop: Header=BB180_10 Depth=1
	s_wait_xcnt 0x0
	s_or_b32 exec_lo, exec_lo, s19
	v_mov_b32_e32 v8, 1
.LBB180_9:                              ;   in Loop: Header=BB180_10 Depth=1
	s_or_b32 exec_lo, exec_lo, s0
	ds_bpermute_b32 v5, v24, v27
	s_wait_storecnt_dscnt 0x0
	v_dual_add_nc_u32 v4, v8, v4 :: v_dual_min_i32 v5, v5, v27
	ds_bpermute_b32 v11, v19, v5
	s_wait_dscnt 0x0
	v_min_i32_e32 v5, v11, v5
	ds_bpermute_b32 v11, v20, v5
	s_wait_dscnt 0x0
	v_min_i32_e32 v5, v11, v5
	;; [unrolled: 3-line block ×3, first 2 shown]
	ds_bpermute_b32 v5, v25, v5
	s_wait_dscnt 0x0
	v_cmp_le_i32_e32 vcc_lo, s5, v5
	s_or_b32 s6, vcc_lo, s6
	s_delay_alu instid0(SALU_CYCLE_1)
	s_and_not1_b32 exec_lo, exec_lo, s6
	s_cbranch_execz .LBB180_21
.LBB180_10:                             ; =>This Loop Header: Depth=1
                                        ;     Child Loop BB180_13 Depth 2
	v_dual_mov_b32 v27, s5 :: v_dual_add_nc_u32 v28, v10, v6
	v_mov_b32_e32 v30, v17
	s_mov_b32 s19, exec_lo
	ds_store_b8 v16, v9 offset:4096
	ds_store_b128 v23, v[0:3]
	s_wait_dscnt 0x0
	v_cmpx_lt_i32_e64 v28, v17
	s_cbranch_execz .LBB180_18
; %bb.11:                               ;   in Loop: Header=BB180_10 Depth=1
	v_dual_ashrrev_i32 v11, 31, v10 :: v_dual_mov_b32 v27, s5
	v_mul_lo_u32 v29, v5, s7
	v_mov_b32_e32 v30, v17
	s_mov_b32 s20, 0
	s_delay_alu instid0(VALU_DEP_3) | instskip(NEXT) | instid1(VALU_DEP_1)
	v_add_nc_u64_e32 v[14:15], v[6:7], v[10:11]
	v_lshl_add_u64 v[10:11], v[14:15], 2, s[10:11]
	v_lshl_add_u64 v[14:15], v[14:15], 4, s[8:9]
	s_branch .LBB180_13
.LBB180_12:                             ;   in Loop: Header=BB180_13 Depth=2
	s_wait_xcnt 0x0
	s_or_b32 exec_lo, exec_lo, s0
	v_add_nc_u32_e32 v28, 8, v28
	s_xor_b32 s21, vcc_lo, -1
	v_add_nc_u64_e32 v[10:11], 32, v[10:11]
	v_add_nc_u64_e32 v[14:15], 0x80, v[14:15]
	s_delay_alu instid0(VALU_DEP_3) | instskip(SKIP_1) | instid1(SALU_CYCLE_1)
	v_cmp_ge_i32_e64 s0, v28, v17
	s_or_b32 s0, s21, s0
	s_and_b32 s0, exec_lo, s0
	s_delay_alu instid0(SALU_CYCLE_1) | instskip(NEXT) | instid1(SALU_CYCLE_1)
	s_or_b32 s20, s0, s20
	s_and_not1_b32 exec_lo, exec_lo, s20
	s_cbranch_execz .LBB180_17
.LBB180_13:                             ;   Parent Loop BB180_10 Depth=1
                                        ; =>  This Inner Loop Header: Depth=2
	global_load_b32 v8, v[10:11], off
	s_wait_loadcnt 0x0
	v_subrev_nc_u32_e32 v31, s16, v8
	s_delay_alu instid0(VALU_DEP_1) | instskip(NEXT) | instid1(VALU_DEP_1)
	v_sub_nc_u32_e32 v8, 0, v31
	v_max_i32_e32 v8, v31, v8
	s_delay_alu instid0(VALU_DEP_1) | instskip(NEXT) | instid1(VALU_DEP_1)
	v_mul_u64_e32 v[32:33], s[12:13], v[8:9]
	v_mul_lo_u32 v32, v33, s18
	s_delay_alu instid0(VALU_DEP_1) | instskip(NEXT) | instid1(VALU_DEP_1)
	v_dual_sub_nc_u32 v8, v8, v32 :: v_dual_add_nc_u32 v32, 1, v33
	v_cmp_le_u32_e32 vcc_lo, s18, v8
	s_delay_alu instid0(VALU_DEP_2) | instskip(SKIP_1) | instid1(VALU_DEP_1)
	v_cndmask_b32_e32 v32, v33, v32, vcc_lo
	v_subrev_nc_u32_e32 v34, s18, v8
	v_dual_cndmask_b32 v8, v8, v34 :: v_dual_ashrrev_i32 v33, 31, v31
	s_delay_alu instid0(VALU_DEP_3) | instskip(NEXT) | instid1(VALU_DEP_2)
	v_add_nc_u32_e32 v34, 1, v32
	v_cmp_le_u32_e32 vcc_lo, s18, v8
	s_delay_alu instid0(VALU_DEP_2) | instskip(NEXT) | instid1(VALU_DEP_1)
	v_dual_cndmask_b32 v8, v32, v34, vcc_lo :: v_dual_bitop2_b32 v33, s1, v33 bitop3:0x14
	v_xor_b32_e32 v8, v8, v33
	s_delay_alu instid0(VALU_DEP_1) | instskip(NEXT) | instid1(VALU_DEP_1)
	v_dual_sub_nc_u32 v32, v8, v33 :: v_dual_mov_b32 v8, v30
	v_cmp_ne_u32_e64 s0, v32, v5
	v_cmp_eq_u32_e32 vcc_lo, v32, v5
	s_wait_xcnt 0x0
	s_and_saveexec_b32 s21, s0
	s_delay_alu instid0(SALU_CYCLE_1)
	s_xor_b32 s0, exec_lo, s21
; %bb.14:                               ;   in Loop: Header=BB180_13 Depth=2
	v_min_i32_e32 v27, v32, v27
                                        ; implicit-def: $vgpr31
                                        ; implicit-def: $vgpr8
; %bb.15:                               ;   in Loop: Header=BB180_13 Depth=2
	s_or_saveexec_b32 s0, s0
	v_mov_b32_e32 v30, v28
	s_xor_b32 exec_lo, exec_lo, s0
	s_cbranch_execz .LBB180_12
; %bb.16:                               ;   in Loop: Header=BB180_13 Depth=2
	global_load_b128 v[32:35], v[14:15], off
	v_sub_nc_u32_e32 v30, v31, v29
	s_delay_alu instid0(VALU_DEP_1)
	v_lshl_add_u32 v31, v30, 4, v18
	v_mov_b32_e32 v30, v8
	ds_store_b8 v16, v26 offset:4096
	s_wait_loadcnt 0x0
	ds_store_2addr_b64 v31, v[32:33], v[34:35] offset1:1
	s_branch .LBB180_12
.LBB180_17:                             ;   in Loop: Header=BB180_10 Depth=1
	s_or_b32 exec_lo, exec_lo, s20
.LBB180_18:                             ;   in Loop: Header=BB180_10 Depth=1
	s_delay_alu instid0(SALU_CYCLE_1)
	s_or_b32 exec_lo, exec_lo, s19
	ds_bpermute_b32 v8, v19, v30
	s_wait_dscnt 0x0
	ds_load_u8 v11, v16 offset:4096
	v_min_i32_e32 v8, v8, v30
	ds_bpermute_b32 v10, v20, v8
	s_wait_dscnt 0x0
	v_min_i32_e32 v8, v10, v8
	ds_bpermute_b32 v10, v21, v8
	s_wait_dscnt 0x0
	v_min_i32_e32 v8, v10, v8
	ds_bpermute_b32 v10, v22, v8
	v_and_b32_e32 v8, 1, v11
	s_delay_alu instid0(VALU_DEP_1)
	v_cmp_eq_u32_e32 vcc_lo, 1, v8
	v_mov_b32_e32 v8, 0
	s_and_saveexec_b32 s0, vcc_lo
	s_cbranch_execz .LBB180_9
; %bb.19:                               ;   in Loop: Header=BB180_10 Depth=1
	v_add_nc_u32_e32 v5, s17, v5
	global_store_b32 v4, v5, s[2:3] scale_offset
	s_wait_xcnt 0x0
	s_and_saveexec_b32 s19, s4
	s_cbranch_execz .LBB180_8
; %bb.20:                               ;   in Loop: Header=BB180_10 Depth=1
	v_ashrrev_i32_e32 v5, 31, v4
	ds_load_2addr_b64 v[28:31], v23 offset1:1
	v_mul_u64_e32 v[14:15], s[14:15], v[4:5]
	s_delay_alu instid0(VALU_DEP_1)
	v_lshl_add_u64 v[14:15], v[14:15], 4, v[12:13]
	s_wait_dscnt 0x0
	global_store_b128 v[14:15], v[28:31], off
	s_branch .LBB180_8
.LBB180_21:
	s_endpgm
	.section	.rodata,"a",@progbits
	.p2align	6, 0x0
	.amdhsa_kernel _ZN9rocsparseL44csr2gebsr_wavefront_per_row_multipass_kernelILi256ELi2ELi8ELi16E21rocsparse_complex_numIdEEEv20rocsparse_direction_iiiiii21rocsparse_index_base_PKT3_PKiS9_S4_PS5_PiSB_
		.amdhsa_group_segment_fixed_size 4112
		.amdhsa_private_segment_fixed_size 0
		.amdhsa_kernarg_size 88
		.amdhsa_user_sgpr_count 2
		.amdhsa_user_sgpr_dispatch_ptr 0
		.amdhsa_user_sgpr_queue_ptr 0
		.amdhsa_user_sgpr_kernarg_segment_ptr 1
		.amdhsa_user_sgpr_dispatch_id 0
		.amdhsa_user_sgpr_kernarg_preload_length 0
		.amdhsa_user_sgpr_kernarg_preload_offset 0
		.amdhsa_user_sgpr_private_segment_size 0
		.amdhsa_wavefront_size32 1
		.amdhsa_uses_dynamic_stack 0
		.amdhsa_enable_private_segment 0
		.amdhsa_system_sgpr_workgroup_id_x 1
		.amdhsa_system_sgpr_workgroup_id_y 0
		.amdhsa_system_sgpr_workgroup_id_z 0
		.amdhsa_system_sgpr_workgroup_info 0
		.amdhsa_system_vgpr_workitem_id 0
		.amdhsa_next_free_vgpr 36
		.amdhsa_next_free_sgpr 22
		.amdhsa_named_barrier_count 0
		.amdhsa_reserve_vcc 1
		.amdhsa_float_round_mode_32 0
		.amdhsa_float_round_mode_16_64 0
		.amdhsa_float_denorm_mode_32 3
		.amdhsa_float_denorm_mode_16_64 3
		.amdhsa_fp16_overflow 0
		.amdhsa_memory_ordered 1
		.amdhsa_forward_progress 1
		.amdhsa_inst_pref_size 11
		.amdhsa_round_robin_scheduling 0
		.amdhsa_exception_fp_ieee_invalid_op 0
		.amdhsa_exception_fp_denorm_src 0
		.amdhsa_exception_fp_ieee_div_zero 0
		.amdhsa_exception_fp_ieee_overflow 0
		.amdhsa_exception_fp_ieee_underflow 0
		.amdhsa_exception_fp_ieee_inexact 0
		.amdhsa_exception_int_div_zero 0
	.end_amdhsa_kernel
	.section	.text._ZN9rocsparseL44csr2gebsr_wavefront_per_row_multipass_kernelILi256ELi2ELi8ELi16E21rocsparse_complex_numIdEEEv20rocsparse_direction_iiiiii21rocsparse_index_base_PKT3_PKiS9_S4_PS5_PiSB_,"axG",@progbits,_ZN9rocsparseL44csr2gebsr_wavefront_per_row_multipass_kernelILi256ELi2ELi8ELi16E21rocsparse_complex_numIdEEEv20rocsparse_direction_iiiiii21rocsparse_index_base_PKT3_PKiS9_S4_PS5_PiSB_,comdat
.Lfunc_end180:
	.size	_ZN9rocsparseL44csr2gebsr_wavefront_per_row_multipass_kernelILi256ELi2ELi8ELi16E21rocsparse_complex_numIdEEEv20rocsparse_direction_iiiiii21rocsparse_index_base_PKT3_PKiS9_S4_PS5_PiSB_, .Lfunc_end180-_ZN9rocsparseL44csr2gebsr_wavefront_per_row_multipass_kernelILi256ELi2ELi8ELi16E21rocsparse_complex_numIdEEEv20rocsparse_direction_iiiiii21rocsparse_index_base_PKT3_PKiS9_S4_PS5_PiSB_
                                        ; -- End function
	.set _ZN9rocsparseL44csr2gebsr_wavefront_per_row_multipass_kernelILi256ELi2ELi8ELi16E21rocsparse_complex_numIdEEEv20rocsparse_direction_iiiiii21rocsparse_index_base_PKT3_PKiS9_S4_PS5_PiSB_.num_vgpr, 36
	.set _ZN9rocsparseL44csr2gebsr_wavefront_per_row_multipass_kernelILi256ELi2ELi8ELi16E21rocsparse_complex_numIdEEEv20rocsparse_direction_iiiiii21rocsparse_index_base_PKT3_PKiS9_S4_PS5_PiSB_.num_agpr, 0
	.set _ZN9rocsparseL44csr2gebsr_wavefront_per_row_multipass_kernelILi256ELi2ELi8ELi16E21rocsparse_complex_numIdEEEv20rocsparse_direction_iiiiii21rocsparse_index_base_PKT3_PKiS9_S4_PS5_PiSB_.numbered_sgpr, 22
	.set _ZN9rocsparseL44csr2gebsr_wavefront_per_row_multipass_kernelILi256ELi2ELi8ELi16E21rocsparse_complex_numIdEEEv20rocsparse_direction_iiiiii21rocsparse_index_base_PKT3_PKiS9_S4_PS5_PiSB_.num_named_barrier, 0
	.set _ZN9rocsparseL44csr2gebsr_wavefront_per_row_multipass_kernelILi256ELi2ELi8ELi16E21rocsparse_complex_numIdEEEv20rocsparse_direction_iiiiii21rocsparse_index_base_PKT3_PKiS9_S4_PS5_PiSB_.private_seg_size, 0
	.set _ZN9rocsparseL44csr2gebsr_wavefront_per_row_multipass_kernelILi256ELi2ELi8ELi16E21rocsparse_complex_numIdEEEv20rocsparse_direction_iiiiii21rocsparse_index_base_PKT3_PKiS9_S4_PS5_PiSB_.uses_vcc, 1
	.set _ZN9rocsparseL44csr2gebsr_wavefront_per_row_multipass_kernelILi256ELi2ELi8ELi16E21rocsparse_complex_numIdEEEv20rocsparse_direction_iiiiii21rocsparse_index_base_PKT3_PKiS9_S4_PS5_PiSB_.uses_flat_scratch, 0
	.set _ZN9rocsparseL44csr2gebsr_wavefront_per_row_multipass_kernelILi256ELi2ELi8ELi16E21rocsparse_complex_numIdEEEv20rocsparse_direction_iiiiii21rocsparse_index_base_PKT3_PKiS9_S4_PS5_PiSB_.has_dyn_sized_stack, 0
	.set _ZN9rocsparseL44csr2gebsr_wavefront_per_row_multipass_kernelILi256ELi2ELi8ELi16E21rocsparse_complex_numIdEEEv20rocsparse_direction_iiiiii21rocsparse_index_base_PKT3_PKiS9_S4_PS5_PiSB_.has_recursion, 0
	.set _ZN9rocsparseL44csr2gebsr_wavefront_per_row_multipass_kernelILi256ELi2ELi8ELi16E21rocsparse_complex_numIdEEEv20rocsparse_direction_iiiiii21rocsparse_index_base_PKT3_PKiS9_S4_PS5_PiSB_.has_indirect_call, 0
	.section	.AMDGPU.csdata,"",@progbits
; Kernel info:
; codeLenInByte = 1408
; TotalNumSgprs: 24
; NumVgprs: 36
; ScratchSize: 0
; MemoryBound: 0
; FloatMode: 240
; IeeeMode: 1
; LDSByteSize: 4112 bytes/workgroup (compile time only)
; SGPRBlocks: 0
; VGPRBlocks: 2
; NumSGPRsForWavesPerEU: 24
; NumVGPRsForWavesPerEU: 36
; NamedBarCnt: 0
; Occupancy: 16
; WaveLimiterHint : 0
; COMPUTE_PGM_RSRC2:SCRATCH_EN: 0
; COMPUTE_PGM_RSRC2:USER_SGPR: 2
; COMPUTE_PGM_RSRC2:TRAP_HANDLER: 0
; COMPUTE_PGM_RSRC2:TGID_X_EN: 1
; COMPUTE_PGM_RSRC2:TGID_Y_EN: 0
; COMPUTE_PGM_RSRC2:TGID_Z_EN: 0
; COMPUTE_PGM_RSRC2:TIDIG_COMP_CNT: 0
	.section	.text._ZN9rocsparseL44csr2gebsr_wavefront_per_row_multipass_kernelILi256ELi2ELi16ELi32E21rocsparse_complex_numIdEEEv20rocsparse_direction_iiiiii21rocsparse_index_base_PKT3_PKiS9_S4_PS5_PiSB_,"axG",@progbits,_ZN9rocsparseL44csr2gebsr_wavefront_per_row_multipass_kernelILi256ELi2ELi16ELi32E21rocsparse_complex_numIdEEEv20rocsparse_direction_iiiiii21rocsparse_index_base_PKT3_PKiS9_S4_PS5_PiSB_,comdat
	.globl	_ZN9rocsparseL44csr2gebsr_wavefront_per_row_multipass_kernelILi256ELi2ELi16ELi32E21rocsparse_complex_numIdEEEv20rocsparse_direction_iiiiii21rocsparse_index_base_PKT3_PKiS9_S4_PS5_PiSB_ ; -- Begin function _ZN9rocsparseL44csr2gebsr_wavefront_per_row_multipass_kernelILi256ELi2ELi16ELi32E21rocsparse_complex_numIdEEEv20rocsparse_direction_iiiiii21rocsparse_index_base_PKT3_PKiS9_S4_PS5_PiSB_
	.p2align	8
	.type	_ZN9rocsparseL44csr2gebsr_wavefront_per_row_multipass_kernelILi256ELi2ELi16ELi32E21rocsparse_complex_numIdEEEv20rocsparse_direction_iiiiii21rocsparse_index_base_PKT3_PKiS9_S4_PS5_PiSB_,@function
_ZN9rocsparseL44csr2gebsr_wavefront_per_row_multipass_kernelILi256ELi2ELi16ELi32E21rocsparse_complex_numIdEEEv20rocsparse_direction_iiiiii21rocsparse_index_base_PKT3_PKiS9_S4_PS5_PiSB_: ; @_ZN9rocsparseL44csr2gebsr_wavefront_per_row_multipass_kernelILi256ELi2ELi16ELi32E21rocsparse_complex_numIdEEEv20rocsparse_direction_iiiiii21rocsparse_index_base_PKT3_PKiS9_S4_PS5_PiSB_
; %bb.0:
	s_clause 0x1
	s_load_b128 s[4:7], s[0:1], 0xc
	s_load_b64 s[12:13], s[0:1], 0x0
	s_bfe_u32 s2, ttmp6, 0x4000c
	s_and_b32 s3, ttmp6, 15
	s_add_co_i32 s2, s2, 1
	s_getreg_b32 s8, hwreg(HW_REG_IB_STS2, 6, 4)
	s_mul_i32 s2, ttmp9, s2
	v_dual_lshrrev_b32 v16, 5, v0 :: v_dual_mov_b32 v4, 0
	s_add_co_i32 s3, s3, s2
	s_cmp_eq_u32 s8, 0
	v_bfe_u32 v1, v0, 4, 1
	s_cselect_b32 s2, ttmp9, s3
	s_clause 0x1
	s_load_b32 s16, s[0:1], 0x1c
	s_load_b64 s[8:9], s[0:1], 0x28
	v_lshl_or_b32 v2, s2, 3, v16
	v_mov_b32_e32 v10, 0
	s_wait_kmcnt 0x0
	s_delay_alu instid0(VALU_DEP_2) | instskip(SKIP_1) | instid1(VALU_DEP_2)
	v_mad_u32 v3, v2, s6, v1
	v_cmp_gt_i32_e32 vcc_lo, s6, v1
	v_cmp_gt_i32_e64 s2, s13, v3
	s_and_b32 s2, vcc_lo, s2
	s_delay_alu instid0(SALU_CYCLE_1)
	s_and_saveexec_b32 s3, s2
	s_cbranch_execz .LBB181_2
; %bb.1:
	global_load_b32 v5, v3, s[8:9] scale_offset
	s_wait_loadcnt 0x0
	v_subrev_nc_u32_e32 v10, s16, v5
.LBB181_2:
	s_or_b32 exec_lo, exec_lo, s3
	v_mov_b32_e32 v17, 0
	s_and_saveexec_b32 s3, s2
	s_cbranch_execz .LBB181_4
; %bb.3:
	global_load_b32 v3, v3, s[8:9] offset:4 scale_offset
	s_wait_loadcnt 0x0
	v_subrev_nc_u32_e32 v17, s16, v3
.LBB181_4:
	s_or_b32 exec_lo, exec_lo, s3
	s_load_b32 s17, s[0:1], 0x38
	s_mov_b32 s3, exec_lo
	v_cmpx_gt_i32_e64 s4, v2
	s_cbranch_execz .LBB181_6
; %bb.5:
	s_load_b64 s[8:9], s[0:1], 0x48
	s_wait_kmcnt 0x0
	global_load_b32 v2, v2, s[8:9] scale_offset
	s_wait_loadcnt 0x0
	v_subrev_nc_u32_e32 v4, s17, v2
.LBB181_6:
	s_or_b32 exec_lo, exec_lo, s3
	s_cmp_lt_i32 s5, 1
	s_cbranch_scc1 .LBB181_21
; %bb.7:
	v_mbcnt_lo_u32_b32 v7, -1, 0
	v_and_b32_e32 v3, 0xe0, v0
	v_dual_lshlrev_b32 v5, 8, v1 :: v_dual_bitop2_b32 v6, 15, v0 bitop3:0x40
	s_clause 0x3
	s_load_b64 s[14:15], s[0:1], 0x40
	s_load_b64 s[2:3], s[0:1], 0x50
	;; [unrolled: 1-line block ×4, first 2 shown]
	v_dual_mov_b32 v9, 0 :: v_dual_bitop2_b32 v0, 8, v7 bitop3:0x14
	v_mul_lo_u32 v2, s7, v1
	v_lshl_or_b32 v18, v3, 4, v5
	v_mul_lo_u32 v8, s6, v6
	s_wait_xcnt 0x0
	v_cmp_gt_i32_e64 s0, 32, v0
	v_xor_b32_e32 v3, 4, v7
	v_xor_b32_e32 v14, 2, v7
	v_lshl_or_b32 v23, v7, 2, 60
	s_mov_b32 s13, 0
	v_cndmask_b32_e64 v5, v7, v0, s0
	v_cmp_gt_i32_e64 s0, 32, v3
	v_dual_mov_b32 v27, 1 :: v_dual_lshlrev_b32 v0, 4, v6
	s_delay_alu instid0(VALU_DEP_2)
	v_dual_lshlrev_b32 v19, 2, v5 :: v_dual_cndmask_b32 v11, v7, v3, s0
	v_ashrrev_i32_e32 v3, 31, v2
	v_cmp_gt_u32_e64 s0, s7, v6
	s_wait_kmcnt 0x0
	v_lshl_add_u64 v[12:13], v[8:9], 4, s[14:15]
	v_dual_mov_b32 v1, v9 :: v_dual_lshlrev_b32 v8, 4, v1
	v_lshl_add_u64 v[2:3], v[2:3], 4, s[14:15]
	s_and_b32 s4, vcc_lo, s0
	v_cmp_gt_i32_e64 s0, 32, v14
	v_xor_b32_e32 v15, 1, v7
	s_cmp_eq_u32 s12, 0
	v_add_nc_u64_e32 v[2:3], v[2:3], v[0:1]
	s_cselect_b32 vcc_lo, -1, 0
	s_abs_i32 s18, s7
	v_cndmask_b32_e64 v1, v7, v14, s0
	v_cmp_gt_i32_e64 s0, 32, v15
	s_cvt_f32_u32 s1, s18
	v_add_nc_u64_e32 v[12:13], v[12:13], v[8:9]
	v_dual_lshlrev_b32 v20, 2, v11 :: v_dual_lshlrev_b32 v21, 2, v1
	v_cndmask_b32_e64 v8, v7, v15, s0
	v_rcp_iflag_f32_e32 v5, s1
	v_xor_b32_e32 v1, 16, v7
	s_mov_b32 s12, s6
	s_delay_alu instid0(VALU_DEP_4) | instskip(SKIP_1) | instid1(VALU_DEP_3)
	v_dual_mov_b32 v26, 0x7c :: v_dual_cndmask_b32 v13, v13, v3
	v_lshlrev_b32_e32 v22, 2, v8
	v_cmp_gt_i32_e64 s0, 32, v1
	s_delay_alu instid0(TRANS32_DEP_1) | instskip(SKIP_1) | instid1(VALU_DEP_3)
	v_readfirstlane_b32 s14, v5
	v_dual_cndmask_b32 v12, v12, v2, vcc_lo :: v_dual_bitop2_b32 v24, v18, v0 bitop3:0x54
	v_dual_mov_b32 v2, v9 :: v_dual_cndmask_b32 v0, v7, v1, s0
	s_mul_f32 s6, s14, 0x4f7ffffe
	s_sub_co_i32 s14, 0, s18
	v_dual_mov_b32 v7, v9 :: v_dual_mov_b32 v1, v9
	s_delay_alu instid0(SALU_CYCLE_1) | instskip(SKIP_2) | instid1(SALU_CYCLE_1)
	s_cvt_u32_f32 s6, s6
	v_dual_mov_b32 v0, v9 :: v_dual_lshlrev_b32 v25, 2, v0
	v_mov_b32_e32 v3, v9
	s_mul_i32 s14, s14, s6
	v_mov_b32_e32 v5, 0
	s_ashr_i32 s1, s7, 31
	s_mov_b32 s0, s7
	s_mul_hi_u32 s19, s6, s14
	s_mul_u64 s[14:15], s[0:1], s[12:13]
	s_add_co_i32 s12, s6, s19
	s_mov_b32 s6, s13
	s_branch .LBB181_10
.LBB181_8:                              ;   in Loop: Header=BB181_10 Depth=1
	s_wait_xcnt 0x0
	s_or_b32 exec_lo, exec_lo, s19
	v_mov_b32_e32 v8, 1
.LBB181_9:                              ;   in Loop: Header=BB181_10 Depth=1
	s_or_b32 exec_lo, exec_lo, s0
	ds_bpermute_b32 v5, v25, v28
	s_wait_storecnt_dscnt 0x0
	v_add_nc_u32_e32 v4, v8, v4
	v_min_i32_e32 v5, v5, v28
	ds_bpermute_b32 v11, v19, v5
	s_wait_dscnt 0x0
	v_min_i32_e32 v5, v11, v5
	ds_bpermute_b32 v11, v20, v5
	s_wait_dscnt 0x0
	;; [unrolled: 3-line block ×5, first 2 shown]
	v_cmp_le_i32_e32 vcc_lo, s5, v5
	s_or_b32 s6, vcc_lo, s6
	s_delay_alu instid0(SALU_CYCLE_1)
	s_and_not1_b32 exec_lo, exec_lo, s6
	s_cbranch_execz .LBB181_21
.LBB181_10:                             ; =>This Loop Header: Depth=1
                                        ;     Child Loop BB181_13 Depth 2
	v_dual_mov_b32 v28, s5 :: v_dual_add_nc_u32 v29, v10, v6
	v_mov_b32_e32 v31, v17
	s_mov_b32 s19, exec_lo
	ds_store_b8 v16, v9 offset:4096
	ds_store_b128 v24, v[0:3]
	s_wait_dscnt 0x0
	v_cmpx_lt_i32_e64 v29, v17
	s_cbranch_execz .LBB181_18
; %bb.11:                               ;   in Loop: Header=BB181_10 Depth=1
	v_dual_mov_b32 v28, s5 :: v_dual_ashrrev_i32 v11, 31, v10
	v_mul_lo_u32 v30, v5, s7
	v_mov_b32_e32 v31, v17
	s_mov_b32 s20, 0
	s_delay_alu instid0(VALU_DEP_3) | instskip(NEXT) | instid1(VALU_DEP_1)
	v_add_nc_u64_e32 v[14:15], v[6:7], v[10:11]
	v_lshl_add_u64 v[10:11], v[14:15], 2, s[10:11]
	v_lshl_add_u64 v[14:15], v[14:15], 4, s[8:9]
	s_branch .LBB181_13
.LBB181_12:                             ;   in Loop: Header=BB181_13 Depth=2
	s_wait_xcnt 0x0
	s_or_b32 exec_lo, exec_lo, s0
	v_add_nc_u32_e32 v29, 16, v29
	s_xor_b32 s21, vcc_lo, -1
	v_add_nc_u64_e32 v[10:11], 64, v[10:11]
	v_add_nc_u64_e32 v[14:15], 0x100, v[14:15]
	s_delay_alu instid0(VALU_DEP_3) | instskip(SKIP_1) | instid1(SALU_CYCLE_1)
	v_cmp_ge_i32_e64 s0, v29, v17
	s_or_b32 s0, s21, s0
	s_and_b32 s0, exec_lo, s0
	s_delay_alu instid0(SALU_CYCLE_1) | instskip(NEXT) | instid1(SALU_CYCLE_1)
	s_or_b32 s20, s0, s20
	s_and_not1_b32 exec_lo, exec_lo, s20
	s_cbranch_execz .LBB181_17
.LBB181_13:                             ;   Parent Loop BB181_10 Depth=1
                                        ; =>  This Inner Loop Header: Depth=2
	global_load_b32 v8, v[10:11], off
	s_wait_loadcnt 0x0
	v_subrev_nc_u32_e32 v32, s16, v8
	s_delay_alu instid0(VALU_DEP_1) | instskip(NEXT) | instid1(VALU_DEP_1)
	v_sub_nc_u32_e32 v8, 0, v32
	v_max_i32_e32 v8, v32, v8
	s_delay_alu instid0(VALU_DEP_1) | instskip(NEXT) | instid1(VALU_DEP_1)
	v_mul_u64_e32 v[34:35], s[12:13], v[8:9]
	v_mul_lo_u32 v33, v35, s18
	s_delay_alu instid0(VALU_DEP_1) | instskip(NEXT) | instid1(VALU_DEP_1)
	v_dual_sub_nc_u32 v8, v8, v33 :: v_dual_add_nc_u32 v33, 1, v35
	v_cmp_le_u32_e32 vcc_lo, s18, v8
	s_delay_alu instid0(VALU_DEP_2) | instskip(SKIP_1) | instid1(VALU_DEP_1)
	v_dual_cndmask_b32 v33, v35, v33, vcc_lo :: v_dual_ashrrev_i32 v35, 31, v32
	v_subrev_nc_u32_e32 v34, s18, v8
	v_dual_cndmask_b32 v8, v8, v34, vcc_lo :: v_dual_add_nc_u32 v34, 1, v33
	s_delay_alu instid0(VALU_DEP_1) | instskip(NEXT) | instid1(VALU_DEP_2)
	v_cmp_le_u32_e32 vcc_lo, s18, v8
	v_dual_cndmask_b32 v8, v33, v34, vcc_lo :: v_dual_bitop2_b32 v35, s1, v35 bitop3:0x14
	s_delay_alu instid0(VALU_DEP_1) | instskip(NEXT) | instid1(VALU_DEP_1)
	v_xor_b32_e32 v8, v8, v35
	v_dual_mov_b32 v8, v31 :: v_dual_sub_nc_u32 v33, v8, v35
	s_delay_alu instid0(VALU_DEP_1) | instskip(SKIP_3) | instid1(SALU_CYCLE_1)
	v_cmp_ne_u32_e64 s0, v33, v5
	v_cmp_eq_u32_e32 vcc_lo, v33, v5
	s_wait_xcnt 0x0
	s_and_saveexec_b32 s21, s0
	s_xor_b32 s0, exec_lo, s21
; %bb.14:                               ;   in Loop: Header=BB181_13 Depth=2
	v_min_i32_e32 v28, v33, v28
                                        ; implicit-def: $vgpr32
                                        ; implicit-def: $vgpr8
; %bb.15:                               ;   in Loop: Header=BB181_13 Depth=2
	s_or_saveexec_b32 s0, s0
	v_mov_b32_e32 v31, v29
	s_xor_b32 exec_lo, exec_lo, s0
	s_cbranch_execz .LBB181_12
; %bb.16:                               ;   in Loop: Header=BB181_13 Depth=2
	global_load_b128 v[34:37], v[14:15], off
	v_sub_nc_u32_e32 v31, v32, v30
	s_delay_alu instid0(VALU_DEP_1)
	v_lshl_add_u32 v32, v31, 4, v18
	v_mov_b32_e32 v31, v8
	ds_store_b8 v16, v27 offset:4096
	s_wait_loadcnt 0x0
	ds_store_2addr_b64 v32, v[34:35], v[36:37] offset1:1
	s_branch .LBB181_12
.LBB181_17:                             ;   in Loop: Header=BB181_10 Depth=1
	s_or_b32 exec_lo, exec_lo, s20
.LBB181_18:                             ;   in Loop: Header=BB181_10 Depth=1
	s_delay_alu instid0(SALU_CYCLE_1)
	s_or_b32 exec_lo, exec_lo, s19
	ds_bpermute_b32 v8, v19, v31
	s_wait_dscnt 0x0
	ds_load_u8 v11, v16 offset:4096
	v_min_i32_e32 v8, v8, v31
	ds_bpermute_b32 v10, v20, v8
	s_wait_dscnt 0x0
	v_min_i32_e32 v8, v10, v8
	ds_bpermute_b32 v10, v21, v8
	s_wait_dscnt 0x0
	;; [unrolled: 3-line block ×3, first 2 shown]
	v_min_i32_e32 v8, v10, v8
	ds_bpermute_b32 v10, v23, v8
	v_and_b32_e32 v8, 1, v11
	s_delay_alu instid0(VALU_DEP_1)
	v_cmp_eq_u32_e32 vcc_lo, 1, v8
	v_mov_b32_e32 v8, 0
	s_and_saveexec_b32 s0, vcc_lo
	s_cbranch_execz .LBB181_9
; %bb.19:                               ;   in Loop: Header=BB181_10 Depth=1
	v_add_nc_u32_e32 v5, s17, v5
	global_store_b32 v4, v5, s[2:3] scale_offset
	s_wait_xcnt 0x0
	s_and_saveexec_b32 s19, s4
	s_cbranch_execz .LBB181_8
; %bb.20:                               ;   in Loop: Header=BB181_10 Depth=1
	v_ashrrev_i32_e32 v5, 31, v4
	ds_load_2addr_b64 v[30:33], v24 offset1:1
	v_mul_u64_e32 v[14:15], s[14:15], v[4:5]
	s_delay_alu instid0(VALU_DEP_1)
	v_lshl_add_u64 v[14:15], v[14:15], 4, v[12:13]
	s_wait_dscnt 0x0
	global_store_b128 v[14:15], v[30:33], off
	s_branch .LBB181_8
.LBB181_21:
	s_endpgm
	.section	.rodata,"a",@progbits
	.p2align	6, 0x0
	.amdhsa_kernel _ZN9rocsparseL44csr2gebsr_wavefront_per_row_multipass_kernelILi256ELi2ELi16ELi32E21rocsparse_complex_numIdEEEv20rocsparse_direction_iiiiii21rocsparse_index_base_PKT3_PKiS9_S4_PS5_PiSB_
		.amdhsa_group_segment_fixed_size 4104
		.amdhsa_private_segment_fixed_size 0
		.amdhsa_kernarg_size 88
		.amdhsa_user_sgpr_count 2
		.amdhsa_user_sgpr_dispatch_ptr 0
		.amdhsa_user_sgpr_queue_ptr 0
		.amdhsa_user_sgpr_kernarg_segment_ptr 1
		.amdhsa_user_sgpr_dispatch_id 0
		.amdhsa_user_sgpr_kernarg_preload_length 0
		.amdhsa_user_sgpr_kernarg_preload_offset 0
		.amdhsa_user_sgpr_private_segment_size 0
		.amdhsa_wavefront_size32 1
		.amdhsa_uses_dynamic_stack 0
		.amdhsa_enable_private_segment 0
		.amdhsa_system_sgpr_workgroup_id_x 1
		.amdhsa_system_sgpr_workgroup_id_y 0
		.amdhsa_system_sgpr_workgroup_id_z 0
		.amdhsa_system_sgpr_workgroup_info 0
		.amdhsa_system_vgpr_workitem_id 0
		.amdhsa_next_free_vgpr 38
		.amdhsa_next_free_sgpr 22
		.amdhsa_named_barrier_count 0
		.amdhsa_reserve_vcc 1
		.amdhsa_float_round_mode_32 0
		.amdhsa_float_round_mode_16_64 0
		.amdhsa_float_denorm_mode_32 3
		.amdhsa_float_denorm_mode_16_64 3
		.amdhsa_fp16_overflow 0
		.amdhsa_memory_ordered 1
		.amdhsa_forward_progress 1
		.amdhsa_inst_pref_size 12
		.amdhsa_round_robin_scheduling 0
		.amdhsa_exception_fp_ieee_invalid_op 0
		.amdhsa_exception_fp_denorm_src 0
		.amdhsa_exception_fp_ieee_div_zero 0
		.amdhsa_exception_fp_ieee_overflow 0
		.amdhsa_exception_fp_ieee_underflow 0
		.amdhsa_exception_fp_ieee_inexact 0
		.amdhsa_exception_int_div_zero 0
	.end_amdhsa_kernel
	.section	.text._ZN9rocsparseL44csr2gebsr_wavefront_per_row_multipass_kernelILi256ELi2ELi16ELi32E21rocsparse_complex_numIdEEEv20rocsparse_direction_iiiiii21rocsparse_index_base_PKT3_PKiS9_S4_PS5_PiSB_,"axG",@progbits,_ZN9rocsparseL44csr2gebsr_wavefront_per_row_multipass_kernelILi256ELi2ELi16ELi32E21rocsparse_complex_numIdEEEv20rocsparse_direction_iiiiii21rocsparse_index_base_PKT3_PKiS9_S4_PS5_PiSB_,comdat
.Lfunc_end181:
	.size	_ZN9rocsparseL44csr2gebsr_wavefront_per_row_multipass_kernelILi256ELi2ELi16ELi32E21rocsparse_complex_numIdEEEv20rocsparse_direction_iiiiii21rocsparse_index_base_PKT3_PKiS9_S4_PS5_PiSB_, .Lfunc_end181-_ZN9rocsparseL44csr2gebsr_wavefront_per_row_multipass_kernelILi256ELi2ELi16ELi32E21rocsparse_complex_numIdEEEv20rocsparse_direction_iiiiii21rocsparse_index_base_PKT3_PKiS9_S4_PS5_PiSB_
                                        ; -- End function
	.set _ZN9rocsparseL44csr2gebsr_wavefront_per_row_multipass_kernelILi256ELi2ELi16ELi32E21rocsparse_complex_numIdEEEv20rocsparse_direction_iiiiii21rocsparse_index_base_PKT3_PKiS9_S4_PS5_PiSB_.num_vgpr, 38
	.set _ZN9rocsparseL44csr2gebsr_wavefront_per_row_multipass_kernelILi256ELi2ELi16ELi32E21rocsparse_complex_numIdEEEv20rocsparse_direction_iiiiii21rocsparse_index_base_PKT3_PKiS9_S4_PS5_PiSB_.num_agpr, 0
	.set _ZN9rocsparseL44csr2gebsr_wavefront_per_row_multipass_kernelILi256ELi2ELi16ELi32E21rocsparse_complex_numIdEEEv20rocsparse_direction_iiiiii21rocsparse_index_base_PKT3_PKiS9_S4_PS5_PiSB_.numbered_sgpr, 22
	.set _ZN9rocsparseL44csr2gebsr_wavefront_per_row_multipass_kernelILi256ELi2ELi16ELi32E21rocsparse_complex_numIdEEEv20rocsparse_direction_iiiiii21rocsparse_index_base_PKT3_PKiS9_S4_PS5_PiSB_.num_named_barrier, 0
	.set _ZN9rocsparseL44csr2gebsr_wavefront_per_row_multipass_kernelILi256ELi2ELi16ELi32E21rocsparse_complex_numIdEEEv20rocsparse_direction_iiiiii21rocsparse_index_base_PKT3_PKiS9_S4_PS5_PiSB_.private_seg_size, 0
	.set _ZN9rocsparseL44csr2gebsr_wavefront_per_row_multipass_kernelILi256ELi2ELi16ELi32E21rocsparse_complex_numIdEEEv20rocsparse_direction_iiiiii21rocsparse_index_base_PKT3_PKiS9_S4_PS5_PiSB_.uses_vcc, 1
	.set _ZN9rocsparseL44csr2gebsr_wavefront_per_row_multipass_kernelILi256ELi2ELi16ELi32E21rocsparse_complex_numIdEEEv20rocsparse_direction_iiiiii21rocsparse_index_base_PKT3_PKiS9_S4_PS5_PiSB_.uses_flat_scratch, 0
	.set _ZN9rocsparseL44csr2gebsr_wavefront_per_row_multipass_kernelILi256ELi2ELi16ELi32E21rocsparse_complex_numIdEEEv20rocsparse_direction_iiiiii21rocsparse_index_base_PKT3_PKiS9_S4_PS5_PiSB_.has_dyn_sized_stack, 0
	.set _ZN9rocsparseL44csr2gebsr_wavefront_per_row_multipass_kernelILi256ELi2ELi16ELi32E21rocsparse_complex_numIdEEEv20rocsparse_direction_iiiiii21rocsparse_index_base_PKT3_PKiS9_S4_PS5_PiSB_.has_recursion, 0
	.set _ZN9rocsparseL44csr2gebsr_wavefront_per_row_multipass_kernelILi256ELi2ELi16ELi32E21rocsparse_complex_numIdEEEv20rocsparse_direction_iiiiii21rocsparse_index_base_PKT3_PKiS9_S4_PS5_PiSB_.has_indirect_call, 0
	.section	.AMDGPU.csdata,"",@progbits
; Kernel info:
; codeLenInByte = 1452
; TotalNumSgprs: 24
; NumVgprs: 38
; ScratchSize: 0
; MemoryBound: 0
; FloatMode: 240
; IeeeMode: 1
; LDSByteSize: 4104 bytes/workgroup (compile time only)
; SGPRBlocks: 0
; VGPRBlocks: 2
; NumSGPRsForWavesPerEU: 24
; NumVGPRsForWavesPerEU: 38
; NamedBarCnt: 0
; Occupancy: 16
; WaveLimiterHint : 0
; COMPUTE_PGM_RSRC2:SCRATCH_EN: 0
; COMPUTE_PGM_RSRC2:USER_SGPR: 2
; COMPUTE_PGM_RSRC2:TRAP_HANDLER: 0
; COMPUTE_PGM_RSRC2:TGID_X_EN: 1
; COMPUTE_PGM_RSRC2:TGID_Y_EN: 0
; COMPUTE_PGM_RSRC2:TGID_Z_EN: 0
; COMPUTE_PGM_RSRC2:TIDIG_COMP_CNT: 0
	.section	.text._ZN9rocsparseL44csr2gebsr_wavefront_per_row_multipass_kernelILi256ELi2ELi32ELi64E21rocsparse_complex_numIdEEEv20rocsparse_direction_iiiiii21rocsparse_index_base_PKT3_PKiS9_S4_PS5_PiSB_,"axG",@progbits,_ZN9rocsparseL44csr2gebsr_wavefront_per_row_multipass_kernelILi256ELi2ELi32ELi64E21rocsparse_complex_numIdEEEv20rocsparse_direction_iiiiii21rocsparse_index_base_PKT3_PKiS9_S4_PS5_PiSB_,comdat
	.globl	_ZN9rocsparseL44csr2gebsr_wavefront_per_row_multipass_kernelILi256ELi2ELi32ELi64E21rocsparse_complex_numIdEEEv20rocsparse_direction_iiiiii21rocsparse_index_base_PKT3_PKiS9_S4_PS5_PiSB_ ; -- Begin function _ZN9rocsparseL44csr2gebsr_wavefront_per_row_multipass_kernelILi256ELi2ELi32ELi64E21rocsparse_complex_numIdEEEv20rocsparse_direction_iiiiii21rocsparse_index_base_PKT3_PKiS9_S4_PS5_PiSB_
	.p2align	8
	.type	_ZN9rocsparseL44csr2gebsr_wavefront_per_row_multipass_kernelILi256ELi2ELi32ELi64E21rocsparse_complex_numIdEEEv20rocsparse_direction_iiiiii21rocsparse_index_base_PKT3_PKiS9_S4_PS5_PiSB_,@function
_ZN9rocsparseL44csr2gebsr_wavefront_per_row_multipass_kernelILi256ELi2ELi32ELi64E21rocsparse_complex_numIdEEEv20rocsparse_direction_iiiiii21rocsparse_index_base_PKT3_PKiS9_S4_PS5_PiSB_: ; @_ZN9rocsparseL44csr2gebsr_wavefront_per_row_multipass_kernelILi256ELi2ELi32ELi64E21rocsparse_complex_numIdEEEv20rocsparse_direction_iiiiii21rocsparse_index_base_PKT3_PKiS9_S4_PS5_PiSB_
; %bb.0:
	s_clause 0x1
	s_load_b128 s[4:7], s[0:1], 0xc
	s_load_b64 s[12:13], s[0:1], 0x0
	s_bfe_u32 s2, ttmp6, 0x4000c
	s_and_b32 s3, ttmp6, 15
	s_add_co_i32 s2, s2, 1
	s_getreg_b32 s8, hwreg(HW_REG_IB_STS2, 6, 4)
	s_mul_i32 s2, ttmp9, s2
	v_dual_lshrrev_b32 v16, 6, v0 :: v_dual_mov_b32 v4, 0
	s_add_co_i32 s3, s3, s2
	s_cmp_eq_u32 s8, 0
	v_bfe_u32 v1, v0, 5, 1
	s_cselect_b32 s2, ttmp9, s3
	s_clause 0x1
	s_load_b32 s16, s[0:1], 0x1c
	s_load_b64 s[8:9], s[0:1], 0x28
	v_lshl_or_b32 v2, s2, 2, v16
	v_mov_b32_e32 v10, 0
	s_wait_kmcnt 0x0
	s_delay_alu instid0(VALU_DEP_2) | instskip(SKIP_1) | instid1(VALU_DEP_2)
	v_mad_u32 v3, v2, s6, v1
	v_cmp_gt_i32_e32 vcc_lo, s6, v1
	v_cmp_gt_i32_e64 s2, s13, v3
	s_and_b32 s2, vcc_lo, s2
	s_delay_alu instid0(SALU_CYCLE_1)
	s_and_saveexec_b32 s3, s2
	s_cbranch_execz .LBB182_2
; %bb.1:
	global_load_b32 v5, v3, s[8:9] scale_offset
	s_wait_loadcnt 0x0
	v_subrev_nc_u32_e32 v10, s16, v5
.LBB182_2:
	s_or_b32 exec_lo, exec_lo, s3
	v_mov_b32_e32 v17, 0
	s_and_saveexec_b32 s3, s2
	s_cbranch_execz .LBB182_4
; %bb.3:
	global_load_b32 v3, v3, s[8:9] offset:4 scale_offset
	s_wait_loadcnt 0x0
	v_subrev_nc_u32_e32 v17, s16, v3
.LBB182_4:
	s_or_b32 exec_lo, exec_lo, s3
	s_load_b32 s17, s[0:1], 0x38
	s_mov_b32 s3, exec_lo
	v_cmpx_gt_i32_e64 s4, v2
	s_cbranch_execz .LBB182_6
; %bb.5:
	s_load_b64 s[8:9], s[0:1], 0x48
	s_wait_kmcnt 0x0
	global_load_b32 v2, v2, s[8:9] scale_offset
	s_wait_loadcnt 0x0
	v_subrev_nc_u32_e32 v4, s17, v2
.LBB182_6:
	s_or_b32 exec_lo, exec_lo, s3
	s_cmp_lt_i32 s5, 1
	s_cbranch_scc1 .LBB182_21
; %bb.7:
	v_mbcnt_lo_u32_b32 v5, -1, 0
	v_and_b32_e32 v2, 0xc0, v0
	v_dual_lshlrev_b32 v3, 9, v1 :: v_dual_bitop2_b32 v6, 31, v0 bitop3:0x40
	s_clause 0x3
	s_load_b64 s[2:3], s[0:1], 0x50
	s_load_b64 s[14:15], s[0:1], 0x40
	;; [unrolled: 1-line block ×4, first 2 shown]
	v_xor_b32_e32 v7, 16, v5
	v_bfrev_b32_e32 v27, 0.5
	v_lshl_or_b32 v18, v2, 4, v3
	v_mul_lo_u32 v2, s7, v1
	v_mul_lo_u32 v8, s6, v6
	s_wait_xcnt 0x0
	v_cmp_gt_i32_e64 s0, 32, v7
	v_dual_mov_b32 v28, 1 :: v_dual_bitop2_b32 v14, 2, v5 bitop3:0x14
	s_mov_b32 s13, 0
	v_dual_cndmask_b32 v0, v5, v7, s0 :: v_dual_bitop2_b32 v3, 8, v5 bitop3:0x14
	v_dual_mov_b32 v9, 0 :: v_dual_bitop2_b32 v15, 1, v5 bitop3:0x14
	s_delay_alu instid0(VALU_DEP_2) | instskip(NEXT) | instid1(VALU_DEP_3)
	v_cmp_gt_i32_e64 s0, 32, v3
	v_dual_lshlrev_b32 v19, 2, v0 :: v_dual_bitop2_b32 v7, 4, v5 bitop3:0x14
	v_lshlrev_b32_e32 v0, 4, v6
	s_wait_kmcnt 0x0
	v_lshl_add_u64 v[12:13], v[8:9], 4, s[14:15]
	v_cndmask_b32_e64 v11, v5, v3, s0
	v_cmp_gt_i32_e64 s0, 32, v7
	v_dual_ashrrev_i32 v3, 31, v2 :: v_dual_lshlrev_b32 v8, 4, v1
	v_mov_b32_e32 v1, v9
	s_delay_alu instid0(VALU_DEP_3) | instskip(SKIP_1) | instid1(VALU_DEP_4)
	v_cndmask_b32_e64 v7, v5, v7, s0
	v_cmp_gt_u32_e64 s0, s7, v6
	v_lshl_add_u64 v[2:3], v[2:3], 4, s[14:15]
	v_add_nc_u64_e32 v[12:13], v[12:13], v[8:9]
	s_and_b32 s4, vcc_lo, s0
	v_cmp_gt_i32_e64 s0, 32, v14
	s_cmp_eq_u32 s12, 0
	v_add_nc_u64_e32 v[2:3], v[2:3], v[0:1]
	s_cselect_b32 vcc_lo, -1, 0
	s_abs_i32 s18, s7
	v_cndmask_b32_e64 v1, v5, v14, s0
	v_cmp_gt_i32_e64 s0, 32, v15
	s_cvt_f32_u32 s1, s18
	s_mov_b32 s12, s6
	v_dual_mov_b32 v24, 0x7c :: v_dual_cndmask_b32 v13, v13, v3
	v_cndmask_b32_e64 v8, v5, v15, s0
	v_dual_lshlrev_b32 v20, 2, v11 :: v_dual_lshlrev_b32 v22, 2, v1
	v_rcp_iflag_f32_e32 v11, s1
	v_dual_lshlrev_b32 v21, 2, v7 :: v_dual_bitop2_b32 v1, 32, v5 bitop3:0x54
	s_delay_alu instid0(VALU_DEP_3) | instskip(SKIP_1) | instid1(VALU_DEP_2)
	v_dual_lshlrev_b32 v23, 2, v8 :: v_dual_mov_b32 v7, v9
	s_ashr_i32 s1, s7, 31
	v_cmp_gt_i32_e64 s0, 32, v1
	s_delay_alu instid0(TRANS32_DEP_1)
	v_readfirstlane_b32 s14, v11
	v_dual_cndmask_b32 v12, v12, v2, vcc_lo :: v_dual_bitop2_b32 v25, v18, v0 bitop3:0x54
	v_dual_mov_b32 v2, v9 :: v_dual_mov_b32 v3, v9
	s_mul_f32 s6, s14, 0x4f7ffffe
	v_cndmask_b32_e64 v0, v5, v1, s0
	s_sub_co_i32 s14, 0, s18
	v_mov_b32_e32 v1, v9
	s_cvt_u32_f32 s6, s6
	s_delay_alu instid0(VALU_DEP_2) | instskip(SKIP_1) | instid1(SALU_CYCLE_1)
	v_dual_mov_b32 v5, 0 :: v_dual_lshlrev_b32 v26, 2, v0
	v_mov_b32_e32 v0, v9
	s_mul_i32 s14, s14, s6
	s_mov_b32 s0, s7
	s_mul_hi_u32 s19, s6, s14
	s_mul_u64 s[14:15], s[0:1], s[12:13]
	s_add_co_i32 s12, s6, s19
	s_mov_b32 s6, s13
	s_branch .LBB182_10
.LBB182_8:                              ;   in Loop: Header=BB182_10 Depth=1
	s_wait_xcnt 0x0
	s_or_b32 exec_lo, exec_lo, s19
	v_mov_b32_e32 v8, 1
.LBB182_9:                              ;   in Loop: Header=BB182_10 Depth=1
	s_or_b32 exec_lo, exec_lo, s0
	ds_bpermute_b32 v5, v26, v29
	s_wait_storecnt_dscnt 0x0
	v_dual_add_nc_u32 v4, v8, v4 :: v_dual_min_i32 v5, v5, v29
	ds_bpermute_b32 v11, v19, v5
	s_wait_dscnt 0x0
	v_min_i32_e32 v5, v11, v5
	ds_bpermute_b32 v11, v20, v5
	s_wait_dscnt 0x0
	v_min_i32_e32 v5, v11, v5
	;; [unrolled: 3-line block ×5, first 2 shown]
	ds_bpermute_b32 v5, v27, v5
	s_wait_dscnt 0x0
	v_cmp_le_i32_e32 vcc_lo, s5, v5
	s_or_b32 s6, vcc_lo, s6
	s_delay_alu instid0(SALU_CYCLE_1)
	s_and_not1_b32 exec_lo, exec_lo, s6
	s_cbranch_execz .LBB182_21
.LBB182_10:                             ; =>This Loop Header: Depth=1
                                        ;     Child Loop BB182_13 Depth 2
	v_dual_mov_b32 v29, s5 :: v_dual_add_nc_u32 v30, v10, v6
	v_mov_b32_e32 v32, v17
	s_mov_b32 s19, exec_lo
	ds_store_b8 v16, v9 offset:4096
	ds_store_b128 v25, v[0:3]
	s_wait_dscnt 0x0
	v_cmpx_lt_i32_e64 v30, v17
	s_cbranch_execz .LBB182_18
; %bb.11:                               ;   in Loop: Header=BB182_10 Depth=1
	v_dual_ashrrev_i32 v11, 31, v10 :: v_dual_mov_b32 v29, s5
	v_mul_lo_u32 v31, v5, s7
	v_mov_b32_e32 v32, v17
	s_mov_b32 s20, 0
	s_delay_alu instid0(VALU_DEP_3) | instskip(NEXT) | instid1(VALU_DEP_1)
	v_add_nc_u64_e32 v[14:15], v[6:7], v[10:11]
	v_lshl_add_u64 v[10:11], v[14:15], 2, s[10:11]
	v_lshl_add_u64 v[14:15], v[14:15], 4, s[8:9]
	s_branch .LBB182_13
.LBB182_12:                             ;   in Loop: Header=BB182_13 Depth=2
	s_wait_xcnt 0x0
	s_or_b32 exec_lo, exec_lo, s0
	v_add_nc_u32_e32 v30, 32, v30
	s_xor_b32 s21, vcc_lo, -1
	v_add_nc_u64_e32 v[10:11], 0x80, v[10:11]
	v_add_nc_u64_e32 v[14:15], 0x200, v[14:15]
	s_delay_alu instid0(VALU_DEP_3) | instskip(SKIP_1) | instid1(SALU_CYCLE_1)
	v_cmp_ge_i32_e64 s0, v30, v17
	s_or_b32 s0, s21, s0
	s_and_b32 s0, exec_lo, s0
	s_delay_alu instid0(SALU_CYCLE_1) | instskip(NEXT) | instid1(SALU_CYCLE_1)
	s_or_b32 s20, s0, s20
	s_and_not1_b32 exec_lo, exec_lo, s20
	s_cbranch_execz .LBB182_17
.LBB182_13:                             ;   Parent Loop BB182_10 Depth=1
                                        ; =>  This Inner Loop Header: Depth=2
	global_load_b32 v8, v[10:11], off
	s_wait_loadcnt 0x0
	v_subrev_nc_u32_e32 v33, s16, v8
	s_delay_alu instid0(VALU_DEP_1) | instskip(NEXT) | instid1(VALU_DEP_1)
	v_sub_nc_u32_e32 v8, 0, v33
	v_max_i32_e32 v8, v33, v8
	s_delay_alu instid0(VALU_DEP_1) | instskip(NEXT) | instid1(VALU_DEP_1)
	v_mul_u64_e32 v[34:35], s[12:13], v[8:9]
	v_mul_lo_u32 v34, v35, s18
	s_delay_alu instid0(VALU_DEP_1) | instskip(NEXT) | instid1(VALU_DEP_1)
	v_dual_sub_nc_u32 v8, v8, v34 :: v_dual_add_nc_u32 v34, 1, v35
	v_cmp_le_u32_e32 vcc_lo, s18, v8
	s_delay_alu instid0(VALU_DEP_2) | instskip(SKIP_1) | instid1(VALU_DEP_1)
	v_dual_cndmask_b32 v34, v35, v34 :: v_dual_ashrrev_i32 v35, 31, v33
	v_subrev_nc_u32_e32 v36, s18, v8
	v_dual_cndmask_b32 v8, v8, v36, vcc_lo :: v_dual_add_nc_u32 v36, 1, v34
	s_delay_alu instid0(VALU_DEP_1) | instskip(NEXT) | instid1(VALU_DEP_2)
	v_cmp_le_u32_e32 vcc_lo, s18, v8
	v_dual_cndmask_b32 v8, v34, v36, vcc_lo :: v_dual_bitop2_b32 v35, s1, v35 bitop3:0x14
	s_delay_alu instid0(VALU_DEP_1) | instskip(NEXT) | instid1(VALU_DEP_1)
	v_xor_b32_e32 v8, v8, v35
	v_sub_nc_u32_e32 v34, v8, v35
	v_mov_b32_e32 v8, v32
	s_delay_alu instid0(VALU_DEP_2) | instskip(SKIP_3) | instid1(SALU_CYCLE_1)
	v_cmp_ne_u32_e64 s0, v34, v5
	v_cmp_eq_u32_e32 vcc_lo, v34, v5
	s_wait_xcnt 0x0
	s_and_saveexec_b32 s21, s0
	s_xor_b32 s0, exec_lo, s21
; %bb.14:                               ;   in Loop: Header=BB182_13 Depth=2
	v_min_i32_e32 v29, v34, v29
                                        ; implicit-def: $vgpr33
                                        ; implicit-def: $vgpr8
; %bb.15:                               ;   in Loop: Header=BB182_13 Depth=2
	s_or_saveexec_b32 s0, s0
	v_mov_b32_e32 v32, v30
	s_xor_b32 exec_lo, exec_lo, s0
	s_cbranch_execz .LBB182_12
; %bb.16:                               ;   in Loop: Header=BB182_13 Depth=2
	global_load_b128 v[34:37], v[14:15], off
	v_sub_nc_u32_e32 v32, v33, v31
	s_delay_alu instid0(VALU_DEP_1)
	v_lshl_add_u32 v33, v32, 4, v18
	v_mov_b32_e32 v32, v8
	ds_store_b8 v16, v28 offset:4096
	s_wait_loadcnt 0x0
	ds_store_2addr_b64 v33, v[34:35], v[36:37] offset1:1
	s_branch .LBB182_12
.LBB182_17:                             ;   in Loop: Header=BB182_10 Depth=1
	s_or_b32 exec_lo, exec_lo, s20
.LBB182_18:                             ;   in Loop: Header=BB182_10 Depth=1
	s_delay_alu instid0(SALU_CYCLE_1)
	s_or_b32 exec_lo, exec_lo, s19
	ds_bpermute_b32 v8, v19, v32
	s_wait_dscnt 0x0
	ds_load_u8 v11, v16 offset:4096
	v_min_i32_e32 v8, v8, v32
	ds_bpermute_b32 v10, v20, v8
	s_wait_dscnt 0x0
	v_min_i32_e32 v8, v10, v8
	ds_bpermute_b32 v10, v21, v8
	s_wait_dscnt 0x0
	;; [unrolled: 3-line block ×4, first 2 shown]
	v_min_i32_e32 v8, v10, v8
	ds_bpermute_b32 v10, v24, v8
	v_and_b32_e32 v8, 1, v11
	s_delay_alu instid0(VALU_DEP_1)
	v_cmp_eq_u32_e32 vcc_lo, 1, v8
	v_mov_b32_e32 v8, 0
	s_and_saveexec_b32 s0, vcc_lo
	s_cbranch_execz .LBB182_9
; %bb.19:                               ;   in Loop: Header=BB182_10 Depth=1
	v_add_nc_u32_e32 v5, s17, v5
	global_store_b32 v4, v5, s[2:3] scale_offset
	s_wait_xcnt 0x0
	s_and_saveexec_b32 s19, s4
	s_cbranch_execz .LBB182_8
; %bb.20:                               ;   in Loop: Header=BB182_10 Depth=1
	v_ashrrev_i32_e32 v5, 31, v4
	ds_load_2addr_b64 v[30:33], v25 offset1:1
	v_mul_u64_e32 v[14:15], s[14:15], v[4:5]
	s_delay_alu instid0(VALU_DEP_1)
	v_lshl_add_u64 v[14:15], v[14:15], 4, v[12:13]
	s_wait_dscnt 0x0
	global_store_b128 v[14:15], v[30:33], off
	s_branch .LBB182_8
.LBB182_21:
	s_endpgm
	.section	.rodata,"a",@progbits
	.p2align	6, 0x0
	.amdhsa_kernel _ZN9rocsparseL44csr2gebsr_wavefront_per_row_multipass_kernelILi256ELi2ELi32ELi64E21rocsparse_complex_numIdEEEv20rocsparse_direction_iiiiii21rocsparse_index_base_PKT3_PKiS9_S4_PS5_PiSB_
		.amdhsa_group_segment_fixed_size 4104
		.amdhsa_private_segment_fixed_size 0
		.amdhsa_kernarg_size 88
		.amdhsa_user_sgpr_count 2
		.amdhsa_user_sgpr_dispatch_ptr 0
		.amdhsa_user_sgpr_queue_ptr 0
		.amdhsa_user_sgpr_kernarg_segment_ptr 1
		.amdhsa_user_sgpr_dispatch_id 0
		.amdhsa_user_sgpr_kernarg_preload_length 0
		.amdhsa_user_sgpr_kernarg_preload_offset 0
		.amdhsa_user_sgpr_private_segment_size 0
		.amdhsa_wavefront_size32 1
		.amdhsa_uses_dynamic_stack 0
		.amdhsa_enable_private_segment 0
		.amdhsa_system_sgpr_workgroup_id_x 1
		.amdhsa_system_sgpr_workgroup_id_y 0
		.amdhsa_system_sgpr_workgroup_id_z 0
		.amdhsa_system_sgpr_workgroup_info 0
		.amdhsa_system_vgpr_workitem_id 0
		.amdhsa_next_free_vgpr 38
		.amdhsa_next_free_sgpr 22
		.amdhsa_named_barrier_count 0
		.amdhsa_reserve_vcc 1
		.amdhsa_float_round_mode_32 0
		.amdhsa_float_round_mode_16_64 0
		.amdhsa_float_denorm_mode_32 3
		.amdhsa_float_denorm_mode_16_64 3
		.amdhsa_fp16_overflow 0
		.amdhsa_memory_ordered 1
		.amdhsa_forward_progress 1
		.amdhsa_inst_pref_size 12
		.amdhsa_round_robin_scheduling 0
		.amdhsa_exception_fp_ieee_invalid_op 0
		.amdhsa_exception_fp_denorm_src 0
		.amdhsa_exception_fp_ieee_div_zero 0
		.amdhsa_exception_fp_ieee_overflow 0
		.amdhsa_exception_fp_ieee_underflow 0
		.amdhsa_exception_fp_ieee_inexact 0
		.amdhsa_exception_int_div_zero 0
	.end_amdhsa_kernel
	.section	.text._ZN9rocsparseL44csr2gebsr_wavefront_per_row_multipass_kernelILi256ELi2ELi32ELi64E21rocsparse_complex_numIdEEEv20rocsparse_direction_iiiiii21rocsparse_index_base_PKT3_PKiS9_S4_PS5_PiSB_,"axG",@progbits,_ZN9rocsparseL44csr2gebsr_wavefront_per_row_multipass_kernelILi256ELi2ELi32ELi64E21rocsparse_complex_numIdEEEv20rocsparse_direction_iiiiii21rocsparse_index_base_PKT3_PKiS9_S4_PS5_PiSB_,comdat
.Lfunc_end182:
	.size	_ZN9rocsparseL44csr2gebsr_wavefront_per_row_multipass_kernelILi256ELi2ELi32ELi64E21rocsparse_complex_numIdEEEv20rocsparse_direction_iiiiii21rocsparse_index_base_PKT3_PKiS9_S4_PS5_PiSB_, .Lfunc_end182-_ZN9rocsparseL44csr2gebsr_wavefront_per_row_multipass_kernelILi256ELi2ELi32ELi64E21rocsparse_complex_numIdEEEv20rocsparse_direction_iiiiii21rocsparse_index_base_PKT3_PKiS9_S4_PS5_PiSB_
                                        ; -- End function
	.set _ZN9rocsparseL44csr2gebsr_wavefront_per_row_multipass_kernelILi256ELi2ELi32ELi64E21rocsparse_complex_numIdEEEv20rocsparse_direction_iiiiii21rocsparse_index_base_PKT3_PKiS9_S4_PS5_PiSB_.num_vgpr, 38
	.set _ZN9rocsparseL44csr2gebsr_wavefront_per_row_multipass_kernelILi256ELi2ELi32ELi64E21rocsparse_complex_numIdEEEv20rocsparse_direction_iiiiii21rocsparse_index_base_PKT3_PKiS9_S4_PS5_PiSB_.num_agpr, 0
	.set _ZN9rocsparseL44csr2gebsr_wavefront_per_row_multipass_kernelILi256ELi2ELi32ELi64E21rocsparse_complex_numIdEEEv20rocsparse_direction_iiiiii21rocsparse_index_base_PKT3_PKiS9_S4_PS5_PiSB_.numbered_sgpr, 22
	.set _ZN9rocsparseL44csr2gebsr_wavefront_per_row_multipass_kernelILi256ELi2ELi32ELi64E21rocsparse_complex_numIdEEEv20rocsparse_direction_iiiiii21rocsparse_index_base_PKT3_PKiS9_S4_PS5_PiSB_.num_named_barrier, 0
	.set _ZN9rocsparseL44csr2gebsr_wavefront_per_row_multipass_kernelILi256ELi2ELi32ELi64E21rocsparse_complex_numIdEEEv20rocsparse_direction_iiiiii21rocsparse_index_base_PKT3_PKiS9_S4_PS5_PiSB_.private_seg_size, 0
	.set _ZN9rocsparseL44csr2gebsr_wavefront_per_row_multipass_kernelILi256ELi2ELi32ELi64E21rocsparse_complex_numIdEEEv20rocsparse_direction_iiiiii21rocsparse_index_base_PKT3_PKiS9_S4_PS5_PiSB_.uses_vcc, 1
	.set _ZN9rocsparseL44csr2gebsr_wavefront_per_row_multipass_kernelILi256ELi2ELi32ELi64E21rocsparse_complex_numIdEEEv20rocsparse_direction_iiiiii21rocsparse_index_base_PKT3_PKiS9_S4_PS5_PiSB_.uses_flat_scratch, 0
	.set _ZN9rocsparseL44csr2gebsr_wavefront_per_row_multipass_kernelILi256ELi2ELi32ELi64E21rocsparse_complex_numIdEEEv20rocsparse_direction_iiiiii21rocsparse_index_base_PKT3_PKiS9_S4_PS5_PiSB_.has_dyn_sized_stack, 0
	.set _ZN9rocsparseL44csr2gebsr_wavefront_per_row_multipass_kernelILi256ELi2ELi32ELi64E21rocsparse_complex_numIdEEEv20rocsparse_direction_iiiiii21rocsparse_index_base_PKT3_PKiS9_S4_PS5_PiSB_.has_recursion, 0
	.set _ZN9rocsparseL44csr2gebsr_wavefront_per_row_multipass_kernelILi256ELi2ELi32ELi64E21rocsparse_complex_numIdEEEv20rocsparse_direction_iiiiii21rocsparse_index_base_PKT3_PKiS9_S4_PS5_PiSB_.has_indirect_call, 0
	.section	.AMDGPU.csdata,"",@progbits
; Kernel info:
; codeLenInByte = 1532
; TotalNumSgprs: 24
; NumVgprs: 38
; ScratchSize: 0
; MemoryBound: 0
; FloatMode: 240
; IeeeMode: 1
; LDSByteSize: 4104 bytes/workgroup (compile time only)
; SGPRBlocks: 0
; VGPRBlocks: 2
; NumSGPRsForWavesPerEU: 24
; NumVGPRsForWavesPerEU: 38
; NamedBarCnt: 0
; Occupancy: 16
; WaveLimiterHint : 0
; COMPUTE_PGM_RSRC2:SCRATCH_EN: 0
; COMPUTE_PGM_RSRC2:USER_SGPR: 2
; COMPUTE_PGM_RSRC2:TRAP_HANDLER: 0
; COMPUTE_PGM_RSRC2:TGID_X_EN: 1
; COMPUTE_PGM_RSRC2:TGID_Y_EN: 0
; COMPUTE_PGM_RSRC2:TGID_Z_EN: 0
; COMPUTE_PGM_RSRC2:TIDIG_COMP_CNT: 0
	.section	.text._ZN9rocsparseL44csr2gebsr_wavefront_per_row_multipass_kernelILi256ELi2ELi32ELi32E21rocsparse_complex_numIdEEEv20rocsparse_direction_iiiiii21rocsparse_index_base_PKT3_PKiS9_S4_PS5_PiSB_,"axG",@progbits,_ZN9rocsparseL44csr2gebsr_wavefront_per_row_multipass_kernelILi256ELi2ELi32ELi32E21rocsparse_complex_numIdEEEv20rocsparse_direction_iiiiii21rocsparse_index_base_PKT3_PKiS9_S4_PS5_PiSB_,comdat
	.globl	_ZN9rocsparseL44csr2gebsr_wavefront_per_row_multipass_kernelILi256ELi2ELi32ELi32E21rocsparse_complex_numIdEEEv20rocsparse_direction_iiiiii21rocsparse_index_base_PKT3_PKiS9_S4_PS5_PiSB_ ; -- Begin function _ZN9rocsparseL44csr2gebsr_wavefront_per_row_multipass_kernelILi256ELi2ELi32ELi32E21rocsparse_complex_numIdEEEv20rocsparse_direction_iiiiii21rocsparse_index_base_PKT3_PKiS9_S4_PS5_PiSB_
	.p2align	8
	.type	_ZN9rocsparseL44csr2gebsr_wavefront_per_row_multipass_kernelILi256ELi2ELi32ELi32E21rocsparse_complex_numIdEEEv20rocsparse_direction_iiiiii21rocsparse_index_base_PKT3_PKiS9_S4_PS5_PiSB_,@function
_ZN9rocsparseL44csr2gebsr_wavefront_per_row_multipass_kernelILi256ELi2ELi32ELi32E21rocsparse_complex_numIdEEEv20rocsparse_direction_iiiiii21rocsparse_index_base_PKT3_PKiS9_S4_PS5_PiSB_: ; @_ZN9rocsparseL44csr2gebsr_wavefront_per_row_multipass_kernelILi256ELi2ELi32ELi32E21rocsparse_complex_numIdEEEv20rocsparse_direction_iiiiii21rocsparse_index_base_PKT3_PKiS9_S4_PS5_PiSB_
; %bb.0:
	s_clause 0x1
	s_load_b128 s[4:7], s[0:1], 0xc
	s_load_b64 s[14:15], s[0:1], 0x0
	s_bfe_u32 s2, ttmp6, 0x4000c
	s_and_b32 s3, ttmp6, 15
	s_add_co_i32 s2, s2, 1
	s_getreg_b32 s8, hwreg(HW_REG_IB_STS2, 6, 4)
	s_mul_i32 s2, ttmp9, s2
	v_dual_lshrrev_b32 v22, 5, v0 :: v_dual_mov_b32 v4, 0
	s_add_co_i32 s3, s3, s2
	s_cmp_eq_u32 s8, 0
	v_bfe_u32 v1, v0, 4, 1
	s_cselect_b32 s2, ttmp9, s3
	s_clause 0x1
	s_load_b32 s18, s[0:1], 0x1c
	s_load_b64 s[8:9], s[0:1], 0x28
	v_lshl_or_b32 v2, s2, 3, v22
	v_mov_b32_e32 v20, 0
	s_wait_kmcnt 0x0
	s_delay_alu instid0(VALU_DEP_2) | instskip(SKIP_1) | instid1(VALU_DEP_2)
	v_mad_u32 v3, v2, s6, v1
	v_cmp_gt_i32_e32 vcc_lo, s6, v1
	v_cmp_gt_i32_e64 s2, s15, v3
	s_and_b32 s2, vcc_lo, s2
	s_delay_alu instid0(SALU_CYCLE_1)
	s_and_saveexec_b32 s3, s2
	s_cbranch_execz .LBB183_2
; %bb.1:
	global_load_b32 v5, v3, s[8:9] scale_offset
	s_wait_loadcnt 0x0
	v_subrev_nc_u32_e32 v20, s18, v5
.LBB183_2:
	s_or_b32 exec_lo, exec_lo, s3
	v_mov_b32_e32 v23, 0
	s_and_saveexec_b32 s3, s2
	s_cbranch_execz .LBB183_4
; %bb.3:
	global_load_b32 v3, v3, s[8:9] offset:4 scale_offset
	s_wait_loadcnt 0x0
	v_subrev_nc_u32_e32 v23, s18, v3
.LBB183_4:
	s_or_b32 exec_lo, exec_lo, s3
	s_load_b32 s19, s[0:1], 0x38
	s_mov_b32 s3, exec_lo
	v_cmpx_gt_i32_e64 s4, v2
	s_cbranch_execz .LBB183_6
; %bb.5:
	s_load_b64 s[8:9], s[0:1], 0x48
	s_wait_kmcnt 0x0
	global_load_b32 v2, v2, s[8:9] scale_offset
	s_wait_loadcnt 0x0
	v_subrev_nc_u32_e32 v4, s19, v2
.LBB183_6:
	s_or_b32 exec_lo, exec_lo, s3
	s_cmp_lt_i32 s5, 1
	s_cbranch_scc1 .LBB183_28
; %bb.7:
	v_mbcnt_lo_u32_b32 v5, -1, 0
	v_dual_lshlrev_b32 v2, 9, v1 :: v_dual_bitop2_b32 v24, 15, v0 bitop3:0x40
	s_clause 0x3
	s_load_b64 s[8:9], s[0:1], 0x50
	s_load_b64 s[22:23], s[0:1], 0x40
	;; [unrolled: 1-line block ×4, first 2 shown]
	s_cmp_eq_u32 s14, 0
	v_xor_b32_e32 v0, 4, v5
	v_xor_b32_e32 v3, 8, v5
	v_lshl_or_b32 v25, v22, 10, v2
	v_xor_b32_e32 v6, 1, v5
	v_xor_b32_e32 v2, 2, v5
	s_mov_b32 s3, 0
	s_wait_xcnt 0x0
	v_cmp_gt_i32_e64 s0, 32, v3
	s_mov_b32 s2, s6
	v_xor_b32_e32 v8, 16, v5
	v_mul_lo_u32 v12, v24, s6
	v_lshl_or_b32 v30, v5, 2, 60
	v_cndmask_b32_e64 v3, v5, v3, s0
	v_cmp_gt_i32_e64 s0, 32, v0
	v_dual_mov_b32 v38, 0 :: v_dual_mov_b32 v36, 1
	s_delay_alu instid0(VALU_DEP_2) | instskip(SKIP_3) | instid1(VALU_DEP_3)
	v_cndmask_b32_e64 v0, v5, v0, s0
	v_cmp_gt_i32_e64 s0, 32, v2
	v_lshlrev_b32_e32 v26, 2, v3
	v_lshl_add_u32 v14, s6, 4, v12
	v_dual_lshlrev_b32 v27, 2, v0 :: v_dual_cndmask_b32 v2, v5, v2, s0
	v_cmp_gt_i32_e64 s0, 32, v6
	s_delay_alu instid0(VALU_DEP_2) | instskip(NEXT) | instid1(VALU_DEP_2)
	v_dual_lshlrev_b32 v0, 4, v24 :: v_dual_lshlrev_b32 v28, 2, v2
	v_cndmask_b32_e64 v6, v5, v6, s0
	s_cselect_b32 s0, -1, 0
	s_cmp_lg_u32 s14, 0
	v_mul_lo_u32 v2, s7, v1
	s_cselect_b32 s4, -1, 0
	s_abs_i32 s20, s7
	v_mov_b32_e32 v7, 0
	s_cvt_f32_u32 s1, s20
	s_ashr_i32 s15, s7, 31
	s_mov_b32 s14, s7
	v_dual_lshlrev_b32 v29, 2, v6 :: v_dual_bitop2_b32 v31, v25, v0 bitop3:0x54
	v_rcp_iflag_f32_e32 v13, s1
	s_mul_u64 s[16:17], s[14:15], s[2:3]
	s_delay_alu instid0(VALU_DEP_3) | instskip(SKIP_3) | instid1(TRANS32_DEP_1)
	v_dual_ashrrev_i32 v3, 31, v2 :: v_dual_lshlrev_b32 v6, 4, v1
	v_mov_b32_e32 v1, v7
	v_cmp_gt_i32_e64 s1, 32, v8
	s_sub_co_i32 s6, 0, s20
	v_readfirstlane_b32 s2, v13
	s_wait_kmcnt 0x0
	v_lshl_add_u64 v[2:3], v[2:3], 4, s[22:23]
	v_dual_mov_b32 v15, v7 :: v_dual_cndmask_b32 v5, v5, v8, s1
	v_mov_b32_e32 v13, v7
	s_mul_f32 s14, s2, 0x4f7ffffe
	s_delay_alu instid0(VALU_DEP_3)
	v_add_nc_u64_e32 v[10:11], v[2:3], v[0:1]
	v_or_b32_e32 v0, 16, v24
	v_cmp_gt_u32_e64 s1, s7, v24
	s_cvt_u32_f32 s21, s14
	v_add_nc_u64_e32 v[8:9], s[22:23], v[6:7]
	v_lshlrev_b32_e32 v32, 2, v5
	v_cmp_gt_u32_e64 s2, s7, v0
	s_mul_i32 s14, s6, s21
	v_dual_mov_b32 v33, 0x7c :: v_dual_mov_b32 v0, v7
	v_or_b32_e32 v34, 0x100, v31
	v_dual_mov_b32 v2, v7 :: v_dual_bitop2_b32 v35, -16, v24 bitop3:0x54
	v_mov_b32_e32 v3, v7
	s_and_b32 s6, s1, vcc_lo
	s_mul_hi_u32 s1, s21, s14
	s_and_b32 s14, vcc_lo, s2
	s_add_co_i32 s2, s21, s1
	s_mov_b32 s21, s3
	s_branch .LBB183_10
.LBB183_8:                              ;   in Loop: Header=BB183_10 Depth=1
	s_wait_xcnt 0x0
	s_or_b32 exec_lo, exec_lo, s22
	v_mov_b32_e32 v5, 1
.LBB183_9:                              ;   in Loop: Header=BB183_10 Depth=1
	s_or_b32 exec_lo, exec_lo, s1
	ds_bpermute_b32 v6, v32, v37
	s_wait_storecnt_dscnt 0x0
	v_dual_add_nc_u32 v4, v5, v4 :: v_dual_min_i32 v6, v6, v37
	ds_bpermute_b32 v16, v26, v6
	s_wait_dscnt 0x0
	v_min_i32_e32 v6, v16, v6
	ds_bpermute_b32 v16, v27, v6
	s_wait_dscnt 0x0
	v_min_i32_e32 v6, v16, v6
	;; [unrolled: 3-line block ×4, first 2 shown]
	ds_bpermute_b32 v38, v33, v6
	s_wait_dscnt 0x0
	v_cmp_le_i32_e32 vcc_lo, s5, v38
	s_or_b32 s21, vcc_lo, s21
	s_delay_alu instid0(SALU_CYCLE_1)
	s_and_not1_b32 exec_lo, exec_lo, s21
	s_cbranch_execz .LBB183_28
.LBB183_10:                             ; =>This Loop Header: Depth=1
                                        ;     Child Loop BB183_11 Depth 2
                                        ;     Child Loop BB183_15 Depth 2
	v_dual_mov_b32 v5, v31 :: v_dual_mov_b32 v6, v35
	s_mov_b32 s1, 0
	ds_store_b8 v22, v7 offset:8192
.LBB183_11:                             ;   Parent Loop BB183_10 Depth=1
                                        ; =>  This Inner Loop Header: Depth=2
	v_add_co_u32 v6, s22, v6, 16
	s_xor_b32 s22, s22, -1
	ds_store_b128 v5, v[0:3]
	v_add_nc_u32_e32 v5, 0x100, v5
	s_and_b32 s22, exec_lo, s22
	s_delay_alu instid0(SALU_CYCLE_1) | instskip(NEXT) | instid1(SALU_CYCLE_1)
	s_or_b32 s1, s22, s1
	s_and_not1_b32 exec_lo, exec_lo, s1
	s_cbranch_execnz .LBB183_11
; %bb.12:                               ;   in Loop: Header=BB183_10 Depth=1
	s_or_b32 exec_lo, exec_lo, s1
	v_dual_mov_b32 v37, s5 :: v_dual_add_nc_u32 v16, v20, v24
	v_mov_b32_e32 v17, v23
	s_mov_b32 s22, exec_lo
	s_wait_dscnt 0x0
	s_delay_alu instid0(VALU_DEP_2)
	v_cmpx_lt_i32_e64 v16, v23
	s_cbranch_execz .LBB183_20
; %bb.13:                               ;   in Loop: Header=BB183_10 Depth=1
	v_mul_lo_u32 v5, v38, s7
	v_dual_ashrrev_i32 v17, 31, v16 :: v_dual_mov_b32 v37, s5
	s_mov_b32 s23, 0
	s_delay_alu instid0(VALU_DEP_1)
	v_lshl_add_u64 v[18:19], v[16:17], 2, s[12:13]
	v_lshl_add_u64 v[20:21], v[16:17], 4, s[10:11]
	v_mov_b32_e32 v17, v23
	s_branch .LBB183_15
.LBB183_14:                             ;   in Loop: Header=BB183_15 Depth=2
	s_wait_xcnt 0x0
	s_or_b32 exec_lo, exec_lo, s1
	v_add_nc_u32_e32 v16, 16, v16
	s_xor_b32 s24, vcc_lo, -1
	v_add_nc_u64_e32 v[18:19], 64, v[18:19]
	v_add_nc_u64_e32 v[20:21], 0x100, v[20:21]
	s_delay_alu instid0(VALU_DEP_3) | instskip(SKIP_1) | instid1(SALU_CYCLE_1)
	v_cmp_ge_i32_e64 s1, v16, v23
	s_or_b32 s1, s24, s1
	s_and_b32 s1, exec_lo, s1
	s_delay_alu instid0(SALU_CYCLE_1) | instskip(NEXT) | instid1(SALU_CYCLE_1)
	s_or_b32 s23, s1, s23
	s_and_not1_b32 exec_lo, exec_lo, s23
	s_cbranch_execz .LBB183_19
.LBB183_15:                             ;   Parent Loop BB183_10 Depth=1
                                        ; =>  This Inner Loop Header: Depth=2
	global_load_b32 v6, v[18:19], off
	s_wait_loadcnt 0x0
	v_subrev_nc_u32_e32 v39, s18, v6
	s_delay_alu instid0(VALU_DEP_1) | instskip(NEXT) | instid1(VALU_DEP_1)
	v_sub_nc_u32_e32 v6, 0, v39
	v_max_i32_e32 v6, v39, v6
	s_delay_alu instid0(VALU_DEP_1) | instskip(NEXT) | instid1(VALU_DEP_1)
	v_mul_u64_e32 v[40:41], s[2:3], v[6:7]
	v_mul_lo_u32 v40, v41, s20
	s_delay_alu instid0(VALU_DEP_1) | instskip(NEXT) | instid1(VALU_DEP_1)
	v_dual_sub_nc_u32 v6, v6, v40 :: v_dual_add_nc_u32 v40, 1, v41
	v_cmp_le_u32_e32 vcc_lo, s20, v6
	s_delay_alu instid0(VALU_DEP_2) | instskip(SKIP_1) | instid1(VALU_DEP_1)
	v_dual_cndmask_b32 v40, v41, v40 :: v_dual_ashrrev_i32 v41, 31, v39
	v_subrev_nc_u32_e32 v42, s20, v6
	v_dual_cndmask_b32 v6, v6, v42, vcc_lo :: v_dual_add_nc_u32 v42, 1, v40
	s_delay_alu instid0(VALU_DEP_1) | instskip(NEXT) | instid1(VALU_DEP_2)
	v_cmp_le_u32_e32 vcc_lo, s20, v6
	v_dual_cndmask_b32 v6, v40, v42, vcc_lo :: v_dual_bitop2_b32 v41, s15, v41 bitop3:0x14
	s_delay_alu instid0(VALU_DEP_1) | instskip(NEXT) | instid1(VALU_DEP_1)
	v_xor_b32_e32 v6, v6, v41
	v_dual_sub_nc_u32 v40, v6, v41 :: v_dual_mov_b32 v6, v17
	s_delay_alu instid0(VALU_DEP_1) | instskip(SKIP_3) | instid1(SALU_CYCLE_1)
	v_cmp_ne_u32_e64 s1, v40, v38
	v_cmp_eq_u32_e32 vcc_lo, v40, v38
	s_wait_xcnt 0x0
	s_and_saveexec_b32 s24, s1
	s_xor_b32 s1, exec_lo, s24
; %bb.16:                               ;   in Loop: Header=BB183_15 Depth=2
	v_min_i32_e32 v37, v40, v37
                                        ; implicit-def: $vgpr39
                                        ; implicit-def: $vgpr6
; %bb.17:                               ;   in Loop: Header=BB183_15 Depth=2
	s_or_saveexec_b32 s1, s1
	v_mov_b32_e32 v17, v16
	s_xor_b32 exec_lo, exec_lo, s1
	s_cbranch_execz .LBB183_14
; %bb.18:                               ;   in Loop: Header=BB183_15 Depth=2
	global_load_b128 v[40:43], v[20:21], off
	v_sub_nc_u32_e32 v17, v39, v5
	s_delay_alu instid0(VALU_DEP_1)
	v_lshl_add_u32 v39, v17, 4, v25
	v_mov_b32_e32 v17, v6
	ds_store_b8 v22, v36 offset:8192
	s_wait_loadcnt 0x0
	ds_store_2addr_b64 v39, v[40:41], v[42:43] offset1:1
	s_branch .LBB183_14
.LBB183_19:                             ;   in Loop: Header=BB183_10 Depth=1
	s_or_b32 exec_lo, exec_lo, s23
.LBB183_20:                             ;   in Loop: Header=BB183_10 Depth=1
	s_delay_alu instid0(SALU_CYCLE_1)
	s_or_b32 exec_lo, exec_lo, s22
	ds_bpermute_b32 v5, v26, v17
	s_wait_dscnt 0x0
	ds_load_u8 v16, v22 offset:8192
	v_min_i32_e32 v5, v5, v17
	ds_bpermute_b32 v6, v27, v5
	s_wait_dscnt 0x0
	v_min_i32_e32 v5, v6, v5
	ds_bpermute_b32 v6, v28, v5
	s_wait_dscnt 0x0
	;; [unrolled: 3-line block ×3, first 2 shown]
	v_min_i32_e32 v5, v6, v5
	ds_bpermute_b32 v20, v30, v5
	v_and_b32_e32 v5, 1, v16
	s_delay_alu instid0(VALU_DEP_1)
	v_cmp_eq_u32_e32 vcc_lo, 1, v5
	v_mov_b32_e32 v5, 0
	s_and_saveexec_b32 s1, vcc_lo
	s_cbranch_execz .LBB183_9
; %bb.21:                               ;   in Loop: Header=BB183_10 Depth=1
	v_ashrrev_i32_e32 v5, 31, v4
	s_delay_alu instid0(VALU_DEP_1) | instskip(SKIP_3) | instid1(VALU_DEP_1)
	v_mul_u64_e32 v[16:17], s[16:17], v[4:5]
	v_add_nc_u32_e32 v5, s19, v38
	global_store_b32 v4, v5, s[8:9] scale_offset
	v_lshlrev_b64_e32 v[16:17], 4, v[16:17]
	v_add_nc_u64_e32 v[18:19], v[8:9], v[16:17]
	v_add_nc_u64_e32 v[16:17], v[10:11], v[16:17]
	s_wait_xcnt 0x0
	s_and_saveexec_b32 s22, s6
	s_cbranch_execz .LBB183_23
; %bb.22:                               ;   in Loop: Header=BB183_10 Depth=1
	ds_load_2addr_b64 v[38:41], v31 offset1:1
	v_lshl_add_u64 v[42:43], v[12:13], 4, v[18:19]
	s_delay_alu instid0(VALU_DEP_1)
	v_dual_cndmask_b32 v43, v43, v17, s0 :: v_dual_cndmask_b32 v42, v42, v16, s0
	s_wait_dscnt 0x0
	global_store_b128 v[42:43], v[38:41], off
.LBB183_23:                             ;   in Loop: Header=BB183_10 Depth=1
	s_wait_xcnt 0x0
	s_or_b32 exec_lo, exec_lo, s22
	s_and_saveexec_b32 s22, s14
	s_cbranch_execz .LBB183_8
; %bb.24:                               ;   in Loop: Header=BB183_10 Depth=1
	s_and_not1_b32 vcc_lo, exec_lo, s4
	s_mov_b32 s23, -1
	s_cbranch_vccnz .LBB183_26
; %bb.25:                               ;   in Loop: Header=BB183_10 Depth=1
	ds_load_2addr_b64 v[38:41], v34 offset1:1
	v_lshl_add_u64 v[18:19], v[14:15], 4, v[18:19]
	s_mov_b32 s23, 0
	s_wait_dscnt 0x0
	global_store_b128 v[18:19], v[38:41], off
.LBB183_26:                             ;   in Loop: Header=BB183_10 Depth=1
	s_and_not1_b32 vcc_lo, exec_lo, s23
	s_cbranch_vccnz .LBB183_8
; %bb.27:                               ;   in Loop: Header=BB183_10 Depth=1
	s_wait_xcnt 0x0
	ds_load_2addr_b64 v[38:41], v34 offset1:1
	s_wait_dscnt 0x0
	global_store_b128 v[16:17], v[38:41], off offset:256
	s_branch .LBB183_8
.LBB183_28:
	s_endpgm
	.section	.rodata,"a",@progbits
	.p2align	6, 0x0
	.amdhsa_kernel _ZN9rocsparseL44csr2gebsr_wavefront_per_row_multipass_kernelILi256ELi2ELi32ELi32E21rocsparse_complex_numIdEEEv20rocsparse_direction_iiiiii21rocsparse_index_base_PKT3_PKiS9_S4_PS5_PiSB_
		.amdhsa_group_segment_fixed_size 8200
		.amdhsa_private_segment_fixed_size 0
		.amdhsa_kernarg_size 88
		.amdhsa_user_sgpr_count 2
		.amdhsa_user_sgpr_dispatch_ptr 0
		.amdhsa_user_sgpr_queue_ptr 0
		.amdhsa_user_sgpr_kernarg_segment_ptr 1
		.amdhsa_user_sgpr_dispatch_id 0
		.amdhsa_user_sgpr_kernarg_preload_length 0
		.amdhsa_user_sgpr_kernarg_preload_offset 0
		.amdhsa_user_sgpr_private_segment_size 0
		.amdhsa_wavefront_size32 1
		.amdhsa_uses_dynamic_stack 0
		.amdhsa_enable_private_segment 0
		.amdhsa_system_sgpr_workgroup_id_x 1
		.amdhsa_system_sgpr_workgroup_id_y 0
		.amdhsa_system_sgpr_workgroup_id_z 0
		.amdhsa_system_sgpr_workgroup_info 0
		.amdhsa_system_vgpr_workitem_id 0
		.amdhsa_next_free_vgpr 44
		.amdhsa_next_free_sgpr 25
		.amdhsa_named_barrier_count 0
		.amdhsa_reserve_vcc 1
		.amdhsa_float_round_mode_32 0
		.amdhsa_float_round_mode_16_64 0
		.amdhsa_float_denorm_mode_32 3
		.amdhsa_float_denorm_mode_16_64 3
		.amdhsa_fp16_overflow 0
		.amdhsa_memory_ordered 1
		.amdhsa_forward_progress 1
		.amdhsa_inst_pref_size 14
		.amdhsa_round_robin_scheduling 0
		.amdhsa_exception_fp_ieee_invalid_op 0
		.amdhsa_exception_fp_denorm_src 0
		.amdhsa_exception_fp_ieee_div_zero 0
		.amdhsa_exception_fp_ieee_overflow 0
		.amdhsa_exception_fp_ieee_underflow 0
		.amdhsa_exception_fp_ieee_inexact 0
		.amdhsa_exception_int_div_zero 0
	.end_amdhsa_kernel
	.section	.text._ZN9rocsparseL44csr2gebsr_wavefront_per_row_multipass_kernelILi256ELi2ELi32ELi32E21rocsparse_complex_numIdEEEv20rocsparse_direction_iiiiii21rocsparse_index_base_PKT3_PKiS9_S4_PS5_PiSB_,"axG",@progbits,_ZN9rocsparseL44csr2gebsr_wavefront_per_row_multipass_kernelILi256ELi2ELi32ELi32E21rocsparse_complex_numIdEEEv20rocsparse_direction_iiiiii21rocsparse_index_base_PKT3_PKiS9_S4_PS5_PiSB_,comdat
.Lfunc_end183:
	.size	_ZN9rocsparseL44csr2gebsr_wavefront_per_row_multipass_kernelILi256ELi2ELi32ELi32E21rocsparse_complex_numIdEEEv20rocsparse_direction_iiiiii21rocsparse_index_base_PKT3_PKiS9_S4_PS5_PiSB_, .Lfunc_end183-_ZN9rocsparseL44csr2gebsr_wavefront_per_row_multipass_kernelILi256ELi2ELi32ELi32E21rocsparse_complex_numIdEEEv20rocsparse_direction_iiiiii21rocsparse_index_base_PKT3_PKiS9_S4_PS5_PiSB_
                                        ; -- End function
	.set _ZN9rocsparseL44csr2gebsr_wavefront_per_row_multipass_kernelILi256ELi2ELi32ELi32E21rocsparse_complex_numIdEEEv20rocsparse_direction_iiiiii21rocsparse_index_base_PKT3_PKiS9_S4_PS5_PiSB_.num_vgpr, 44
	.set _ZN9rocsparseL44csr2gebsr_wavefront_per_row_multipass_kernelILi256ELi2ELi32ELi32E21rocsparse_complex_numIdEEEv20rocsparse_direction_iiiiii21rocsparse_index_base_PKT3_PKiS9_S4_PS5_PiSB_.num_agpr, 0
	.set _ZN9rocsparseL44csr2gebsr_wavefront_per_row_multipass_kernelILi256ELi2ELi32ELi32E21rocsparse_complex_numIdEEEv20rocsparse_direction_iiiiii21rocsparse_index_base_PKT3_PKiS9_S4_PS5_PiSB_.numbered_sgpr, 25
	.set _ZN9rocsparseL44csr2gebsr_wavefront_per_row_multipass_kernelILi256ELi2ELi32ELi32E21rocsparse_complex_numIdEEEv20rocsparse_direction_iiiiii21rocsparse_index_base_PKT3_PKiS9_S4_PS5_PiSB_.num_named_barrier, 0
	.set _ZN9rocsparseL44csr2gebsr_wavefront_per_row_multipass_kernelILi256ELi2ELi32ELi32E21rocsparse_complex_numIdEEEv20rocsparse_direction_iiiiii21rocsparse_index_base_PKT3_PKiS9_S4_PS5_PiSB_.private_seg_size, 0
	.set _ZN9rocsparseL44csr2gebsr_wavefront_per_row_multipass_kernelILi256ELi2ELi32ELi32E21rocsparse_complex_numIdEEEv20rocsparse_direction_iiiiii21rocsparse_index_base_PKT3_PKiS9_S4_PS5_PiSB_.uses_vcc, 1
	.set _ZN9rocsparseL44csr2gebsr_wavefront_per_row_multipass_kernelILi256ELi2ELi32ELi32E21rocsparse_complex_numIdEEEv20rocsparse_direction_iiiiii21rocsparse_index_base_PKT3_PKiS9_S4_PS5_PiSB_.uses_flat_scratch, 0
	.set _ZN9rocsparseL44csr2gebsr_wavefront_per_row_multipass_kernelILi256ELi2ELi32ELi32E21rocsparse_complex_numIdEEEv20rocsparse_direction_iiiiii21rocsparse_index_base_PKT3_PKiS9_S4_PS5_PiSB_.has_dyn_sized_stack, 0
	.set _ZN9rocsparseL44csr2gebsr_wavefront_per_row_multipass_kernelILi256ELi2ELi32ELi32E21rocsparse_complex_numIdEEEv20rocsparse_direction_iiiiii21rocsparse_index_base_PKT3_PKiS9_S4_PS5_PiSB_.has_recursion, 0
	.set _ZN9rocsparseL44csr2gebsr_wavefront_per_row_multipass_kernelILi256ELi2ELi32ELi32E21rocsparse_complex_numIdEEEv20rocsparse_direction_iiiiii21rocsparse_index_base_PKT3_PKiS9_S4_PS5_PiSB_.has_indirect_call, 0
	.section	.AMDGPU.csdata,"",@progbits
; Kernel info:
; codeLenInByte = 1668
; TotalNumSgprs: 27
; NumVgprs: 44
; ScratchSize: 0
; MemoryBound: 0
; FloatMode: 240
; IeeeMode: 1
; LDSByteSize: 8200 bytes/workgroup (compile time only)
; SGPRBlocks: 0
; VGPRBlocks: 2
; NumSGPRsForWavesPerEU: 27
; NumVGPRsForWavesPerEU: 44
; NamedBarCnt: 0
; Occupancy: 16
; WaveLimiterHint : 0
; COMPUTE_PGM_RSRC2:SCRATCH_EN: 0
; COMPUTE_PGM_RSRC2:USER_SGPR: 2
; COMPUTE_PGM_RSRC2:TRAP_HANDLER: 0
; COMPUTE_PGM_RSRC2:TGID_X_EN: 1
; COMPUTE_PGM_RSRC2:TGID_Y_EN: 0
; COMPUTE_PGM_RSRC2:TGID_Z_EN: 0
; COMPUTE_PGM_RSRC2:TIDIG_COMP_CNT: 0
	.section	.text._ZN9rocsparseL44csr2gebsr_wavefront_per_row_multipass_kernelILi256ELi2ELi64ELi64E21rocsparse_complex_numIdEEEv20rocsparse_direction_iiiiii21rocsparse_index_base_PKT3_PKiS9_S4_PS5_PiSB_,"axG",@progbits,_ZN9rocsparseL44csr2gebsr_wavefront_per_row_multipass_kernelILi256ELi2ELi64ELi64E21rocsparse_complex_numIdEEEv20rocsparse_direction_iiiiii21rocsparse_index_base_PKT3_PKiS9_S4_PS5_PiSB_,comdat
	.globl	_ZN9rocsparseL44csr2gebsr_wavefront_per_row_multipass_kernelILi256ELi2ELi64ELi64E21rocsparse_complex_numIdEEEv20rocsparse_direction_iiiiii21rocsparse_index_base_PKT3_PKiS9_S4_PS5_PiSB_ ; -- Begin function _ZN9rocsparseL44csr2gebsr_wavefront_per_row_multipass_kernelILi256ELi2ELi64ELi64E21rocsparse_complex_numIdEEEv20rocsparse_direction_iiiiii21rocsparse_index_base_PKT3_PKiS9_S4_PS5_PiSB_
	.p2align	8
	.type	_ZN9rocsparseL44csr2gebsr_wavefront_per_row_multipass_kernelILi256ELi2ELi64ELi64E21rocsparse_complex_numIdEEEv20rocsparse_direction_iiiiii21rocsparse_index_base_PKT3_PKiS9_S4_PS5_PiSB_,@function
_ZN9rocsparseL44csr2gebsr_wavefront_per_row_multipass_kernelILi256ELi2ELi64ELi64E21rocsparse_complex_numIdEEEv20rocsparse_direction_iiiiii21rocsparse_index_base_PKT3_PKiS9_S4_PS5_PiSB_: ; @_ZN9rocsparseL44csr2gebsr_wavefront_per_row_multipass_kernelILi256ELi2ELi64ELi64E21rocsparse_complex_numIdEEEv20rocsparse_direction_iiiiii21rocsparse_index_base_PKT3_PKiS9_S4_PS5_PiSB_
; %bb.0:
	s_clause 0x1
	s_load_b128 s[4:7], s[0:1], 0xc
	s_load_b64 s[14:15], s[0:1], 0x0
	s_bfe_u32 s2, ttmp6, 0x4000c
	s_and_b32 s3, ttmp6, 15
	s_add_co_i32 s2, s2, 1
	s_getreg_b32 s8, hwreg(HW_REG_IB_STS2, 6, 4)
	s_mul_i32 s2, ttmp9, s2
	v_dual_lshrrev_b32 v22, 6, v0 :: v_dual_mov_b32 v4, 0
	s_add_co_i32 s3, s3, s2
	s_cmp_eq_u32 s8, 0
	v_bfe_u32 v1, v0, 5, 1
	s_cselect_b32 s2, ttmp9, s3
	s_clause 0x1
	s_load_b32 s18, s[0:1], 0x1c
	s_load_b64 s[8:9], s[0:1], 0x28
	v_lshl_or_b32 v2, s2, 2, v22
	v_mov_b32_e32 v20, 0
	s_wait_kmcnt 0x0
	s_delay_alu instid0(VALU_DEP_2) | instskip(SKIP_1) | instid1(VALU_DEP_2)
	v_mad_u32 v3, v2, s6, v1
	v_cmp_gt_i32_e32 vcc_lo, s6, v1
	v_cmp_gt_i32_e64 s2, s15, v3
	s_and_b32 s2, vcc_lo, s2
	s_delay_alu instid0(SALU_CYCLE_1)
	s_and_saveexec_b32 s3, s2
	s_cbranch_execz .LBB184_2
; %bb.1:
	global_load_b32 v5, v3, s[8:9] scale_offset
	s_wait_loadcnt 0x0
	v_subrev_nc_u32_e32 v20, s18, v5
.LBB184_2:
	s_or_b32 exec_lo, exec_lo, s3
	v_mov_b32_e32 v23, 0
	s_and_saveexec_b32 s3, s2
	s_cbranch_execz .LBB184_4
; %bb.3:
	global_load_b32 v3, v3, s[8:9] offset:4 scale_offset
	s_wait_loadcnt 0x0
	v_subrev_nc_u32_e32 v23, s18, v3
.LBB184_4:
	s_or_b32 exec_lo, exec_lo, s3
	s_load_b32 s19, s[0:1], 0x38
	s_mov_b32 s3, exec_lo
	v_cmpx_gt_i32_e64 s4, v2
	s_cbranch_execz .LBB184_6
; %bb.5:
	s_load_b64 s[8:9], s[0:1], 0x48
	s_wait_kmcnt 0x0
	global_load_b32 v2, v2, s[8:9] scale_offset
	s_wait_loadcnt 0x0
	v_subrev_nc_u32_e32 v4, s19, v2
.LBB184_6:
	s_or_b32 exec_lo, exec_lo, s3
	s_cmp_lt_i32 s5, 1
	s_cbranch_scc1 .LBB184_28
; %bb.7:
	v_mbcnt_lo_u32_b32 v5, -1, 0
	v_dual_lshlrev_b32 v2, 10, v1 :: v_dual_bitop2_b32 v24, 31, v0 bitop3:0x40
	s_clause 0x3
	s_load_b64 s[8:9], s[0:1], 0x50
	s_load_b64 s[22:23], s[0:1], 0x40
	;; [unrolled: 1-line block ×4, first 2 shown]
	s_cmp_eq_u32 s14, 0
	v_xor_b32_e32 v0, 8, v5
	v_xor_b32_e32 v3, 16, v5
	v_lshl_or_b32 v25, v22, 11, v2
	v_xor_b32_e32 v6, 2, v5
	s_mov_b32 s3, 0
	s_mov_b32 s2, s6
	s_wait_xcnt 0x0
	v_cmp_gt_i32_e64 s0, 32, v3
	v_mul_lo_u32 v12, v24, s6
	v_mov_b32_e32 v31, 0x7c
	v_bfrev_b32_e32 v34, 0.5
	v_or_b32_e32 v36, 0xffffffe0, v24
	v_dual_cndmask_b32 v2, v5, v3, s0 :: v_dual_bitop2_b32 v3, 4, v5 bitop3:0x14
	v_cmp_gt_i32_e64 s0, 32, v0
	v_dual_mov_b32 v39, 0 :: v_dual_bitop2_b32 v7, 1, v5 bitop3:0x14
	s_delay_alu instid0(VALU_DEP_3) | instskip(SKIP_1) | instid1(VALU_DEP_4)
	v_lshlrev_b32_e32 v26, 2, v2
	v_mul_lo_u32 v2, s7, v1
	v_cndmask_b32_e64 v0, v5, v0, s0
	v_cmp_gt_i32_e64 s0, 32, v3
	v_lshl_add_u32 v14, s6, 5, v12
	v_dual_mov_b32 v37, 1 :: v_dual_bitop2_b32 v8, 32, v5 bitop3:0x54
	s_delay_alu instid0(VALU_DEP_3) | instskip(SKIP_1) | instid1(VALU_DEP_1)
	v_dual_lshlrev_b32 v27, 2, v0 :: v_dual_cndmask_b32 v3, v5, v3, s0
	v_cmp_gt_i32_e64 s0, 32, v6
	v_dual_lshlrev_b32 v0, 4, v24 :: v_dual_cndmask_b32 v6, v5, v6, s0
	v_cmp_gt_i32_e64 s0, 32, v7
	s_delay_alu instid0(VALU_DEP_4) | instskip(NEXT) | instid1(VALU_DEP_3)
	v_dual_lshlrev_b32 v28, 2, v3 :: v_dual_ashrrev_i32 v3, 31, v2
	v_dual_lshlrev_b32 v29, 2, v6 :: v_dual_bitop2_b32 v32, v25, v0 bitop3:0x54
	s_delay_alu instid0(VALU_DEP_3)
	v_cndmask_b32_e64 v7, v5, v7, s0
	s_cselect_b32 s0, -1, 0
	s_cmp_lg_u32 s14, 0
	s_mov_b32 s14, s7
	s_cselect_b32 s4, -1, 0
	s_abs_i32 s20, s7
	v_lshlrev_b32_e32 v30, 2, v7
	s_cvt_f32_u32 s1, s20
	v_mov_b32_e32 v7, 0
	s_ashr_i32 s15, s7, 31
	v_lshlrev_b32_e32 v6, 4, v1
	v_rcp_iflag_f32_e32 v13, s1
	v_cmp_gt_i32_e64 s1, 32, v8
	s_mul_u64 s[16:17], s[14:15], s[2:3]
	s_wait_kmcnt 0x0
	v_lshl_add_u64 v[2:3], v[2:3], 4, s[22:23]
	v_mov_b32_e32 v1, v7
	s_sub_co_i32 s6, 0, s20
	v_cndmask_b32_e64 v5, v5, v8, s1
	v_readfirstlane_b32 s2, v13
	v_cmp_gt_u32_e64 s1, s7, v24
	v_add_nc_u64_e32 v[10:11], v[2:3], v[0:1]
	s_delay_alu instid0(VALU_DEP_4) | instskip(SKIP_3) | instid1(SALU_CYCLE_1)
	v_dual_lshlrev_b32 v33, 2, v5 :: v_dual_bitop2_b32 v0, 32, v24 bitop3:0x54
	s_mul_f32 s14, s2, 0x4f7ffffe
	v_add_nc_u64_e32 v[8:9], s[22:23], v[6:7]
	v_dual_mov_b32 v13, v7 :: v_dual_mov_b32 v15, v7
	s_cvt_u32_f32 s21, s14
	v_cmp_gt_u32_e64 s2, s7, v0
	v_or_b32_e32 v35, 0x200, v32
	v_dual_mov_b32 v0, v7 :: v_dual_mov_b32 v2, v7
	s_mul_i32 s14, s6, s21
	v_mov_b32_e32 v3, v7
	s_and_b32 s6, s1, vcc_lo
	s_mul_hi_u32 s1, s21, s14
	s_and_b32 s14, vcc_lo, s2
	s_add_co_i32 s2, s21, s1
	s_mov_b32 s21, s3
	s_branch .LBB184_10
.LBB184_8:                              ;   in Loop: Header=BB184_10 Depth=1
	s_wait_xcnt 0x0
	s_or_b32 exec_lo, exec_lo, s22
	v_mov_b32_e32 v5, 1
.LBB184_9:                              ;   in Loop: Header=BB184_10 Depth=1
	s_or_b32 exec_lo, exec_lo, s1
	ds_bpermute_b32 v6, v33, v38
	s_wait_storecnt_dscnt 0x0
	v_dual_add_nc_u32 v4, v5, v4 :: v_dual_min_i32 v6, v6, v38
	ds_bpermute_b32 v16, v26, v6
	s_wait_dscnt 0x0
	v_min_i32_e32 v6, v16, v6
	ds_bpermute_b32 v16, v27, v6
	s_wait_dscnt 0x0
	v_min_i32_e32 v6, v16, v6
	;; [unrolled: 3-line block ×5, first 2 shown]
	ds_bpermute_b32 v39, v34, v6
	s_wait_dscnt 0x0
	v_cmp_le_i32_e32 vcc_lo, s5, v39
	s_or_b32 s21, vcc_lo, s21
	s_delay_alu instid0(SALU_CYCLE_1)
	s_and_not1_b32 exec_lo, exec_lo, s21
	s_cbranch_execz .LBB184_28
.LBB184_10:                             ; =>This Loop Header: Depth=1
                                        ;     Child Loop BB184_11 Depth 2
                                        ;     Child Loop BB184_15 Depth 2
	v_dual_mov_b32 v5, v32 :: v_dual_mov_b32 v6, v36
	s_mov_b32 s1, 0
	ds_store_b8 v22, v7 offset:8192
.LBB184_11:                             ;   Parent Loop BB184_10 Depth=1
                                        ; =>  This Inner Loop Header: Depth=2
	v_add_co_u32 v6, s22, v6, 32
	s_xor_b32 s22, s22, -1
	ds_store_b128 v5, v[0:3]
	v_add_nc_u32_e32 v5, 0x200, v5
	s_and_b32 s22, exec_lo, s22
	s_delay_alu instid0(SALU_CYCLE_1) | instskip(NEXT) | instid1(SALU_CYCLE_1)
	s_or_b32 s1, s22, s1
	s_and_not1_b32 exec_lo, exec_lo, s1
	s_cbranch_execnz .LBB184_11
; %bb.12:                               ;   in Loop: Header=BB184_10 Depth=1
	s_or_b32 exec_lo, exec_lo, s1
	v_dual_add_nc_u32 v16, v20, v24 :: v_dual_mov_b32 v38, s5
	v_mov_b32_e32 v17, v23
	s_mov_b32 s22, exec_lo
	s_wait_dscnt 0x0
	s_delay_alu instid0(VALU_DEP_2)
	v_cmpx_lt_i32_e64 v16, v23
	s_cbranch_execz .LBB184_20
; %bb.13:                               ;   in Loop: Header=BB184_10 Depth=1
	v_mul_lo_u32 v5, v39, s7
	v_dual_mov_b32 v38, s5 :: v_dual_ashrrev_i32 v17, 31, v16
	s_mov_b32 s23, 0
	s_delay_alu instid0(VALU_DEP_1)
	v_lshl_add_u64 v[18:19], v[16:17], 2, s[12:13]
	v_lshl_add_u64 v[20:21], v[16:17], 4, s[10:11]
	v_mov_b32_e32 v17, v23
	s_branch .LBB184_15
.LBB184_14:                             ;   in Loop: Header=BB184_15 Depth=2
	s_wait_xcnt 0x0
	s_or_b32 exec_lo, exec_lo, s1
	v_add_nc_u32_e32 v16, 32, v16
	s_xor_b32 s24, vcc_lo, -1
	v_add_nc_u64_e32 v[18:19], 0x80, v[18:19]
	v_add_nc_u64_e32 v[20:21], 0x200, v[20:21]
	s_delay_alu instid0(VALU_DEP_3) | instskip(SKIP_1) | instid1(SALU_CYCLE_1)
	v_cmp_ge_i32_e64 s1, v16, v23
	s_or_b32 s1, s24, s1
	s_and_b32 s1, exec_lo, s1
	s_delay_alu instid0(SALU_CYCLE_1) | instskip(NEXT) | instid1(SALU_CYCLE_1)
	s_or_b32 s23, s1, s23
	s_and_not1_b32 exec_lo, exec_lo, s23
	s_cbranch_execz .LBB184_19
.LBB184_15:                             ;   Parent Loop BB184_10 Depth=1
                                        ; =>  This Inner Loop Header: Depth=2
	global_load_b32 v6, v[18:19], off
	s_wait_loadcnt 0x0
	v_subrev_nc_u32_e32 v40, s18, v6
	s_delay_alu instid0(VALU_DEP_1) | instskip(NEXT) | instid1(VALU_DEP_1)
	v_sub_nc_u32_e32 v6, 0, v40
	v_max_i32_e32 v6, v40, v6
	s_delay_alu instid0(VALU_DEP_1) | instskip(NEXT) | instid1(VALU_DEP_1)
	v_mul_u64_e32 v[42:43], s[2:3], v[6:7]
	v_mul_lo_u32 v41, v43, s20
	s_delay_alu instid0(VALU_DEP_1) | instskip(NEXT) | instid1(VALU_DEP_1)
	v_dual_sub_nc_u32 v6, v6, v41 :: v_dual_add_nc_u32 v41, 1, v43
	v_cmp_le_u32_e32 vcc_lo, s20, v6
	s_delay_alu instid0(VALU_DEP_2) | instskip(SKIP_1) | instid1(VALU_DEP_1)
	v_dual_cndmask_b32 v41, v43, v41, vcc_lo :: v_dual_ashrrev_i32 v43, 31, v40
	v_subrev_nc_u32_e32 v42, s20, v6
	v_dual_cndmask_b32 v6, v6, v42, vcc_lo :: v_dual_add_nc_u32 v42, 1, v41
	s_delay_alu instid0(VALU_DEP_1) | instskip(NEXT) | instid1(VALU_DEP_2)
	v_cmp_le_u32_e32 vcc_lo, s20, v6
	v_dual_cndmask_b32 v6, v41, v42, vcc_lo :: v_dual_bitop2_b32 v43, s15, v43 bitop3:0x14
	s_delay_alu instid0(VALU_DEP_1) | instskip(NEXT) | instid1(VALU_DEP_1)
	v_xor_b32_e32 v6, v6, v43
	v_dual_mov_b32 v6, v17 :: v_dual_sub_nc_u32 v41, v6, v43
	s_delay_alu instid0(VALU_DEP_1) | instskip(SKIP_3) | instid1(SALU_CYCLE_1)
	v_cmp_ne_u32_e64 s1, v41, v39
	v_cmp_eq_u32_e32 vcc_lo, v41, v39
	s_wait_xcnt 0x0
	s_and_saveexec_b32 s24, s1
	s_xor_b32 s1, exec_lo, s24
; %bb.16:                               ;   in Loop: Header=BB184_15 Depth=2
	v_min_i32_e32 v38, v41, v38
                                        ; implicit-def: $vgpr40
                                        ; implicit-def: $vgpr6
; %bb.17:                               ;   in Loop: Header=BB184_15 Depth=2
	s_or_saveexec_b32 s1, s1
	v_mov_b32_e32 v17, v16
	s_xor_b32 exec_lo, exec_lo, s1
	s_cbranch_execz .LBB184_14
; %bb.18:                               ;   in Loop: Header=BB184_15 Depth=2
	global_load_b128 v[42:45], v[20:21], off
	v_sub_nc_u32_e32 v17, v40, v5
	s_delay_alu instid0(VALU_DEP_1)
	v_lshl_add_u32 v40, v17, 4, v25
	v_mov_b32_e32 v17, v6
	ds_store_b8 v22, v37 offset:8192
	s_wait_loadcnt 0x0
	ds_store_2addr_b64 v40, v[42:43], v[44:45] offset1:1
	s_branch .LBB184_14
.LBB184_19:                             ;   in Loop: Header=BB184_10 Depth=1
	s_or_b32 exec_lo, exec_lo, s23
.LBB184_20:                             ;   in Loop: Header=BB184_10 Depth=1
	s_delay_alu instid0(SALU_CYCLE_1)
	s_or_b32 exec_lo, exec_lo, s22
	ds_bpermute_b32 v5, v26, v17
	s_wait_dscnt 0x0
	ds_load_u8 v16, v22 offset:8192
	v_min_i32_e32 v5, v5, v17
	ds_bpermute_b32 v6, v27, v5
	s_wait_dscnt 0x0
	v_min_i32_e32 v5, v6, v5
	ds_bpermute_b32 v6, v28, v5
	s_wait_dscnt 0x0
	;; [unrolled: 3-line block ×4, first 2 shown]
	v_min_i32_e32 v5, v6, v5
	ds_bpermute_b32 v20, v31, v5
	v_and_b32_e32 v5, 1, v16
	s_delay_alu instid0(VALU_DEP_1)
	v_cmp_eq_u32_e32 vcc_lo, 1, v5
	v_mov_b32_e32 v5, 0
	s_and_saveexec_b32 s1, vcc_lo
	s_cbranch_execz .LBB184_9
; %bb.21:                               ;   in Loop: Header=BB184_10 Depth=1
	v_ashrrev_i32_e32 v5, 31, v4
	s_delay_alu instid0(VALU_DEP_1) | instskip(SKIP_3) | instid1(VALU_DEP_1)
	v_mul_u64_e32 v[16:17], s[16:17], v[4:5]
	v_add_nc_u32_e32 v5, s19, v39
	global_store_b32 v4, v5, s[8:9] scale_offset
	v_lshlrev_b64_e32 v[16:17], 4, v[16:17]
	v_add_nc_u64_e32 v[18:19], v[8:9], v[16:17]
	v_add_nc_u64_e32 v[16:17], v[10:11], v[16:17]
	s_wait_xcnt 0x0
	s_and_saveexec_b32 s22, s6
	s_cbranch_execz .LBB184_23
; %bb.22:                               ;   in Loop: Header=BB184_10 Depth=1
	ds_load_2addr_b64 v[40:43], v32 offset1:1
	v_lshl_add_u64 v[44:45], v[12:13], 4, v[18:19]
	s_delay_alu instid0(VALU_DEP_1)
	v_dual_cndmask_b32 v45, v45, v17, s0 :: v_dual_cndmask_b32 v44, v44, v16, s0
	s_wait_dscnt 0x0
	global_store_b128 v[44:45], v[40:43], off
.LBB184_23:                             ;   in Loop: Header=BB184_10 Depth=1
	s_wait_xcnt 0x0
	s_or_b32 exec_lo, exec_lo, s22
	s_and_saveexec_b32 s22, s14
	s_cbranch_execz .LBB184_8
; %bb.24:                               ;   in Loop: Header=BB184_10 Depth=1
	s_and_not1_b32 vcc_lo, exec_lo, s4
	s_mov_b32 s23, -1
	s_cbranch_vccnz .LBB184_26
; %bb.25:                               ;   in Loop: Header=BB184_10 Depth=1
	ds_load_2addr_b64 v[40:43], v35 offset1:1
	v_lshl_add_u64 v[18:19], v[14:15], 4, v[18:19]
	s_mov_b32 s23, 0
	s_wait_dscnt 0x0
	global_store_b128 v[18:19], v[40:43], off
.LBB184_26:                             ;   in Loop: Header=BB184_10 Depth=1
	s_and_not1_b32 vcc_lo, exec_lo, s23
	s_cbranch_vccnz .LBB184_8
; %bb.27:                               ;   in Loop: Header=BB184_10 Depth=1
	s_wait_xcnt 0x0
	ds_load_2addr_b64 v[40:43], v35 offset1:1
	s_wait_dscnt 0x0
	global_store_b128 v[16:17], v[40:43], off offset:512
	s_branch .LBB184_8
.LBB184_28:
	s_endpgm
	.section	.rodata,"a",@progbits
	.p2align	6, 0x0
	.amdhsa_kernel _ZN9rocsparseL44csr2gebsr_wavefront_per_row_multipass_kernelILi256ELi2ELi64ELi64E21rocsparse_complex_numIdEEEv20rocsparse_direction_iiiiii21rocsparse_index_base_PKT3_PKiS9_S4_PS5_PiSB_
		.amdhsa_group_segment_fixed_size 8200
		.amdhsa_private_segment_fixed_size 0
		.amdhsa_kernarg_size 88
		.amdhsa_user_sgpr_count 2
		.amdhsa_user_sgpr_dispatch_ptr 0
		.amdhsa_user_sgpr_queue_ptr 0
		.amdhsa_user_sgpr_kernarg_segment_ptr 1
		.amdhsa_user_sgpr_dispatch_id 0
		.amdhsa_user_sgpr_kernarg_preload_length 0
		.amdhsa_user_sgpr_kernarg_preload_offset 0
		.amdhsa_user_sgpr_private_segment_size 0
		.amdhsa_wavefront_size32 1
		.amdhsa_uses_dynamic_stack 0
		.amdhsa_enable_private_segment 0
		.amdhsa_system_sgpr_workgroup_id_x 1
		.amdhsa_system_sgpr_workgroup_id_y 0
		.amdhsa_system_sgpr_workgroup_id_z 0
		.amdhsa_system_sgpr_workgroup_info 0
		.amdhsa_system_vgpr_workitem_id 0
		.amdhsa_next_free_vgpr 46
		.amdhsa_next_free_sgpr 25
		.amdhsa_named_barrier_count 0
		.amdhsa_reserve_vcc 1
		.amdhsa_float_round_mode_32 0
		.amdhsa_float_round_mode_16_64 0
		.amdhsa_float_denorm_mode_32 3
		.amdhsa_float_denorm_mode_16_64 3
		.amdhsa_fp16_overflow 0
		.amdhsa_memory_ordered 1
		.amdhsa_forward_progress 1
		.amdhsa_inst_pref_size 14
		.amdhsa_round_robin_scheduling 0
		.amdhsa_exception_fp_ieee_invalid_op 0
		.amdhsa_exception_fp_denorm_src 0
		.amdhsa_exception_fp_ieee_div_zero 0
		.amdhsa_exception_fp_ieee_overflow 0
		.amdhsa_exception_fp_ieee_underflow 0
		.amdhsa_exception_fp_ieee_inexact 0
		.amdhsa_exception_int_div_zero 0
	.end_amdhsa_kernel
	.section	.text._ZN9rocsparseL44csr2gebsr_wavefront_per_row_multipass_kernelILi256ELi2ELi64ELi64E21rocsparse_complex_numIdEEEv20rocsparse_direction_iiiiii21rocsparse_index_base_PKT3_PKiS9_S4_PS5_PiSB_,"axG",@progbits,_ZN9rocsparseL44csr2gebsr_wavefront_per_row_multipass_kernelILi256ELi2ELi64ELi64E21rocsparse_complex_numIdEEEv20rocsparse_direction_iiiiii21rocsparse_index_base_PKT3_PKiS9_S4_PS5_PiSB_,comdat
.Lfunc_end184:
	.size	_ZN9rocsparseL44csr2gebsr_wavefront_per_row_multipass_kernelILi256ELi2ELi64ELi64E21rocsparse_complex_numIdEEEv20rocsparse_direction_iiiiii21rocsparse_index_base_PKT3_PKiS9_S4_PS5_PiSB_, .Lfunc_end184-_ZN9rocsparseL44csr2gebsr_wavefront_per_row_multipass_kernelILi256ELi2ELi64ELi64E21rocsparse_complex_numIdEEEv20rocsparse_direction_iiiiii21rocsparse_index_base_PKT3_PKiS9_S4_PS5_PiSB_
                                        ; -- End function
	.set _ZN9rocsparseL44csr2gebsr_wavefront_per_row_multipass_kernelILi256ELi2ELi64ELi64E21rocsparse_complex_numIdEEEv20rocsparse_direction_iiiiii21rocsparse_index_base_PKT3_PKiS9_S4_PS5_PiSB_.num_vgpr, 46
	.set _ZN9rocsparseL44csr2gebsr_wavefront_per_row_multipass_kernelILi256ELi2ELi64ELi64E21rocsparse_complex_numIdEEEv20rocsparse_direction_iiiiii21rocsparse_index_base_PKT3_PKiS9_S4_PS5_PiSB_.num_agpr, 0
	.set _ZN9rocsparseL44csr2gebsr_wavefront_per_row_multipass_kernelILi256ELi2ELi64ELi64E21rocsparse_complex_numIdEEEv20rocsparse_direction_iiiiii21rocsparse_index_base_PKT3_PKiS9_S4_PS5_PiSB_.numbered_sgpr, 25
	.set _ZN9rocsparseL44csr2gebsr_wavefront_per_row_multipass_kernelILi256ELi2ELi64ELi64E21rocsparse_complex_numIdEEEv20rocsparse_direction_iiiiii21rocsparse_index_base_PKT3_PKiS9_S4_PS5_PiSB_.num_named_barrier, 0
	.set _ZN9rocsparseL44csr2gebsr_wavefront_per_row_multipass_kernelILi256ELi2ELi64ELi64E21rocsparse_complex_numIdEEEv20rocsparse_direction_iiiiii21rocsparse_index_base_PKT3_PKiS9_S4_PS5_PiSB_.private_seg_size, 0
	.set _ZN9rocsparseL44csr2gebsr_wavefront_per_row_multipass_kernelILi256ELi2ELi64ELi64E21rocsparse_complex_numIdEEEv20rocsparse_direction_iiiiii21rocsparse_index_base_PKT3_PKiS9_S4_PS5_PiSB_.uses_vcc, 1
	.set _ZN9rocsparseL44csr2gebsr_wavefront_per_row_multipass_kernelILi256ELi2ELi64ELi64E21rocsparse_complex_numIdEEEv20rocsparse_direction_iiiiii21rocsparse_index_base_PKT3_PKiS9_S4_PS5_PiSB_.uses_flat_scratch, 0
	.set _ZN9rocsparseL44csr2gebsr_wavefront_per_row_multipass_kernelILi256ELi2ELi64ELi64E21rocsparse_complex_numIdEEEv20rocsparse_direction_iiiiii21rocsparse_index_base_PKT3_PKiS9_S4_PS5_PiSB_.has_dyn_sized_stack, 0
	.set _ZN9rocsparseL44csr2gebsr_wavefront_per_row_multipass_kernelILi256ELi2ELi64ELi64E21rocsparse_complex_numIdEEEv20rocsparse_direction_iiiiii21rocsparse_index_base_PKT3_PKiS9_S4_PS5_PiSB_.has_recursion, 0
	.set _ZN9rocsparseL44csr2gebsr_wavefront_per_row_multipass_kernelILi256ELi2ELi64ELi64E21rocsparse_complex_numIdEEEv20rocsparse_direction_iiiiii21rocsparse_index_base_PKT3_PKiS9_S4_PS5_PiSB_.has_indirect_call, 0
	.section	.AMDGPU.csdata,"",@progbits
; Kernel info:
; codeLenInByte = 1740
; TotalNumSgprs: 27
; NumVgprs: 46
; ScratchSize: 0
; MemoryBound: 0
; FloatMode: 240
; IeeeMode: 1
; LDSByteSize: 8200 bytes/workgroup (compile time only)
; SGPRBlocks: 0
; VGPRBlocks: 2
; NumSGPRsForWavesPerEU: 27
; NumVGPRsForWavesPerEU: 46
; NamedBarCnt: 0
; Occupancy: 16
; WaveLimiterHint : 0
; COMPUTE_PGM_RSRC2:SCRATCH_EN: 0
; COMPUTE_PGM_RSRC2:USER_SGPR: 2
; COMPUTE_PGM_RSRC2:TRAP_HANDLER: 0
; COMPUTE_PGM_RSRC2:TGID_X_EN: 1
; COMPUTE_PGM_RSRC2:TGID_Y_EN: 0
; COMPUTE_PGM_RSRC2:TGID_Z_EN: 0
; COMPUTE_PGM_RSRC2:TIDIG_COMP_CNT: 0
	.section	.text._ZN9rocsparseL44csr2gebsr_wavefront_per_row_multipass_kernelILi256ELi2ELi64ELi32E21rocsparse_complex_numIdEEEv20rocsparse_direction_iiiiii21rocsparse_index_base_PKT3_PKiS9_S4_PS5_PiSB_,"axG",@progbits,_ZN9rocsparseL44csr2gebsr_wavefront_per_row_multipass_kernelILi256ELi2ELi64ELi32E21rocsparse_complex_numIdEEEv20rocsparse_direction_iiiiii21rocsparse_index_base_PKT3_PKiS9_S4_PS5_PiSB_,comdat
	.globl	_ZN9rocsparseL44csr2gebsr_wavefront_per_row_multipass_kernelILi256ELi2ELi64ELi32E21rocsparse_complex_numIdEEEv20rocsparse_direction_iiiiii21rocsparse_index_base_PKT3_PKiS9_S4_PS5_PiSB_ ; -- Begin function _ZN9rocsparseL44csr2gebsr_wavefront_per_row_multipass_kernelILi256ELi2ELi64ELi32E21rocsparse_complex_numIdEEEv20rocsparse_direction_iiiiii21rocsparse_index_base_PKT3_PKiS9_S4_PS5_PiSB_
	.p2align	8
	.type	_ZN9rocsparseL44csr2gebsr_wavefront_per_row_multipass_kernelILi256ELi2ELi64ELi32E21rocsparse_complex_numIdEEEv20rocsparse_direction_iiiiii21rocsparse_index_base_PKT3_PKiS9_S4_PS5_PiSB_,@function
_ZN9rocsparseL44csr2gebsr_wavefront_per_row_multipass_kernelILi256ELi2ELi64ELi32E21rocsparse_complex_numIdEEEv20rocsparse_direction_iiiiii21rocsparse_index_base_PKT3_PKiS9_S4_PS5_PiSB_: ; @_ZN9rocsparseL44csr2gebsr_wavefront_per_row_multipass_kernelILi256ELi2ELi64ELi32E21rocsparse_complex_numIdEEEv20rocsparse_direction_iiiiii21rocsparse_index_base_PKT3_PKiS9_S4_PS5_PiSB_
; %bb.0:
	s_clause 0x1
	s_load_b128 s[4:7], s[0:1], 0xc
	s_load_b64 s[14:15], s[0:1], 0x0
	s_bfe_u32 s2, ttmp6, 0x4000c
	s_and_b32 s3, ttmp6, 15
	s_add_co_i32 s2, s2, 1
	s_getreg_b32 s8, hwreg(HW_REG_IB_STS2, 6, 4)
	s_mul_i32 s2, ttmp9, s2
	v_dual_lshrrev_b32 v26, 5, v0 :: v_dual_mov_b32 v4, 0
	s_add_co_i32 s3, s3, s2
	s_cmp_eq_u32 s8, 0
	v_bfe_u32 v1, v0, 4, 1
	s_cselect_b32 s2, ttmp9, s3
	s_clause 0x1
	s_load_b32 s20, s[0:1], 0x1c
	s_load_b64 s[8:9], s[0:1], 0x28
	v_lshl_or_b32 v2, s2, 3, v26
	v_mov_b32_e32 v24, 0
	s_wait_kmcnt 0x0
	s_delay_alu instid0(VALU_DEP_2) | instskip(SKIP_1) | instid1(VALU_DEP_2)
	v_mad_u32 v3, v2, s6, v1
	v_cmp_gt_i32_e32 vcc_lo, s6, v1
	v_cmp_gt_i32_e64 s2, s15, v3
	s_and_b32 s2, vcc_lo, s2
	s_delay_alu instid0(SALU_CYCLE_1)
	s_and_saveexec_b32 s3, s2
	s_cbranch_execz .LBB185_2
; %bb.1:
	global_load_b32 v5, v3, s[8:9] scale_offset
	s_wait_loadcnt 0x0
	v_subrev_nc_u32_e32 v24, s20, v5
.LBB185_2:
	s_or_b32 exec_lo, exec_lo, s3
	v_mov_b32_e32 v27, 0
	s_and_saveexec_b32 s3, s2
	s_cbranch_execz .LBB185_4
; %bb.3:
	global_load_b32 v3, v3, s[8:9] offset:4 scale_offset
	s_wait_loadcnt 0x0
	v_subrev_nc_u32_e32 v27, s20, v3
.LBB185_4:
	s_or_b32 exec_lo, exec_lo, s3
	s_load_b32 s21, s[0:1], 0x38
	s_mov_b32 s3, exec_lo
	v_cmpx_gt_i32_e64 s4, v2
	s_cbranch_execz .LBB185_6
; %bb.5:
	s_load_b64 s[8:9], s[0:1], 0x48
	s_wait_kmcnt 0x0
	global_load_b32 v2, v2, s[8:9] scale_offset
	s_wait_loadcnt 0x0
	v_subrev_nc_u32_e32 v4, s21, v2
.LBB185_6:
	s_or_b32 exec_lo, exec_lo, s3
	s_cmp_lt_i32 s5, 1
	s_cbranch_scc1 .LBB185_38
; %bb.7:
	v_mbcnt_lo_u32_b32 v5, -1, 0
	v_dual_lshlrev_b32 v0, 10, v1 :: v_dual_bitop2_b32 v28, 15, v0 bitop3:0x40
	s_clause 0x3
	s_load_b64 s[8:9], s[0:1], 0x50
	s_load_b64 s[2:3], s[0:1], 0x40
	;; [unrolled: 1-line block ×4, first 2 shown]
	v_dual_mov_b32 v7, 0 :: v_dual_bitop2_b32 v8, 16, v5 bitop3:0x14
	s_cmp_eq_u32 s14, 0
	v_lshl_or_b32 v29, v26, 11, v0
	v_xor_b32_e32 v0, 2, v5
	v_xor_b32_e32 v2, 8, v5
	s_wait_xcnt 0x0
	v_cmp_gt_i32_e64 s1, 32, v8
	s_mov_b32 s15, 0
	s_mov_b32 s16, s7
	v_lshl_or_b32 v34, v5, 2, 60
	v_cmp_gt_i32_e64 s0, 32, v2
	v_xor_b32_e32 v3, 4, v5
	v_mul_lo_u32 v12, v28, s6
	v_dual_mov_b32 v44, 0 :: v_dual_bitop2_b32 v41, -16, v28 bitop3:0x54
	s_delay_alu instid0(VALU_DEP_4) | instskip(NEXT) | instid1(VALU_DEP_4)
	v_cndmask_b32_e64 v2, v5, v2, s0
	v_cmp_gt_i32_e64 s0, 32, v3
	v_xor_b32_e32 v6, 1, v5
	s_mov_b32 s23, s15
	v_dual_mov_b32 v13, v7 :: v_dual_lshlrev_b32 v30, 2, v2
	v_cndmask_b32_e64 v2, v5, v3, s0
	v_cmp_gt_i32_e64 s0, 32, v0
	v_dual_mov_b32 v15, v7 :: v_dual_mov_b32 v42, 1
	v_dual_mov_b32 v17, v7 :: v_dual_mov_b32 v19, v7
	s_delay_alu instid0(VALU_DEP_3) | instskip(SKIP_1) | instid1(VALU_DEP_1)
	v_cndmask_b32_e64 v0, v5, v0, s0
	v_cmp_gt_i32_e64 s0, 32, v6
	v_dual_lshlrev_b32 v32, 2, v0 :: v_dual_cndmask_b32 v3, v5, v6, s0
	v_lshlrev_b32_e32 v31, 2, v2
	v_mul_lo_u32 v2, s7, v1
	s_cselect_b32 s0, -1, 0
	s_cmp_lg_u32 s14, 0
	v_dual_lshlrev_b32 v33, 2, v3 :: v_dual_lshlrev_b32 v0, 4, v28
	v_dual_mov_b32 v1, v7 :: v_dual_lshlrev_b32 v6, 4, v1
	s_cselect_b32 s22, -1, 0
	s_mov_b32 s14, s6
	s_ashr_i32 s17, s7, 31
	s_delay_alu instid0(VALU_DEP_3)
	v_dual_cndmask_b32 v5, v5, v8, s1 :: v_dual_ashrrev_i32 v3, 31, v2
	s_mul_u64 s[18:19], s[16:17], s[14:15]
	s_abs_i32 s16, s7
	s_wait_kmcnt 0x0
	v_add_nc_u64_e32 v[8:9], s[2:3], v[6:7]
	v_dual_lshlrev_b32 v36, 2, v5 :: v_dual_bitop2_b32 v35, v29, v0 bitop3:0x54
	v_lshl_add_u64 v[2:3], v[2:3], 4, s[2:3]
	s_cvt_f32_u32 s3, s16
	s_lshl_b32 s6, s6, 4
	s_delay_alu instid0(SALU_CYCLE_1) | instskip(NEXT) | instid1(VALU_DEP_2)
	v_dual_mov_b32 v37, 0x7c :: v_dual_add_nc_u32 v14, s6, v12
	v_add_nc_u64_e32 v[10:11], v[2:3], v[0:1]
	v_rcp_iflag_f32_e32 v1, s3
	v_or_b32_e32 v0, 16, v28
	v_cmp_gt_u32_e64 s1, s7, v28
	v_add_nc_u32_e32 v16, s6, v14
	v_or_b32_e32 v38, 0x100, v35
	v_or_b32_e32 v39, 0x200, v35
	v_cmp_gt_u32_e64 s2, s7, v0
	v_readfirstlane_b32 s14, v1
	v_or_b32_e32 v0, 32, v28
	v_add_nc_u32_e32 v18, s6, v16
	s_and_b32 s6, s1, vcc_lo
	s_sub_co_i32 s1, 0, s16
	s_mul_f32 s14, s14, 0x4f7ffffe
	v_cmp_gt_u32_e64 s3, s7, v0
	v_or_b32_e32 v0, 48, v28
	v_or_b32_e32 v40, 0x300, v35
	s_cvt_u32_f32 s14, s14
	v_dual_mov_b32 v1, v7 :: v_dual_mov_b32 v2, v7
	s_delay_alu instid0(VALU_DEP_3) | instskip(NEXT) | instid1(SALU_CYCLE_1)
	v_cmp_gt_u32_e64 s4, s7, v0
	s_mul_i32 s1, s1, s14
	v_dual_mov_b32 v0, v7 :: v_dual_mov_b32 v3, v7
	s_mul_hi_u32 s1, s14, s1
	s_and_b32 s2, vcc_lo, s2
	s_and_b32 s3, vcc_lo, s3
	;; [unrolled: 1-line block ×3, first 2 shown]
	s_add_co_i32 s14, s14, s1
	s_branch .LBB185_10
.LBB185_8:                              ;   in Loop: Header=BB185_10 Depth=1
	s_wait_xcnt 0x0
	s_or_b32 exec_lo, exec_lo, s24
	v_mov_b32_e32 v5, 1
.LBB185_9:                              ;   in Loop: Header=BB185_10 Depth=1
	s_or_b32 exec_lo, exec_lo, s1
	ds_bpermute_b32 v6, v36, v43
	s_wait_storecnt_dscnt 0x0
	v_dual_add_nc_u32 v4, v5, v4 :: v_dual_min_i32 v6, v6, v43
	ds_bpermute_b32 v20, v30, v6
	s_wait_dscnt 0x0
	v_min_i32_e32 v6, v20, v6
	ds_bpermute_b32 v20, v31, v6
	s_wait_dscnt 0x0
	v_min_i32_e32 v6, v20, v6
	;; [unrolled: 3-line block ×4, first 2 shown]
	ds_bpermute_b32 v44, v37, v6
	s_wait_dscnt 0x0
	v_cmp_le_i32_e32 vcc_lo, s5, v44
	s_or_b32 s23, vcc_lo, s23
	s_delay_alu instid0(SALU_CYCLE_1)
	s_and_not1_b32 exec_lo, exec_lo, s23
	s_cbranch_execz .LBB185_38
.LBB185_10:                             ; =>This Loop Header: Depth=1
                                        ;     Child Loop BB185_11 Depth 2
                                        ;     Child Loop BB185_15 Depth 2
	v_dual_mov_b32 v5, v35 :: v_dual_mov_b32 v6, v41
	s_mov_b32 s1, 0
	ds_store_b8 v26, v7 offset:16384
.LBB185_11:                             ;   Parent Loop BB185_10 Depth=1
                                        ; =>  This Inner Loop Header: Depth=2
	v_add_nc_u32_e32 v6, 16, v6
	ds_store_b128 v5, v[0:3]
	v_add_nc_u32_e32 v5, 0x100, v5
	v_cmp_lt_u32_e32 vcc_lo, 47, v6
	s_or_b32 s1, vcc_lo, s1
	s_delay_alu instid0(SALU_CYCLE_1)
	s_and_not1_b32 exec_lo, exec_lo, s1
	s_cbranch_execnz .LBB185_11
; %bb.12:                               ;   in Loop: Header=BB185_10 Depth=1
	s_or_b32 exec_lo, exec_lo, s1
	v_dual_mov_b32 v43, s5 :: v_dual_add_nc_u32 v20, v24, v28
	v_mov_b32_e32 v21, v27
	s_mov_b32 s24, exec_lo
	s_wait_dscnt 0x0
	s_delay_alu instid0(VALU_DEP_2)
	v_cmpx_lt_i32_e64 v20, v27
	s_cbranch_execz .LBB185_20
; %bb.13:                               ;   in Loop: Header=BB185_10 Depth=1
	v_mul_lo_u32 v5, v44, s7
	v_dual_ashrrev_i32 v21, 31, v20 :: v_dual_mov_b32 v43, s5
	s_mov_b32 s25, 0
	s_delay_alu instid0(VALU_DEP_1)
	v_lshl_add_u64 v[22:23], v[20:21], 2, s[12:13]
	v_lshl_add_u64 v[24:25], v[20:21], 4, s[10:11]
	v_mov_b32_e32 v21, v27
	s_branch .LBB185_15
.LBB185_14:                             ;   in Loop: Header=BB185_15 Depth=2
	s_wait_xcnt 0x0
	s_or_b32 exec_lo, exec_lo, s1
	v_add_nc_u32_e32 v20, 16, v20
	s_xor_b32 s26, vcc_lo, -1
	v_add_nc_u64_e32 v[22:23], 64, v[22:23]
	v_add_nc_u64_e32 v[24:25], 0x100, v[24:25]
	s_delay_alu instid0(VALU_DEP_3) | instskip(SKIP_1) | instid1(SALU_CYCLE_1)
	v_cmp_ge_i32_e64 s1, v20, v27
	s_or_b32 s1, s26, s1
	s_and_b32 s1, exec_lo, s1
	s_delay_alu instid0(SALU_CYCLE_1) | instskip(NEXT) | instid1(SALU_CYCLE_1)
	s_or_b32 s25, s1, s25
	s_and_not1_b32 exec_lo, exec_lo, s25
	s_cbranch_execz .LBB185_19
.LBB185_15:                             ;   Parent Loop BB185_10 Depth=1
                                        ; =>  This Inner Loop Header: Depth=2
	global_load_b32 v6, v[22:23], off
	s_wait_loadcnt 0x0
	v_subrev_nc_u32_e32 v45, s20, v6
	s_delay_alu instid0(VALU_DEP_1) | instskip(NEXT) | instid1(VALU_DEP_1)
	v_sub_nc_u32_e32 v6, 0, v45
	v_max_i32_e32 v6, v45, v6
	s_delay_alu instid0(VALU_DEP_1) | instskip(NEXT) | instid1(VALU_DEP_1)
	v_mul_u64_e32 v[46:47], s[14:15], v[6:7]
	v_mul_lo_u32 v46, v47, s16
	s_delay_alu instid0(VALU_DEP_1) | instskip(NEXT) | instid1(VALU_DEP_1)
	v_dual_sub_nc_u32 v6, v6, v46 :: v_dual_add_nc_u32 v46, 1, v47
	v_cmp_le_u32_e32 vcc_lo, s16, v6
	s_delay_alu instid0(VALU_DEP_2) | instskip(SKIP_1) | instid1(VALU_DEP_1)
	v_cndmask_b32_e32 v46, v47, v46, vcc_lo
	v_subrev_nc_u32_e32 v48, s16, v6
	v_dual_cndmask_b32 v6, v6, v48 :: v_dual_ashrrev_i32 v47, 31, v45
	s_delay_alu instid0(VALU_DEP_3) | instskip(NEXT) | instid1(VALU_DEP_2)
	v_add_nc_u32_e32 v48, 1, v46
	v_cmp_le_u32_e32 vcc_lo, s16, v6
	s_delay_alu instid0(VALU_DEP_2) | instskip(NEXT) | instid1(VALU_DEP_1)
	v_dual_cndmask_b32 v6, v46, v48, vcc_lo :: v_dual_bitop2_b32 v47, s17, v47 bitop3:0x14
	v_xor_b32_e32 v6, v6, v47
	s_delay_alu instid0(VALU_DEP_1) | instskip(NEXT) | instid1(VALU_DEP_1)
	v_dual_sub_nc_u32 v46, v6, v47 :: v_dual_mov_b32 v6, v21
	v_cmp_ne_u32_e64 s1, v46, v44
	v_cmp_eq_u32_e32 vcc_lo, v46, v44
	s_wait_xcnt 0x0
	s_and_saveexec_b32 s26, s1
	s_delay_alu instid0(SALU_CYCLE_1)
	s_xor_b32 s1, exec_lo, s26
; %bb.16:                               ;   in Loop: Header=BB185_15 Depth=2
	v_min_i32_e32 v43, v46, v43
                                        ; implicit-def: $vgpr45
                                        ; implicit-def: $vgpr6
; %bb.17:                               ;   in Loop: Header=BB185_15 Depth=2
	s_or_saveexec_b32 s1, s1
	v_mov_b32_e32 v21, v20
	s_xor_b32 exec_lo, exec_lo, s1
	s_cbranch_execz .LBB185_14
; %bb.18:                               ;   in Loop: Header=BB185_15 Depth=2
	global_load_b128 v[46:49], v[24:25], off
	v_sub_nc_u32_e32 v21, v45, v5
	s_delay_alu instid0(VALU_DEP_1)
	v_lshl_add_u32 v45, v21, 4, v29
	v_mov_b32_e32 v21, v6
	ds_store_b8 v26, v42 offset:16384
	s_wait_loadcnt 0x0
	ds_store_2addr_b64 v45, v[46:47], v[48:49] offset1:1
	s_branch .LBB185_14
.LBB185_19:                             ;   in Loop: Header=BB185_10 Depth=1
	s_or_b32 exec_lo, exec_lo, s25
.LBB185_20:                             ;   in Loop: Header=BB185_10 Depth=1
	s_delay_alu instid0(SALU_CYCLE_1)
	s_or_b32 exec_lo, exec_lo, s24
	ds_bpermute_b32 v5, v30, v21
	s_wait_dscnt 0x0
	ds_load_u8 v20, v26 offset:16384
	v_min_i32_e32 v5, v5, v21
	ds_bpermute_b32 v6, v31, v5
	s_wait_dscnt 0x0
	v_min_i32_e32 v5, v6, v5
	ds_bpermute_b32 v6, v32, v5
	s_wait_dscnt 0x0
	;; [unrolled: 3-line block ×3, first 2 shown]
	v_min_i32_e32 v5, v6, v5
	ds_bpermute_b32 v24, v34, v5
	v_and_b32_e32 v5, 1, v20
	s_delay_alu instid0(VALU_DEP_1)
	v_cmp_eq_u32_e32 vcc_lo, 1, v5
	v_mov_b32_e32 v5, 0
	s_and_saveexec_b32 s1, vcc_lo
	s_cbranch_execz .LBB185_9
; %bb.21:                               ;   in Loop: Header=BB185_10 Depth=1
	v_ashrrev_i32_e32 v5, 31, v4
	s_delay_alu instid0(VALU_DEP_1) | instskip(SKIP_3) | instid1(VALU_DEP_1)
	v_mul_u64_e32 v[20:21], s[18:19], v[4:5]
	v_add_nc_u32_e32 v5, s21, v44
	global_store_b32 v4, v5, s[8:9] scale_offset
	v_lshlrev_b64_e32 v[20:21], 4, v[20:21]
	v_add_nc_u64_e32 v[22:23], v[8:9], v[20:21]
	v_add_nc_u64_e32 v[20:21], v[10:11], v[20:21]
	s_wait_xcnt 0x0
	s_and_saveexec_b32 s24, s6
	s_cbranch_execz .LBB185_23
; %bb.22:                               ;   in Loop: Header=BB185_10 Depth=1
	ds_load_2addr_b64 v[44:47], v35 offset1:1
	v_lshl_add_u64 v[48:49], v[12:13], 4, v[22:23]
	s_delay_alu instid0(VALU_DEP_1)
	v_dual_cndmask_b32 v49, v49, v21, s0 :: v_dual_cndmask_b32 v48, v48, v20, s0
	s_wait_dscnt 0x0
	global_store_b128 v[48:49], v[44:47], off
.LBB185_23:                             ;   in Loop: Header=BB185_10 Depth=1
	s_wait_xcnt 0x0
	s_or_b32 exec_lo, exec_lo, s24
	s_and_saveexec_b32 s24, s2
	s_cbranch_execz .LBB185_28
; %bb.24:                               ;   in Loop: Header=BB185_10 Depth=1
	s_and_not1_b32 vcc_lo, exec_lo, s22
	s_mov_b32 s25, -1
	s_cbranch_vccnz .LBB185_26
; %bb.25:                               ;   in Loop: Header=BB185_10 Depth=1
	ds_load_2addr_b64 v[44:47], v38 offset1:1
	v_lshl_add_u64 v[48:49], v[14:15], 4, v[22:23]
	s_mov_b32 s25, 0
	s_wait_dscnt 0x0
	global_store_b128 v[48:49], v[44:47], off
.LBB185_26:                             ;   in Loop: Header=BB185_10 Depth=1
	s_and_not1_b32 vcc_lo, exec_lo, s25
	s_cbranch_vccnz .LBB185_28
; %bb.27:                               ;   in Loop: Header=BB185_10 Depth=1
	s_wait_xcnt 0x0
	ds_load_2addr_b64 v[44:47], v38 offset1:1
	s_wait_dscnt 0x0
	global_store_b128 v[20:21], v[44:47], off offset:256
.LBB185_28:                             ;   in Loop: Header=BB185_10 Depth=1
	s_wait_xcnt 0x0
	s_or_b32 exec_lo, exec_lo, s24
	s_and_saveexec_b32 s24, s3
	s_cbranch_execz .LBB185_33
; %bb.29:                               ;   in Loop: Header=BB185_10 Depth=1
	s_and_not1_b32 vcc_lo, exec_lo, s22
	s_mov_b32 s25, -1
	s_cbranch_vccnz .LBB185_31
; %bb.30:                               ;   in Loop: Header=BB185_10 Depth=1
	ds_load_2addr_b64 v[44:47], v39 offset1:1
	v_lshl_add_u64 v[48:49], v[16:17], 4, v[22:23]
	s_mov_b32 s25, 0
	s_wait_dscnt 0x0
	global_store_b128 v[48:49], v[44:47], off
.LBB185_31:                             ;   in Loop: Header=BB185_10 Depth=1
	s_and_not1_b32 vcc_lo, exec_lo, s25
	s_cbranch_vccnz .LBB185_33
; %bb.32:                               ;   in Loop: Header=BB185_10 Depth=1
	s_wait_xcnt 0x0
	ds_load_2addr_b64 v[44:47], v39 offset1:1
	s_wait_dscnt 0x0
	global_store_b128 v[20:21], v[44:47], off offset:512
.LBB185_33:                             ;   in Loop: Header=BB185_10 Depth=1
	s_wait_xcnt 0x0
	s_or_b32 exec_lo, exec_lo, s24
	s_and_saveexec_b32 s24, s4
	s_cbranch_execz .LBB185_8
; %bb.34:                               ;   in Loop: Header=BB185_10 Depth=1
	s_and_not1_b32 vcc_lo, exec_lo, s22
	s_mov_b32 s25, -1
	s_cbranch_vccnz .LBB185_36
; %bb.35:                               ;   in Loop: Header=BB185_10 Depth=1
	ds_load_2addr_b64 v[44:47], v40 offset1:1
	v_lshl_add_u64 v[22:23], v[18:19], 4, v[22:23]
	s_mov_b32 s25, 0
	s_wait_dscnt 0x0
	global_store_b128 v[22:23], v[44:47], off
.LBB185_36:                             ;   in Loop: Header=BB185_10 Depth=1
	s_and_not1_b32 vcc_lo, exec_lo, s25
	s_cbranch_vccnz .LBB185_8
; %bb.37:                               ;   in Loop: Header=BB185_10 Depth=1
	s_wait_xcnt 0x0
	ds_load_2addr_b64 v[44:47], v40 offset1:1
	s_wait_dscnt 0x0
	global_store_b128 v[20:21], v[44:47], off offset:768
	s_branch .LBB185_8
.LBB185_38:
	s_endpgm
	.section	.rodata,"a",@progbits
	.p2align	6, 0x0
	.amdhsa_kernel _ZN9rocsparseL44csr2gebsr_wavefront_per_row_multipass_kernelILi256ELi2ELi64ELi32E21rocsparse_complex_numIdEEEv20rocsparse_direction_iiiiii21rocsparse_index_base_PKT3_PKiS9_S4_PS5_PiSB_
		.amdhsa_group_segment_fixed_size 16392
		.amdhsa_private_segment_fixed_size 0
		.amdhsa_kernarg_size 88
		.amdhsa_user_sgpr_count 2
		.amdhsa_user_sgpr_dispatch_ptr 0
		.amdhsa_user_sgpr_queue_ptr 0
		.amdhsa_user_sgpr_kernarg_segment_ptr 1
		.amdhsa_user_sgpr_dispatch_id 0
		.amdhsa_user_sgpr_kernarg_preload_length 0
		.amdhsa_user_sgpr_kernarg_preload_offset 0
		.amdhsa_user_sgpr_private_segment_size 0
		.amdhsa_wavefront_size32 1
		.amdhsa_uses_dynamic_stack 0
		.amdhsa_enable_private_segment 0
		.amdhsa_system_sgpr_workgroup_id_x 1
		.amdhsa_system_sgpr_workgroup_id_y 0
		.amdhsa_system_sgpr_workgroup_id_z 0
		.amdhsa_system_sgpr_workgroup_info 0
		.amdhsa_system_vgpr_workitem_id 0
		.amdhsa_next_free_vgpr 50
		.amdhsa_next_free_sgpr 27
		.amdhsa_named_barrier_count 0
		.amdhsa_reserve_vcc 1
		.amdhsa_float_round_mode_32 0
		.amdhsa_float_round_mode_16_64 0
		.amdhsa_float_denorm_mode_32 3
		.amdhsa_float_denorm_mode_16_64 3
		.amdhsa_fp16_overflow 0
		.amdhsa_memory_ordered 1
		.amdhsa_forward_progress 1
		.amdhsa_inst_pref_size 16
		.amdhsa_round_robin_scheduling 0
		.amdhsa_exception_fp_ieee_invalid_op 0
		.amdhsa_exception_fp_denorm_src 0
		.amdhsa_exception_fp_ieee_div_zero 0
		.amdhsa_exception_fp_ieee_overflow 0
		.amdhsa_exception_fp_ieee_underflow 0
		.amdhsa_exception_fp_ieee_inexact 0
		.amdhsa_exception_int_div_zero 0
	.end_amdhsa_kernel
	.section	.text._ZN9rocsparseL44csr2gebsr_wavefront_per_row_multipass_kernelILi256ELi2ELi64ELi32E21rocsparse_complex_numIdEEEv20rocsparse_direction_iiiiii21rocsparse_index_base_PKT3_PKiS9_S4_PS5_PiSB_,"axG",@progbits,_ZN9rocsparseL44csr2gebsr_wavefront_per_row_multipass_kernelILi256ELi2ELi64ELi32E21rocsparse_complex_numIdEEEv20rocsparse_direction_iiiiii21rocsparse_index_base_PKT3_PKiS9_S4_PS5_PiSB_,comdat
.Lfunc_end185:
	.size	_ZN9rocsparseL44csr2gebsr_wavefront_per_row_multipass_kernelILi256ELi2ELi64ELi32E21rocsparse_complex_numIdEEEv20rocsparse_direction_iiiiii21rocsparse_index_base_PKT3_PKiS9_S4_PS5_PiSB_, .Lfunc_end185-_ZN9rocsparseL44csr2gebsr_wavefront_per_row_multipass_kernelILi256ELi2ELi64ELi32E21rocsparse_complex_numIdEEEv20rocsparse_direction_iiiiii21rocsparse_index_base_PKT3_PKiS9_S4_PS5_PiSB_
                                        ; -- End function
	.set _ZN9rocsparseL44csr2gebsr_wavefront_per_row_multipass_kernelILi256ELi2ELi64ELi32E21rocsparse_complex_numIdEEEv20rocsparse_direction_iiiiii21rocsparse_index_base_PKT3_PKiS9_S4_PS5_PiSB_.num_vgpr, 50
	.set _ZN9rocsparseL44csr2gebsr_wavefront_per_row_multipass_kernelILi256ELi2ELi64ELi32E21rocsparse_complex_numIdEEEv20rocsparse_direction_iiiiii21rocsparse_index_base_PKT3_PKiS9_S4_PS5_PiSB_.num_agpr, 0
	.set _ZN9rocsparseL44csr2gebsr_wavefront_per_row_multipass_kernelILi256ELi2ELi64ELi32E21rocsparse_complex_numIdEEEv20rocsparse_direction_iiiiii21rocsparse_index_base_PKT3_PKiS9_S4_PS5_PiSB_.numbered_sgpr, 27
	.set _ZN9rocsparseL44csr2gebsr_wavefront_per_row_multipass_kernelILi256ELi2ELi64ELi32E21rocsparse_complex_numIdEEEv20rocsparse_direction_iiiiii21rocsparse_index_base_PKT3_PKiS9_S4_PS5_PiSB_.num_named_barrier, 0
	.set _ZN9rocsparseL44csr2gebsr_wavefront_per_row_multipass_kernelILi256ELi2ELi64ELi32E21rocsparse_complex_numIdEEEv20rocsparse_direction_iiiiii21rocsparse_index_base_PKT3_PKiS9_S4_PS5_PiSB_.private_seg_size, 0
	.set _ZN9rocsparseL44csr2gebsr_wavefront_per_row_multipass_kernelILi256ELi2ELi64ELi32E21rocsparse_complex_numIdEEEv20rocsparse_direction_iiiiii21rocsparse_index_base_PKT3_PKiS9_S4_PS5_PiSB_.uses_vcc, 1
	.set _ZN9rocsparseL44csr2gebsr_wavefront_per_row_multipass_kernelILi256ELi2ELi64ELi32E21rocsparse_complex_numIdEEEv20rocsparse_direction_iiiiii21rocsparse_index_base_PKT3_PKiS9_S4_PS5_PiSB_.uses_flat_scratch, 0
	.set _ZN9rocsparseL44csr2gebsr_wavefront_per_row_multipass_kernelILi256ELi2ELi64ELi32E21rocsparse_complex_numIdEEEv20rocsparse_direction_iiiiii21rocsparse_index_base_PKT3_PKiS9_S4_PS5_PiSB_.has_dyn_sized_stack, 0
	.set _ZN9rocsparseL44csr2gebsr_wavefront_per_row_multipass_kernelILi256ELi2ELi64ELi32E21rocsparse_complex_numIdEEEv20rocsparse_direction_iiiiii21rocsparse_index_base_PKT3_PKiS9_S4_PS5_PiSB_.has_recursion, 0
	.set _ZN9rocsparseL44csr2gebsr_wavefront_per_row_multipass_kernelILi256ELi2ELi64ELi32E21rocsparse_complex_numIdEEEv20rocsparse_direction_iiiiii21rocsparse_index_base_PKT3_PKiS9_S4_PS5_PiSB_.has_indirect_call, 0
	.section	.AMDGPU.csdata,"",@progbits
; Kernel info:
; codeLenInByte = 1932
; TotalNumSgprs: 29
; NumVgprs: 50
; ScratchSize: 0
; MemoryBound: 0
; FloatMode: 240
; IeeeMode: 1
; LDSByteSize: 16392 bytes/workgroup (compile time only)
; SGPRBlocks: 0
; VGPRBlocks: 3
; NumSGPRsForWavesPerEU: 29
; NumVGPRsForWavesPerEU: 50
; NamedBarCnt: 0
; Occupancy: 16
; WaveLimiterHint : 0
; COMPUTE_PGM_RSRC2:SCRATCH_EN: 0
; COMPUTE_PGM_RSRC2:USER_SGPR: 2
; COMPUTE_PGM_RSRC2:TRAP_HANDLER: 0
; COMPUTE_PGM_RSRC2:TGID_X_EN: 1
; COMPUTE_PGM_RSRC2:TGID_Y_EN: 0
; COMPUTE_PGM_RSRC2:TGID_Z_EN: 0
; COMPUTE_PGM_RSRC2:TIDIG_COMP_CNT: 0
	.section	.text._ZN9rocsparseL44csr2gebsr_wavefront_per_row_multipass_kernelILi256ELi4ELi2ELi8E21rocsparse_complex_numIdEEEv20rocsparse_direction_iiiiii21rocsparse_index_base_PKT3_PKiS9_S4_PS5_PiSB_,"axG",@progbits,_ZN9rocsparseL44csr2gebsr_wavefront_per_row_multipass_kernelILi256ELi4ELi2ELi8E21rocsparse_complex_numIdEEEv20rocsparse_direction_iiiiii21rocsparse_index_base_PKT3_PKiS9_S4_PS5_PiSB_,comdat
	.globl	_ZN9rocsparseL44csr2gebsr_wavefront_per_row_multipass_kernelILi256ELi4ELi2ELi8E21rocsparse_complex_numIdEEEv20rocsparse_direction_iiiiii21rocsparse_index_base_PKT3_PKiS9_S4_PS5_PiSB_ ; -- Begin function _ZN9rocsparseL44csr2gebsr_wavefront_per_row_multipass_kernelILi256ELi4ELi2ELi8E21rocsparse_complex_numIdEEEv20rocsparse_direction_iiiiii21rocsparse_index_base_PKT3_PKiS9_S4_PS5_PiSB_
	.p2align	8
	.type	_ZN9rocsparseL44csr2gebsr_wavefront_per_row_multipass_kernelILi256ELi4ELi2ELi8E21rocsparse_complex_numIdEEEv20rocsparse_direction_iiiiii21rocsparse_index_base_PKT3_PKiS9_S4_PS5_PiSB_,@function
_ZN9rocsparseL44csr2gebsr_wavefront_per_row_multipass_kernelILi256ELi4ELi2ELi8E21rocsparse_complex_numIdEEEv20rocsparse_direction_iiiiii21rocsparse_index_base_PKT3_PKiS9_S4_PS5_PiSB_: ; @_ZN9rocsparseL44csr2gebsr_wavefront_per_row_multipass_kernelILi256ELi4ELi2ELi8E21rocsparse_complex_numIdEEEv20rocsparse_direction_iiiiii21rocsparse_index_base_PKT3_PKiS9_S4_PS5_PiSB_
; %bb.0:
	s_clause 0x1
	s_load_b128 s[4:7], s[0:1], 0xc
	s_load_b64 s[12:13], s[0:1], 0x0
	s_bfe_u32 s2, ttmp6, 0x4000c
	s_and_b32 s3, ttmp6, 15
	s_add_co_i32 s2, s2, 1
	s_getreg_b32 s8, hwreg(HW_REG_IB_STS2, 6, 4)
	s_mul_i32 s2, ttmp9, s2
	v_dual_lshrrev_b32 v16, 3, v0 :: v_dual_mov_b32 v4, 0
	s_add_co_i32 s3, s3, s2
	s_cmp_eq_u32 s8, 0
	v_bfe_u32 v1, v0, 1, 2
	s_cselect_b32 s2, ttmp9, s3
	s_clause 0x1
	s_load_b32 s16, s[0:1], 0x1c
	s_load_b64 s[8:9], s[0:1], 0x28
	v_lshl_or_b32 v2, s2, 5, v16
	v_mov_b32_e32 v10, 0
	s_wait_kmcnt 0x0
	s_delay_alu instid0(VALU_DEP_2) | instskip(SKIP_1) | instid1(VALU_DEP_2)
	v_mad_u32 v3, v2, s6, v1
	v_cmp_gt_i32_e32 vcc_lo, s6, v1
	v_cmp_gt_i32_e64 s2, s13, v3
	s_and_b32 s2, vcc_lo, s2
	s_delay_alu instid0(SALU_CYCLE_1)
	s_and_saveexec_b32 s3, s2
	s_cbranch_execz .LBB186_2
; %bb.1:
	global_load_b32 v5, v3, s[8:9] scale_offset
	s_wait_loadcnt 0x0
	v_subrev_nc_u32_e32 v10, s16, v5
.LBB186_2:
	s_or_b32 exec_lo, exec_lo, s3
	v_mov_b32_e32 v17, 0
	s_and_saveexec_b32 s3, s2
	s_cbranch_execz .LBB186_4
; %bb.3:
	global_load_b32 v3, v3, s[8:9] offset:4 scale_offset
	s_wait_loadcnt 0x0
	v_subrev_nc_u32_e32 v17, s16, v3
.LBB186_4:
	s_or_b32 exec_lo, exec_lo, s3
	s_load_b32 s17, s[0:1], 0x38
	s_mov_b32 s3, exec_lo
	v_cmpx_gt_i32_e64 s4, v2
	s_cbranch_execz .LBB186_6
; %bb.5:
	s_load_b64 s[8:9], s[0:1], 0x48
	s_wait_kmcnt 0x0
	global_load_b32 v2, v2, s[8:9] scale_offset
	s_wait_loadcnt 0x0
	v_subrev_nc_u32_e32 v4, s17, v2
.LBB186_6:
	s_or_b32 exec_lo, exec_lo, s3
	s_cmp_lt_i32 s5, 1
	s_cbranch_scc1 .LBB186_21
; %bb.7:
	s_load_b64 s[14:15], s[0:1], 0x40
	v_dual_lshlrev_b32 v11, 5, v1 :: v_dual_bitop2_b32 v6, 1, v0 bitop3:0x40
	v_mul_lo_u32 v2, s7, v1
	v_mbcnt_lo_u32_b32 v5, -1, 0
	s_clause 0x2
	s_load_b64 s[2:3], s[0:1], 0x50
	s_load_b64 s[8:9], s[0:1], 0x20
	;; [unrolled: 1-line block ×3, first 2 shown]
	s_wait_xcnt 0x0
	v_cmp_gt_u32_e64 s0, s7, v6
	v_mul_lo_u32 v8, s6, v6
	v_dual_mov_b32 v9, 0 :: v_dual_bitop2_b32 v18, 1, v5 bitop3:0x14
	v_and_b32_e32 v7, 0xf8, v0
	s_and_b32 s4, vcc_lo, s0
	s_cmp_eq_u32 s12, 0
	v_lshlrev_b32_e32 v12, 4, v6
	s_cselect_b32 vcc_lo, -1, 0
	s_abs_i32 s18, s7
	v_cmp_gt_i32_e64 s1, 32, v18
	v_dual_ashrrev_i32 v3, 31, v2 :: v_dual_mov_b32 v13, v9
	s_cvt_f32_u32 s0, s18
	s_wait_kmcnt 0x0
	v_lshl_add_u64 v[14:15], v[8:9], 4, s[14:15]
	v_cndmask_b32_e64 v19, v5, v18, s1
	v_lshl_or_b32 v18, v7, 4, v11
	v_rcp_iflag_f32_e32 v7, s0
	v_lshlrev_b32_e32 v8, 4, v1
	v_lshl_add_u64 v[0:1], v[2:3], 4, s[14:15]
	v_xor_b32_e32 v11, 4, v5
	s_mov_b32 s12, s6
	s_sub_co_i32 s14, 0, s18
	v_add_nc_u64_e32 v[2:3], v[14:15], v[8:9]
	v_add_nc_u64_e32 v[0:1], v[0:1], v[12:13]
	v_cmp_gt_i32_e64 s0, 32, v11
	v_or_b32_e32 v21, v18, v12
	v_xor_b32_e32 v12, 2, v5
	v_readfirstlane_b32 s6, v7
	v_mov_b32_e32 v7, v9
	v_dual_cndmask_b32 v11, v5, v11, s0 :: v_dual_lshlrev_b32 v8, 2, v5
	s_delay_alu instid0(VALU_DEP_4)
	v_cmp_gt_i32_e64 s0, 32, v12
	s_mul_f32 s6, s6, 0x4f7ffffe
	v_dual_lshlrev_b32 v19, 2, v19 :: v_dual_cndmask_b32 v13, v3, v1, vcc_lo
	v_or_b32_e32 v24, 28, v8
	v_cndmask_b32_e64 v5, v5, v12, s0
	s_cvt_u32_f32 s6, s6
	v_dual_lshlrev_b32 v22, 2, v11 :: v_dual_bitop2_b32 v20, 4, v8 bitop3:0x54
	v_dual_cndmask_b32 v12, v2, v0, vcc_lo :: v_dual_mov_b32 v0, v9
	s_delay_alu instid0(SALU_CYCLE_1)
	s_mul_i32 s14, s14, s6
	v_dual_lshlrev_b32 v23, 2, v5 :: v_dual_mov_b32 v1, v9
	v_dual_mov_b32 v2, v9 :: v_dual_mov_b32 v3, v9
	v_dual_mov_b32 v25, 1 :: v_dual_mov_b32 v5, 0
	s_mov_b32 s13, 0
	s_ashr_i32 s1, s7, 31
	s_mov_b32 s0, s7
	s_mul_hi_u32 s19, s6, s14
	s_mul_u64 s[14:15], s[0:1], s[12:13]
	s_add_co_i32 s12, s6, s19
	s_mov_b32 s6, s13
	s_branch .LBB186_10
.LBB186_8:                              ;   in Loop: Header=BB186_10 Depth=1
	s_wait_xcnt 0x0
	s_or_b32 exec_lo, exec_lo, s19
	v_mov_b32_e32 v8, 1
.LBB186_9:                              ;   in Loop: Header=BB186_10 Depth=1
	s_or_b32 exec_lo, exec_lo, s0
	ds_bpermute_b32 v5, v22, v26
	s_wait_storecnt_dscnt 0x0
	v_dual_add_nc_u32 v4, v8, v4 :: v_dual_min_i32 v5, v5, v26
	ds_bpermute_b32 v11, v23, v5
	s_wait_dscnt 0x0
	v_min_i32_e32 v5, v11, v5
	ds_bpermute_b32 v11, v19, v5
	s_wait_dscnt 0x0
	v_min_i32_e32 v5, v11, v5
	ds_bpermute_b32 v5, v24, v5
	s_wait_dscnt 0x0
	v_cmp_le_i32_e32 vcc_lo, s5, v5
	s_or_b32 s6, vcc_lo, s6
	s_delay_alu instid0(SALU_CYCLE_1)
	s_and_not1_b32 exec_lo, exec_lo, s6
	s_cbranch_execz .LBB186_21
.LBB186_10:                             ; =>This Loop Header: Depth=1
                                        ;     Child Loop BB186_13 Depth 2
	v_dual_mov_b32 v26, s5 :: v_dual_add_nc_u32 v27, v10, v6
	v_mov_b32_e32 v29, v17
	s_mov_b32 s19, exec_lo
	ds_store_b8 v16, v9 offset:4096
	ds_store_b128 v21, v[0:3]
	s_wait_dscnt 0x0
	v_cmpx_lt_i32_e64 v27, v17
	s_cbranch_execz .LBB186_18
; %bb.11:                               ;   in Loop: Header=BB186_10 Depth=1
	v_dual_mov_b32 v26, s5 :: v_dual_ashrrev_i32 v11, 31, v10
	v_mul_lo_u32 v28, v5, s7
	v_mov_b32_e32 v29, v17
	s_mov_b32 s20, 0
	s_delay_alu instid0(VALU_DEP_3) | instskip(NEXT) | instid1(VALU_DEP_1)
	v_add_nc_u64_e32 v[14:15], v[6:7], v[10:11]
	v_lshl_add_u64 v[10:11], v[14:15], 2, s[10:11]
	v_lshl_add_u64 v[14:15], v[14:15], 4, s[8:9]
	s_branch .LBB186_13
.LBB186_12:                             ;   in Loop: Header=BB186_13 Depth=2
	s_wait_xcnt 0x0
	s_or_b32 exec_lo, exec_lo, s0
	v_add_nc_u32_e32 v27, 2, v27
	s_xor_b32 s21, vcc_lo, -1
	v_add_nc_u64_e32 v[10:11], 8, v[10:11]
	v_add_nc_u64_e32 v[14:15], 32, v[14:15]
	s_delay_alu instid0(VALU_DEP_3) | instskip(SKIP_1) | instid1(SALU_CYCLE_1)
	v_cmp_ge_i32_e64 s0, v27, v17
	s_or_b32 s0, s21, s0
	s_and_b32 s0, exec_lo, s0
	s_delay_alu instid0(SALU_CYCLE_1) | instskip(NEXT) | instid1(SALU_CYCLE_1)
	s_or_b32 s20, s0, s20
	s_and_not1_b32 exec_lo, exec_lo, s20
	s_cbranch_execz .LBB186_17
.LBB186_13:                             ;   Parent Loop BB186_10 Depth=1
                                        ; =>  This Inner Loop Header: Depth=2
	global_load_b32 v8, v[10:11], off
	s_wait_loadcnt 0x0
	v_subrev_nc_u32_e32 v30, s16, v8
	s_delay_alu instid0(VALU_DEP_1) | instskip(NEXT) | instid1(VALU_DEP_1)
	v_sub_nc_u32_e32 v8, 0, v30
	v_max_i32_e32 v8, v30, v8
	s_delay_alu instid0(VALU_DEP_1) | instskip(NEXT) | instid1(VALU_DEP_1)
	v_mul_u64_e32 v[32:33], s[12:13], v[8:9]
	v_mul_lo_u32 v31, v33, s18
	s_delay_alu instid0(VALU_DEP_1) | instskip(NEXT) | instid1(VALU_DEP_1)
	v_dual_sub_nc_u32 v8, v8, v31 :: v_dual_add_nc_u32 v31, 1, v33
	v_cmp_le_u32_e32 vcc_lo, s18, v8
	s_delay_alu instid0(VALU_DEP_2) | instskip(SKIP_1) | instid1(VALU_DEP_1)
	v_dual_cndmask_b32 v31, v33, v31, vcc_lo :: v_dual_ashrrev_i32 v33, 31, v30
	v_subrev_nc_u32_e32 v32, s18, v8
	v_dual_cndmask_b32 v8, v8, v32, vcc_lo :: v_dual_add_nc_u32 v32, 1, v31
	s_delay_alu instid0(VALU_DEP_1) | instskip(NEXT) | instid1(VALU_DEP_2)
	v_cmp_le_u32_e32 vcc_lo, s18, v8
	v_dual_cndmask_b32 v8, v31, v32, vcc_lo :: v_dual_bitop2_b32 v33, s1, v33 bitop3:0x14
	s_delay_alu instid0(VALU_DEP_1) | instskip(NEXT) | instid1(VALU_DEP_1)
	v_xor_b32_e32 v8, v8, v33
	v_dual_mov_b32 v8, v29 :: v_dual_sub_nc_u32 v31, v8, v33
	s_delay_alu instid0(VALU_DEP_1) | instskip(SKIP_3) | instid1(SALU_CYCLE_1)
	v_cmp_ne_u32_e64 s0, v31, v5
	v_cmp_eq_u32_e32 vcc_lo, v31, v5
	s_wait_xcnt 0x0
	s_and_saveexec_b32 s21, s0
	s_xor_b32 s0, exec_lo, s21
; %bb.14:                               ;   in Loop: Header=BB186_13 Depth=2
	v_min_i32_e32 v26, v31, v26
                                        ; implicit-def: $vgpr30
                                        ; implicit-def: $vgpr8
; %bb.15:                               ;   in Loop: Header=BB186_13 Depth=2
	s_or_saveexec_b32 s0, s0
	v_mov_b32_e32 v29, v27
	s_xor_b32 exec_lo, exec_lo, s0
	s_cbranch_execz .LBB186_12
; %bb.16:                               ;   in Loop: Header=BB186_13 Depth=2
	global_load_b128 v[32:35], v[14:15], off
	v_sub_nc_u32_e32 v29, v30, v28
	s_delay_alu instid0(VALU_DEP_1)
	v_lshl_add_u32 v30, v29, 4, v18
	v_mov_b32_e32 v29, v8
	ds_store_b8 v16, v25 offset:4096
	s_wait_loadcnt 0x0
	ds_store_2addr_b64 v30, v[32:33], v[34:35] offset1:1
	s_branch .LBB186_12
.LBB186_17:                             ;   in Loop: Header=BB186_10 Depth=1
	s_or_b32 exec_lo, exec_lo, s20
.LBB186_18:                             ;   in Loop: Header=BB186_10 Depth=1
	s_delay_alu instid0(SALU_CYCLE_1)
	s_or_b32 exec_lo, exec_lo, s19
	ds_bpermute_b32 v8, v19, v29
	s_wait_dscnt 0x0
	ds_load_u8 v11, v16 offset:4096
	v_min_i32_e32 v8, v8, v29
	ds_bpermute_b32 v10, v20, v8
	s_wait_dscnt 0x1
	v_and_b32_e32 v8, 1, v11
	s_delay_alu instid0(VALU_DEP_1)
	v_cmp_eq_u32_e32 vcc_lo, 1, v8
	v_mov_b32_e32 v8, 0
	s_and_saveexec_b32 s0, vcc_lo
	s_cbranch_execz .LBB186_9
; %bb.19:                               ;   in Loop: Header=BB186_10 Depth=1
	v_add_nc_u32_e32 v5, s17, v5
	global_store_b32 v4, v5, s[2:3] scale_offset
	s_wait_xcnt 0x0
	s_and_saveexec_b32 s19, s4
	s_cbranch_execz .LBB186_8
; %bb.20:                               ;   in Loop: Header=BB186_10 Depth=1
	v_ashrrev_i32_e32 v5, 31, v4
	ds_load_2addr_b64 v[28:31], v21 offset1:1
	v_mul_u64_e32 v[14:15], s[14:15], v[4:5]
	s_delay_alu instid0(VALU_DEP_1)
	v_lshl_add_u64 v[14:15], v[14:15], 4, v[12:13]
	s_wait_dscnt 0x0
	global_store_b128 v[14:15], v[28:31], off
	s_branch .LBB186_8
.LBB186_21:
	s_endpgm
	.section	.rodata,"a",@progbits
	.p2align	6, 0x0
	.amdhsa_kernel _ZN9rocsparseL44csr2gebsr_wavefront_per_row_multipass_kernelILi256ELi4ELi2ELi8E21rocsparse_complex_numIdEEEv20rocsparse_direction_iiiiii21rocsparse_index_base_PKT3_PKiS9_S4_PS5_PiSB_
		.amdhsa_group_segment_fixed_size 4128
		.amdhsa_private_segment_fixed_size 0
		.amdhsa_kernarg_size 88
		.amdhsa_user_sgpr_count 2
		.amdhsa_user_sgpr_dispatch_ptr 0
		.amdhsa_user_sgpr_queue_ptr 0
		.amdhsa_user_sgpr_kernarg_segment_ptr 1
		.amdhsa_user_sgpr_dispatch_id 0
		.amdhsa_user_sgpr_kernarg_preload_length 0
		.amdhsa_user_sgpr_kernarg_preload_offset 0
		.amdhsa_user_sgpr_private_segment_size 0
		.amdhsa_wavefront_size32 1
		.amdhsa_uses_dynamic_stack 0
		.amdhsa_enable_private_segment 0
		.amdhsa_system_sgpr_workgroup_id_x 1
		.amdhsa_system_sgpr_workgroup_id_y 0
		.amdhsa_system_sgpr_workgroup_id_z 0
		.amdhsa_system_sgpr_workgroup_info 0
		.amdhsa_system_vgpr_workitem_id 0
		.amdhsa_next_free_vgpr 36
		.amdhsa_next_free_sgpr 22
		.amdhsa_named_barrier_count 0
		.amdhsa_reserve_vcc 1
		.amdhsa_float_round_mode_32 0
		.amdhsa_float_round_mode_16_64 0
		.amdhsa_float_denorm_mode_32 3
		.amdhsa_float_denorm_mode_16_64 3
		.amdhsa_fp16_overflow 0
		.amdhsa_memory_ordered 1
		.amdhsa_forward_progress 1
		.amdhsa_inst_pref_size 11
		.amdhsa_round_robin_scheduling 0
		.amdhsa_exception_fp_ieee_invalid_op 0
		.amdhsa_exception_fp_denorm_src 0
		.amdhsa_exception_fp_ieee_div_zero 0
		.amdhsa_exception_fp_ieee_overflow 0
		.amdhsa_exception_fp_ieee_underflow 0
		.amdhsa_exception_fp_ieee_inexact 0
		.amdhsa_exception_int_div_zero 0
	.end_amdhsa_kernel
	.section	.text._ZN9rocsparseL44csr2gebsr_wavefront_per_row_multipass_kernelILi256ELi4ELi2ELi8E21rocsparse_complex_numIdEEEv20rocsparse_direction_iiiiii21rocsparse_index_base_PKT3_PKiS9_S4_PS5_PiSB_,"axG",@progbits,_ZN9rocsparseL44csr2gebsr_wavefront_per_row_multipass_kernelILi256ELi4ELi2ELi8E21rocsparse_complex_numIdEEEv20rocsparse_direction_iiiiii21rocsparse_index_base_PKT3_PKiS9_S4_PS5_PiSB_,comdat
.Lfunc_end186:
	.size	_ZN9rocsparseL44csr2gebsr_wavefront_per_row_multipass_kernelILi256ELi4ELi2ELi8E21rocsparse_complex_numIdEEEv20rocsparse_direction_iiiiii21rocsparse_index_base_PKT3_PKiS9_S4_PS5_PiSB_, .Lfunc_end186-_ZN9rocsparseL44csr2gebsr_wavefront_per_row_multipass_kernelILi256ELi4ELi2ELi8E21rocsparse_complex_numIdEEEv20rocsparse_direction_iiiiii21rocsparse_index_base_PKT3_PKiS9_S4_PS5_PiSB_
                                        ; -- End function
	.set _ZN9rocsparseL44csr2gebsr_wavefront_per_row_multipass_kernelILi256ELi4ELi2ELi8E21rocsparse_complex_numIdEEEv20rocsparse_direction_iiiiii21rocsparse_index_base_PKT3_PKiS9_S4_PS5_PiSB_.num_vgpr, 36
	.set _ZN9rocsparseL44csr2gebsr_wavefront_per_row_multipass_kernelILi256ELi4ELi2ELi8E21rocsparse_complex_numIdEEEv20rocsparse_direction_iiiiii21rocsparse_index_base_PKT3_PKiS9_S4_PS5_PiSB_.num_agpr, 0
	.set _ZN9rocsparseL44csr2gebsr_wavefront_per_row_multipass_kernelILi256ELi4ELi2ELi8E21rocsparse_complex_numIdEEEv20rocsparse_direction_iiiiii21rocsparse_index_base_PKT3_PKiS9_S4_PS5_PiSB_.numbered_sgpr, 22
	.set _ZN9rocsparseL44csr2gebsr_wavefront_per_row_multipass_kernelILi256ELi4ELi2ELi8E21rocsparse_complex_numIdEEEv20rocsparse_direction_iiiiii21rocsparse_index_base_PKT3_PKiS9_S4_PS5_PiSB_.num_named_barrier, 0
	.set _ZN9rocsparseL44csr2gebsr_wavefront_per_row_multipass_kernelILi256ELi4ELi2ELi8E21rocsparse_complex_numIdEEEv20rocsparse_direction_iiiiii21rocsparse_index_base_PKT3_PKiS9_S4_PS5_PiSB_.private_seg_size, 0
	.set _ZN9rocsparseL44csr2gebsr_wavefront_per_row_multipass_kernelILi256ELi4ELi2ELi8E21rocsparse_complex_numIdEEEv20rocsparse_direction_iiiiii21rocsparse_index_base_PKT3_PKiS9_S4_PS5_PiSB_.uses_vcc, 1
	.set _ZN9rocsparseL44csr2gebsr_wavefront_per_row_multipass_kernelILi256ELi4ELi2ELi8E21rocsparse_complex_numIdEEEv20rocsparse_direction_iiiiii21rocsparse_index_base_PKT3_PKiS9_S4_PS5_PiSB_.uses_flat_scratch, 0
	.set _ZN9rocsparseL44csr2gebsr_wavefront_per_row_multipass_kernelILi256ELi4ELi2ELi8E21rocsparse_complex_numIdEEEv20rocsparse_direction_iiiiii21rocsparse_index_base_PKT3_PKiS9_S4_PS5_PiSB_.has_dyn_sized_stack, 0
	.set _ZN9rocsparseL44csr2gebsr_wavefront_per_row_multipass_kernelILi256ELi4ELi2ELi8E21rocsparse_complex_numIdEEEv20rocsparse_direction_iiiiii21rocsparse_index_base_PKT3_PKiS9_S4_PS5_PiSB_.has_recursion, 0
	.set _ZN9rocsparseL44csr2gebsr_wavefront_per_row_multipass_kernelILi256ELi4ELi2ELi8E21rocsparse_complex_numIdEEEv20rocsparse_direction_iiiiii21rocsparse_index_base_PKT3_PKiS9_S4_PS5_PiSB_.has_indirect_call, 0
	.section	.AMDGPU.csdata,"",@progbits
; Kernel info:
; codeLenInByte = 1328
; TotalNumSgprs: 24
; NumVgprs: 36
; ScratchSize: 0
; MemoryBound: 0
; FloatMode: 240
; IeeeMode: 1
; LDSByteSize: 4128 bytes/workgroup (compile time only)
; SGPRBlocks: 0
; VGPRBlocks: 2
; NumSGPRsForWavesPerEU: 24
; NumVGPRsForWavesPerEU: 36
; NamedBarCnt: 0
; Occupancy: 16
; WaveLimiterHint : 0
; COMPUTE_PGM_RSRC2:SCRATCH_EN: 0
; COMPUTE_PGM_RSRC2:USER_SGPR: 2
; COMPUTE_PGM_RSRC2:TRAP_HANDLER: 0
; COMPUTE_PGM_RSRC2:TGID_X_EN: 1
; COMPUTE_PGM_RSRC2:TGID_Y_EN: 0
; COMPUTE_PGM_RSRC2:TGID_Z_EN: 0
; COMPUTE_PGM_RSRC2:TIDIG_COMP_CNT: 0
	.section	.text._ZN9rocsparseL44csr2gebsr_wavefront_per_row_multipass_kernelILi256ELi4ELi4ELi16E21rocsparse_complex_numIdEEEv20rocsparse_direction_iiiiii21rocsparse_index_base_PKT3_PKiS9_S4_PS5_PiSB_,"axG",@progbits,_ZN9rocsparseL44csr2gebsr_wavefront_per_row_multipass_kernelILi256ELi4ELi4ELi16E21rocsparse_complex_numIdEEEv20rocsparse_direction_iiiiii21rocsparse_index_base_PKT3_PKiS9_S4_PS5_PiSB_,comdat
	.globl	_ZN9rocsparseL44csr2gebsr_wavefront_per_row_multipass_kernelILi256ELi4ELi4ELi16E21rocsparse_complex_numIdEEEv20rocsparse_direction_iiiiii21rocsparse_index_base_PKT3_PKiS9_S4_PS5_PiSB_ ; -- Begin function _ZN9rocsparseL44csr2gebsr_wavefront_per_row_multipass_kernelILi256ELi4ELi4ELi16E21rocsparse_complex_numIdEEEv20rocsparse_direction_iiiiii21rocsparse_index_base_PKT3_PKiS9_S4_PS5_PiSB_
	.p2align	8
	.type	_ZN9rocsparseL44csr2gebsr_wavefront_per_row_multipass_kernelILi256ELi4ELi4ELi16E21rocsparse_complex_numIdEEEv20rocsparse_direction_iiiiii21rocsparse_index_base_PKT3_PKiS9_S4_PS5_PiSB_,@function
_ZN9rocsparseL44csr2gebsr_wavefront_per_row_multipass_kernelILi256ELi4ELi4ELi16E21rocsparse_complex_numIdEEEv20rocsparse_direction_iiiiii21rocsparse_index_base_PKT3_PKiS9_S4_PS5_PiSB_: ; @_ZN9rocsparseL44csr2gebsr_wavefront_per_row_multipass_kernelILi256ELi4ELi4ELi16E21rocsparse_complex_numIdEEEv20rocsparse_direction_iiiiii21rocsparse_index_base_PKT3_PKiS9_S4_PS5_PiSB_
; %bb.0:
	s_clause 0x1
	s_load_b128 s[4:7], s[0:1], 0xc
	s_load_b64 s[12:13], s[0:1], 0x0
	s_bfe_u32 s2, ttmp6, 0x4000c
	s_and_b32 s3, ttmp6, 15
	s_add_co_i32 s2, s2, 1
	s_getreg_b32 s8, hwreg(HW_REG_IB_STS2, 6, 4)
	s_mul_i32 s2, ttmp9, s2
	v_dual_lshrrev_b32 v16, 4, v0 :: v_dual_mov_b32 v4, 0
	s_add_co_i32 s3, s3, s2
	s_cmp_eq_u32 s8, 0
	v_bfe_u32 v1, v0, 2, 2
	s_cselect_b32 s2, ttmp9, s3
	s_clause 0x1
	s_load_b32 s16, s[0:1], 0x1c
	s_load_b64 s[8:9], s[0:1], 0x28
	v_lshl_or_b32 v2, s2, 4, v16
	v_mov_b32_e32 v10, 0
	s_wait_kmcnt 0x0
	s_delay_alu instid0(VALU_DEP_2) | instskip(SKIP_1) | instid1(VALU_DEP_2)
	v_mad_u32 v3, v2, s6, v1
	v_cmp_gt_i32_e32 vcc_lo, s6, v1
	v_cmp_gt_i32_e64 s2, s13, v3
	s_and_b32 s2, vcc_lo, s2
	s_delay_alu instid0(SALU_CYCLE_1)
	s_and_saveexec_b32 s3, s2
	s_cbranch_execz .LBB187_2
; %bb.1:
	global_load_b32 v5, v3, s[8:9] scale_offset
	s_wait_loadcnt 0x0
	v_subrev_nc_u32_e32 v10, s16, v5
.LBB187_2:
	s_or_b32 exec_lo, exec_lo, s3
	v_mov_b32_e32 v17, 0
	s_and_saveexec_b32 s3, s2
	s_cbranch_execz .LBB187_4
; %bb.3:
	global_load_b32 v3, v3, s[8:9] offset:4 scale_offset
	s_wait_loadcnt 0x0
	v_subrev_nc_u32_e32 v17, s16, v3
.LBB187_4:
	s_or_b32 exec_lo, exec_lo, s3
	s_load_b32 s17, s[0:1], 0x38
	s_mov_b32 s3, exec_lo
	v_cmpx_gt_i32_e64 s4, v2
	s_cbranch_execz .LBB187_6
; %bb.5:
	s_load_b64 s[8:9], s[0:1], 0x48
	s_wait_kmcnt 0x0
	global_load_b32 v2, v2, s[8:9] scale_offset
	s_wait_loadcnt 0x0
	v_subrev_nc_u32_e32 v4, s17, v2
.LBB187_6:
	s_or_b32 exec_lo, exec_lo, s3
	s_cmp_lt_i32 s5, 1
	s_cbranch_scc1 .LBB187_21
; %bb.7:
	s_load_b64 s[14:15], s[0:1], 0x40
	v_mbcnt_lo_u32_b32 v5, -1, 0
	v_dual_lshlrev_b32 v3, 6, v1 :: v_dual_bitop2_b32 v6, 3, v0 bitop3:0x40
	v_mul_lo_u32 v2, s7, v1
	s_delay_alu instid0(VALU_DEP_3) | instskip(NEXT) | instid1(VALU_DEP_3)
	v_dual_mov_b32 v9, 0 :: v_dual_bitop2_b32 v7, 2, v5 bitop3:0x14
	v_mul_lo_u32 v8, s6, v6
	v_and_b32_e32 v0, 0xf0, v0
	s_clause 0x2
	s_load_b64 s[2:3], s[0:1], 0x50
	s_load_b64 s[8:9], s[0:1], 0x20
	;; [unrolled: 1-line block ×3, first 2 shown]
	v_xor_b32_e32 v11, 1, v5
	s_wait_xcnt 0x0
	v_cmp_gt_u32_e64 s0, s7, v6
	v_cmp_gt_i32_e64 s1, 32, v7
	v_lshl_or_b32 v18, v0, 4, v3
	v_lshlrev_b32_e32 v0, 4, v6
	v_ashrrev_i32_e32 v3, 31, v2
	s_and_b32 s4, vcc_lo, s0
	v_cndmask_b32_e64 v7, v5, v7, s1
	v_cmp_gt_i32_e64 s1, 32, v11
	s_cmp_eq_u32 s12, 0
	s_wait_kmcnt 0x0
	v_lshl_add_u64 v[12:13], v[8:9], 4, s[14:15]
	s_cselect_b32 vcc_lo, -1, 0
	s_abs_i32 s18, s7
	v_dual_mov_b32 v1, v9 :: v_dual_lshlrev_b32 v8, 4, v1
	v_lshl_add_u64 v[2:3], v[2:3], 4, s[14:15]
	v_cndmask_b32_e64 v11, v5, v11, s1
	s_cvt_f32_u32 s0, s18
	s_delay_alu instid0(VALU_DEP_3)
	v_add_nc_u64_e32 v[12:13], v[12:13], v[8:9]
	v_or_b32_e32 v22, v18, v0
	v_add_nc_u64_e32 v[2:3], v[2:3], v[0:1]
	v_dual_lshlrev_b32 v1, 2, v5 :: v_dual_lshlrev_b32 v19, 2, v7
	v_rcp_iflag_f32_e32 v7, s0
	v_dual_lshlrev_b32 v20, 2, v11 :: v_dual_bitop2_b32 v8, 4, v5 bitop3:0x14
	v_xor_b32_e32 v0, 8, v5
	s_mov_b32 s12, s6
	s_sub_co_i32 s14, 0, s18
	v_or_b32_e32 v21, 12, v1
	s_delay_alu instid0(TRANS32_DEP_1)
	v_readfirstlane_b32 s6, v7
	v_cmp_gt_i32_e64 s0, 32, v0
	v_dual_cndmask_b32 v12, v12, v2, vcc_lo :: v_dual_bitop2_b32 v25, 60, v1 bitop3:0x54
	v_mov_b32_e32 v1, v9
	s_mul_f32 s6, s6, 0x4f7ffffe
	v_cndmask_b32_e64 v0, v5, v0, s0
	v_cmp_gt_i32_e64 s0, 32, v8
	v_mov_b32_e32 v7, v9
	s_cvt_u32_f32 s6, s6
	v_dual_cndmask_b32 v13, v13, v3, vcc_lo :: v_dual_lshlrev_b32 v23, 2, v0
	v_cndmask_b32_e64 v5, v5, v8, s0
	s_delay_alu instid0(SALU_CYCLE_1) | instskip(SKIP_1) | instid1(VALU_DEP_2)
	s_mul_i32 s14, s14, s6
	v_dual_mov_b32 v0, v9 :: v_dual_mov_b32 v2, v9
	v_dual_mov_b32 v3, v9 :: v_dual_lshlrev_b32 v24, 2, v5
	v_dual_mov_b32 v26, 1 :: v_dual_mov_b32 v5, 0
	s_mov_b32 s13, 0
	s_ashr_i32 s1, s7, 31
	s_mov_b32 s0, s7
	s_mul_hi_u32 s19, s6, s14
	s_mul_u64 s[14:15], s[0:1], s[12:13]
	s_add_co_i32 s12, s6, s19
	s_mov_b32 s6, s13
	s_branch .LBB187_10
.LBB187_8:                              ;   in Loop: Header=BB187_10 Depth=1
	s_wait_xcnt 0x0
	s_or_b32 exec_lo, exec_lo, s19
	v_mov_b32_e32 v8, 1
.LBB187_9:                              ;   in Loop: Header=BB187_10 Depth=1
	s_or_b32 exec_lo, exec_lo, s0
	ds_bpermute_b32 v5, v23, v27
	s_wait_storecnt_dscnt 0x0
	v_dual_add_nc_u32 v4, v8, v4 :: v_dual_min_i32 v5, v5, v27
	ds_bpermute_b32 v11, v24, v5
	s_wait_dscnt 0x0
	v_min_i32_e32 v5, v11, v5
	ds_bpermute_b32 v11, v19, v5
	s_wait_dscnt 0x0
	v_min_i32_e32 v5, v11, v5
	;; [unrolled: 3-line block ×3, first 2 shown]
	ds_bpermute_b32 v5, v25, v5
	s_wait_dscnt 0x0
	v_cmp_le_i32_e32 vcc_lo, s5, v5
	s_or_b32 s6, vcc_lo, s6
	s_delay_alu instid0(SALU_CYCLE_1)
	s_and_not1_b32 exec_lo, exec_lo, s6
	s_cbranch_execz .LBB187_21
.LBB187_10:                             ; =>This Loop Header: Depth=1
                                        ;     Child Loop BB187_13 Depth 2
	v_dual_mov_b32 v27, s5 :: v_dual_add_nc_u32 v28, v10, v6
	v_mov_b32_e32 v30, v17
	s_mov_b32 s19, exec_lo
	ds_store_b8 v16, v9 offset:4096
	ds_store_b128 v22, v[0:3]
	s_wait_dscnt 0x0
	v_cmpx_lt_i32_e64 v28, v17
	s_cbranch_execz .LBB187_18
; %bb.11:                               ;   in Loop: Header=BB187_10 Depth=1
	v_dual_ashrrev_i32 v11, 31, v10 :: v_dual_mov_b32 v27, s5
	v_mul_lo_u32 v29, v5, s7
	v_mov_b32_e32 v30, v17
	s_mov_b32 s20, 0
	s_delay_alu instid0(VALU_DEP_3) | instskip(NEXT) | instid1(VALU_DEP_1)
	v_add_nc_u64_e32 v[14:15], v[6:7], v[10:11]
	v_lshl_add_u64 v[10:11], v[14:15], 2, s[10:11]
	v_lshl_add_u64 v[14:15], v[14:15], 4, s[8:9]
	s_branch .LBB187_13
.LBB187_12:                             ;   in Loop: Header=BB187_13 Depth=2
	s_wait_xcnt 0x0
	s_or_b32 exec_lo, exec_lo, s0
	v_add_nc_u32_e32 v28, 4, v28
	s_xor_b32 s21, vcc_lo, -1
	v_add_nc_u64_e32 v[10:11], 16, v[10:11]
	v_add_nc_u64_e32 v[14:15], 64, v[14:15]
	s_delay_alu instid0(VALU_DEP_3) | instskip(SKIP_1) | instid1(SALU_CYCLE_1)
	v_cmp_ge_i32_e64 s0, v28, v17
	s_or_b32 s0, s21, s0
	s_and_b32 s0, exec_lo, s0
	s_delay_alu instid0(SALU_CYCLE_1) | instskip(NEXT) | instid1(SALU_CYCLE_1)
	s_or_b32 s20, s0, s20
	s_and_not1_b32 exec_lo, exec_lo, s20
	s_cbranch_execz .LBB187_17
.LBB187_13:                             ;   Parent Loop BB187_10 Depth=1
                                        ; =>  This Inner Loop Header: Depth=2
	global_load_b32 v8, v[10:11], off
	s_wait_loadcnt 0x0
	v_subrev_nc_u32_e32 v31, s16, v8
	s_delay_alu instid0(VALU_DEP_1) | instskip(NEXT) | instid1(VALU_DEP_1)
	v_sub_nc_u32_e32 v8, 0, v31
	v_max_i32_e32 v8, v31, v8
	s_delay_alu instid0(VALU_DEP_1) | instskip(NEXT) | instid1(VALU_DEP_1)
	v_mul_u64_e32 v[32:33], s[12:13], v[8:9]
	v_mul_lo_u32 v32, v33, s18
	s_delay_alu instid0(VALU_DEP_1) | instskip(NEXT) | instid1(VALU_DEP_1)
	v_dual_sub_nc_u32 v8, v8, v32 :: v_dual_add_nc_u32 v32, 1, v33
	v_cmp_le_u32_e32 vcc_lo, s18, v8
	s_delay_alu instid0(VALU_DEP_2) | instskip(SKIP_1) | instid1(VALU_DEP_1)
	v_cndmask_b32_e32 v32, v33, v32, vcc_lo
	v_subrev_nc_u32_e32 v34, s18, v8
	v_dual_cndmask_b32 v8, v8, v34 :: v_dual_ashrrev_i32 v33, 31, v31
	s_delay_alu instid0(VALU_DEP_3) | instskip(NEXT) | instid1(VALU_DEP_2)
	v_add_nc_u32_e32 v34, 1, v32
	v_cmp_le_u32_e32 vcc_lo, s18, v8
	s_delay_alu instid0(VALU_DEP_2) | instskip(NEXT) | instid1(VALU_DEP_1)
	v_dual_cndmask_b32 v8, v32, v34, vcc_lo :: v_dual_bitop2_b32 v33, s1, v33 bitop3:0x14
	v_xor_b32_e32 v8, v8, v33
	s_delay_alu instid0(VALU_DEP_1) | instskip(NEXT) | instid1(VALU_DEP_1)
	v_dual_sub_nc_u32 v32, v8, v33 :: v_dual_mov_b32 v8, v30
	v_cmp_ne_u32_e64 s0, v32, v5
	v_cmp_eq_u32_e32 vcc_lo, v32, v5
	s_wait_xcnt 0x0
	s_and_saveexec_b32 s21, s0
	s_delay_alu instid0(SALU_CYCLE_1)
	s_xor_b32 s0, exec_lo, s21
; %bb.14:                               ;   in Loop: Header=BB187_13 Depth=2
	v_min_i32_e32 v27, v32, v27
                                        ; implicit-def: $vgpr31
                                        ; implicit-def: $vgpr8
; %bb.15:                               ;   in Loop: Header=BB187_13 Depth=2
	s_or_saveexec_b32 s0, s0
	v_mov_b32_e32 v30, v28
	s_xor_b32 exec_lo, exec_lo, s0
	s_cbranch_execz .LBB187_12
; %bb.16:                               ;   in Loop: Header=BB187_13 Depth=2
	global_load_b128 v[32:35], v[14:15], off
	v_sub_nc_u32_e32 v30, v31, v29
	s_delay_alu instid0(VALU_DEP_1)
	v_lshl_add_u32 v31, v30, 4, v18
	v_mov_b32_e32 v30, v8
	ds_store_b8 v16, v26 offset:4096
	s_wait_loadcnt 0x0
	ds_store_2addr_b64 v31, v[32:33], v[34:35] offset1:1
	s_branch .LBB187_12
.LBB187_17:                             ;   in Loop: Header=BB187_10 Depth=1
	s_or_b32 exec_lo, exec_lo, s20
.LBB187_18:                             ;   in Loop: Header=BB187_10 Depth=1
	s_delay_alu instid0(SALU_CYCLE_1)
	s_or_b32 exec_lo, exec_lo, s19
	ds_bpermute_b32 v8, v19, v30
	s_wait_dscnt 0x0
	ds_load_u8 v11, v16 offset:4096
	v_min_i32_e32 v8, v8, v30
	ds_bpermute_b32 v10, v20, v8
	s_wait_dscnt 0x0
	v_min_i32_e32 v8, v10, v8
	ds_bpermute_b32 v10, v21, v8
	v_and_b32_e32 v8, 1, v11
	s_delay_alu instid0(VALU_DEP_1)
	v_cmp_eq_u32_e32 vcc_lo, 1, v8
	v_mov_b32_e32 v8, 0
	s_and_saveexec_b32 s0, vcc_lo
	s_cbranch_execz .LBB187_9
; %bb.19:                               ;   in Loop: Header=BB187_10 Depth=1
	v_add_nc_u32_e32 v5, s17, v5
	global_store_b32 v4, v5, s[2:3] scale_offset
	s_wait_xcnt 0x0
	s_and_saveexec_b32 s19, s4
	s_cbranch_execz .LBB187_8
; %bb.20:                               ;   in Loop: Header=BB187_10 Depth=1
	v_ashrrev_i32_e32 v5, 31, v4
	ds_load_2addr_b64 v[28:31], v22 offset1:1
	v_mul_u64_e32 v[14:15], s[14:15], v[4:5]
	s_delay_alu instid0(VALU_DEP_1)
	v_lshl_add_u64 v[14:15], v[14:15], 4, v[12:13]
	s_wait_dscnt 0x0
	global_store_b128 v[14:15], v[28:31], off
	s_branch .LBB187_8
.LBB187_21:
	s_endpgm
	.section	.rodata,"a",@progbits
	.p2align	6, 0x0
	.amdhsa_kernel _ZN9rocsparseL44csr2gebsr_wavefront_per_row_multipass_kernelILi256ELi4ELi4ELi16E21rocsparse_complex_numIdEEEv20rocsparse_direction_iiiiii21rocsparse_index_base_PKT3_PKiS9_S4_PS5_PiSB_
		.amdhsa_group_segment_fixed_size 4112
		.amdhsa_private_segment_fixed_size 0
		.amdhsa_kernarg_size 88
		.amdhsa_user_sgpr_count 2
		.amdhsa_user_sgpr_dispatch_ptr 0
		.amdhsa_user_sgpr_queue_ptr 0
		.amdhsa_user_sgpr_kernarg_segment_ptr 1
		.amdhsa_user_sgpr_dispatch_id 0
		.amdhsa_user_sgpr_kernarg_preload_length 0
		.amdhsa_user_sgpr_kernarg_preload_offset 0
		.amdhsa_user_sgpr_private_segment_size 0
		.amdhsa_wavefront_size32 1
		.amdhsa_uses_dynamic_stack 0
		.amdhsa_enable_private_segment 0
		.amdhsa_system_sgpr_workgroup_id_x 1
		.amdhsa_system_sgpr_workgroup_id_y 0
		.amdhsa_system_sgpr_workgroup_id_z 0
		.amdhsa_system_sgpr_workgroup_info 0
		.amdhsa_system_vgpr_workitem_id 0
		.amdhsa_next_free_vgpr 36
		.amdhsa_next_free_sgpr 22
		.amdhsa_named_barrier_count 0
		.amdhsa_reserve_vcc 1
		.amdhsa_float_round_mode_32 0
		.amdhsa_float_round_mode_16_64 0
		.amdhsa_float_denorm_mode_32 3
		.amdhsa_float_denorm_mode_16_64 3
		.amdhsa_fp16_overflow 0
		.amdhsa_memory_ordered 1
		.amdhsa_forward_progress 1
		.amdhsa_inst_pref_size 11
		.amdhsa_round_robin_scheduling 0
		.amdhsa_exception_fp_ieee_invalid_op 0
		.amdhsa_exception_fp_denorm_src 0
		.amdhsa_exception_fp_ieee_div_zero 0
		.amdhsa_exception_fp_ieee_overflow 0
		.amdhsa_exception_fp_ieee_underflow 0
		.amdhsa_exception_fp_ieee_inexact 0
		.amdhsa_exception_int_div_zero 0
	.end_amdhsa_kernel
	.section	.text._ZN9rocsparseL44csr2gebsr_wavefront_per_row_multipass_kernelILi256ELi4ELi4ELi16E21rocsparse_complex_numIdEEEv20rocsparse_direction_iiiiii21rocsparse_index_base_PKT3_PKiS9_S4_PS5_PiSB_,"axG",@progbits,_ZN9rocsparseL44csr2gebsr_wavefront_per_row_multipass_kernelILi256ELi4ELi4ELi16E21rocsparse_complex_numIdEEEv20rocsparse_direction_iiiiii21rocsparse_index_base_PKT3_PKiS9_S4_PS5_PiSB_,comdat
.Lfunc_end187:
	.size	_ZN9rocsparseL44csr2gebsr_wavefront_per_row_multipass_kernelILi256ELi4ELi4ELi16E21rocsparse_complex_numIdEEEv20rocsparse_direction_iiiiii21rocsparse_index_base_PKT3_PKiS9_S4_PS5_PiSB_, .Lfunc_end187-_ZN9rocsparseL44csr2gebsr_wavefront_per_row_multipass_kernelILi256ELi4ELi4ELi16E21rocsparse_complex_numIdEEEv20rocsparse_direction_iiiiii21rocsparse_index_base_PKT3_PKiS9_S4_PS5_PiSB_
                                        ; -- End function
	.set _ZN9rocsparseL44csr2gebsr_wavefront_per_row_multipass_kernelILi256ELi4ELi4ELi16E21rocsparse_complex_numIdEEEv20rocsparse_direction_iiiiii21rocsparse_index_base_PKT3_PKiS9_S4_PS5_PiSB_.num_vgpr, 36
	.set _ZN9rocsparseL44csr2gebsr_wavefront_per_row_multipass_kernelILi256ELi4ELi4ELi16E21rocsparse_complex_numIdEEEv20rocsparse_direction_iiiiii21rocsparse_index_base_PKT3_PKiS9_S4_PS5_PiSB_.num_agpr, 0
	.set _ZN9rocsparseL44csr2gebsr_wavefront_per_row_multipass_kernelILi256ELi4ELi4ELi16E21rocsparse_complex_numIdEEEv20rocsparse_direction_iiiiii21rocsparse_index_base_PKT3_PKiS9_S4_PS5_PiSB_.numbered_sgpr, 22
	.set _ZN9rocsparseL44csr2gebsr_wavefront_per_row_multipass_kernelILi256ELi4ELi4ELi16E21rocsparse_complex_numIdEEEv20rocsparse_direction_iiiiii21rocsparse_index_base_PKT3_PKiS9_S4_PS5_PiSB_.num_named_barrier, 0
	.set _ZN9rocsparseL44csr2gebsr_wavefront_per_row_multipass_kernelILi256ELi4ELi4ELi16E21rocsparse_complex_numIdEEEv20rocsparse_direction_iiiiii21rocsparse_index_base_PKT3_PKiS9_S4_PS5_PiSB_.private_seg_size, 0
	.set _ZN9rocsparseL44csr2gebsr_wavefront_per_row_multipass_kernelILi256ELi4ELi4ELi16E21rocsparse_complex_numIdEEEv20rocsparse_direction_iiiiii21rocsparse_index_base_PKT3_PKiS9_S4_PS5_PiSB_.uses_vcc, 1
	.set _ZN9rocsparseL44csr2gebsr_wavefront_per_row_multipass_kernelILi256ELi4ELi4ELi16E21rocsparse_complex_numIdEEEv20rocsparse_direction_iiiiii21rocsparse_index_base_PKT3_PKiS9_S4_PS5_PiSB_.uses_flat_scratch, 0
	.set _ZN9rocsparseL44csr2gebsr_wavefront_per_row_multipass_kernelILi256ELi4ELi4ELi16E21rocsparse_complex_numIdEEEv20rocsparse_direction_iiiiii21rocsparse_index_base_PKT3_PKiS9_S4_PS5_PiSB_.has_dyn_sized_stack, 0
	.set _ZN9rocsparseL44csr2gebsr_wavefront_per_row_multipass_kernelILi256ELi4ELi4ELi16E21rocsparse_complex_numIdEEEv20rocsparse_direction_iiiiii21rocsparse_index_base_PKT3_PKiS9_S4_PS5_PiSB_.has_recursion, 0
	.set _ZN9rocsparseL44csr2gebsr_wavefront_per_row_multipass_kernelILi256ELi4ELi4ELi16E21rocsparse_complex_numIdEEEv20rocsparse_direction_iiiiii21rocsparse_index_base_PKT3_PKiS9_S4_PS5_PiSB_.has_indirect_call, 0
	.section	.AMDGPU.csdata,"",@progbits
; Kernel info:
; codeLenInByte = 1388
; TotalNumSgprs: 24
; NumVgprs: 36
; ScratchSize: 0
; MemoryBound: 0
; FloatMode: 240
; IeeeMode: 1
; LDSByteSize: 4112 bytes/workgroup (compile time only)
; SGPRBlocks: 0
; VGPRBlocks: 2
; NumSGPRsForWavesPerEU: 24
; NumVGPRsForWavesPerEU: 36
; NamedBarCnt: 0
; Occupancy: 16
; WaveLimiterHint : 0
; COMPUTE_PGM_RSRC2:SCRATCH_EN: 0
; COMPUTE_PGM_RSRC2:USER_SGPR: 2
; COMPUTE_PGM_RSRC2:TRAP_HANDLER: 0
; COMPUTE_PGM_RSRC2:TGID_X_EN: 1
; COMPUTE_PGM_RSRC2:TGID_Y_EN: 0
; COMPUTE_PGM_RSRC2:TGID_Z_EN: 0
; COMPUTE_PGM_RSRC2:TIDIG_COMP_CNT: 0
	.section	.text._ZN9rocsparseL44csr2gebsr_wavefront_per_row_multipass_kernelILi256ELi4ELi8ELi32E21rocsparse_complex_numIdEEEv20rocsparse_direction_iiiiii21rocsparse_index_base_PKT3_PKiS9_S4_PS5_PiSB_,"axG",@progbits,_ZN9rocsparseL44csr2gebsr_wavefront_per_row_multipass_kernelILi256ELi4ELi8ELi32E21rocsparse_complex_numIdEEEv20rocsparse_direction_iiiiii21rocsparse_index_base_PKT3_PKiS9_S4_PS5_PiSB_,comdat
	.globl	_ZN9rocsparseL44csr2gebsr_wavefront_per_row_multipass_kernelILi256ELi4ELi8ELi32E21rocsparse_complex_numIdEEEv20rocsparse_direction_iiiiii21rocsparse_index_base_PKT3_PKiS9_S4_PS5_PiSB_ ; -- Begin function _ZN9rocsparseL44csr2gebsr_wavefront_per_row_multipass_kernelILi256ELi4ELi8ELi32E21rocsparse_complex_numIdEEEv20rocsparse_direction_iiiiii21rocsparse_index_base_PKT3_PKiS9_S4_PS5_PiSB_
	.p2align	8
	.type	_ZN9rocsparseL44csr2gebsr_wavefront_per_row_multipass_kernelILi256ELi4ELi8ELi32E21rocsparse_complex_numIdEEEv20rocsparse_direction_iiiiii21rocsparse_index_base_PKT3_PKiS9_S4_PS5_PiSB_,@function
_ZN9rocsparseL44csr2gebsr_wavefront_per_row_multipass_kernelILi256ELi4ELi8ELi32E21rocsparse_complex_numIdEEEv20rocsparse_direction_iiiiii21rocsparse_index_base_PKT3_PKiS9_S4_PS5_PiSB_: ; @_ZN9rocsparseL44csr2gebsr_wavefront_per_row_multipass_kernelILi256ELi4ELi8ELi32E21rocsparse_complex_numIdEEEv20rocsparse_direction_iiiiii21rocsparse_index_base_PKT3_PKiS9_S4_PS5_PiSB_
; %bb.0:
	s_clause 0x1
	s_load_b128 s[4:7], s[0:1], 0xc
	s_load_b64 s[12:13], s[0:1], 0x0
	s_bfe_u32 s2, ttmp6, 0x4000c
	s_and_b32 s3, ttmp6, 15
	s_add_co_i32 s2, s2, 1
	s_getreg_b32 s8, hwreg(HW_REG_IB_STS2, 6, 4)
	s_mul_i32 s2, ttmp9, s2
	v_dual_lshrrev_b32 v16, 5, v0 :: v_dual_mov_b32 v4, 0
	s_add_co_i32 s3, s3, s2
	s_cmp_eq_u32 s8, 0
	v_bfe_u32 v1, v0, 3, 2
	s_cselect_b32 s2, ttmp9, s3
	s_clause 0x1
	s_load_b32 s16, s[0:1], 0x1c
	s_load_b64 s[8:9], s[0:1], 0x28
	v_lshl_or_b32 v2, s2, 3, v16
	v_mov_b32_e32 v10, 0
	s_wait_kmcnt 0x0
	s_delay_alu instid0(VALU_DEP_2) | instskip(SKIP_1) | instid1(VALU_DEP_2)
	v_mad_u32 v3, v2, s6, v1
	v_cmp_gt_i32_e32 vcc_lo, s6, v1
	v_cmp_gt_i32_e64 s2, s13, v3
	s_and_b32 s2, vcc_lo, s2
	s_delay_alu instid0(SALU_CYCLE_1)
	s_and_saveexec_b32 s3, s2
	s_cbranch_execz .LBB188_2
; %bb.1:
	global_load_b32 v5, v3, s[8:9] scale_offset
	s_wait_loadcnt 0x0
	v_subrev_nc_u32_e32 v10, s16, v5
.LBB188_2:
	s_or_b32 exec_lo, exec_lo, s3
	v_mov_b32_e32 v17, 0
	s_and_saveexec_b32 s3, s2
	s_cbranch_execz .LBB188_4
; %bb.3:
	global_load_b32 v3, v3, s[8:9] offset:4 scale_offset
	s_wait_loadcnt 0x0
	v_subrev_nc_u32_e32 v17, s16, v3
.LBB188_4:
	s_or_b32 exec_lo, exec_lo, s3
	s_load_b32 s17, s[0:1], 0x38
	s_mov_b32 s3, exec_lo
	v_cmpx_gt_i32_e64 s4, v2
	s_cbranch_execz .LBB188_6
; %bb.5:
	s_load_b64 s[8:9], s[0:1], 0x48
	s_wait_kmcnt 0x0
	global_load_b32 v2, v2, s[8:9] scale_offset
	s_wait_loadcnt 0x0
	v_subrev_nc_u32_e32 v4, s17, v2
.LBB188_6:
	s_or_b32 exec_lo, exec_lo, s3
	s_cmp_lt_i32 s5, 1
	s_cbranch_scc1 .LBB188_21
; %bb.7:
	v_mbcnt_lo_u32_b32 v5, -1, 0
	s_load_b64 s[14:15], s[0:1], 0x40
	v_dual_lshlrev_b32 v3, 7, v1 :: v_dual_bitop2_b32 v6, 7, v0 bitop3:0x40
	v_mul_lo_u32 v2, s7, v1
	s_delay_alu instid0(VALU_DEP_3)
	v_xor_b32_e32 v7, 4, v5
	s_clause 0x2
	s_load_b64 s[2:3], s[0:1], 0x50
	s_load_b64 s[8:9], s[0:1], 0x20
	;; [unrolled: 1-line block ×3, first 2 shown]
	v_mul_lo_u32 v8, s6, v6
	v_and_b32_e32 v0, 0xe0, v0
	v_xor_b32_e32 v14, 1, v5
	s_wait_xcnt 0x0
	v_cmp_gt_i32_e64 s0, 32, v7
	v_xor_b32_e32 v9, 2, v5
	v_lshl_or_b32 v22, v5, 2, 28
	v_lshl_or_b32 v18, v0, 4, v3
	s_delay_alu instid0(VALU_DEP_4) | instskip(NEXT) | instid1(VALU_DEP_4)
	v_dual_lshlrev_b32 v0, 4, v6 :: v_dual_cndmask_b32 v7, v5, v7, s0
	v_cmp_gt_i32_e64 s0, 32, v9
	v_cmp_gt_i32_e64 s1, 32, v14
	s_mov_b32 s13, 0
	v_dual_ashrrev_i32 v3, 31, v2 :: v_dual_bitop2_b32 v23, v18, v0 bitop3:0x54
	v_dual_cndmask_b32 v11, v5, v9, s0 :: v_dual_mov_b32 v9, 0
	v_cmp_gt_u32_e64 s0, s7, v6
	v_dual_cndmask_b32 v14, v5, v14, s1 :: v_dual_lshlrev_b32 v19, 2, v7
	s_wait_kmcnt 0x0
	v_lshl_add_u64 v[2:3], v[2:3], 4, s[14:15]
	v_lshl_add_u64 v[12:13], v[8:9], 4, s[14:15]
	v_dual_mov_b32 v1, v9 :: v_dual_lshlrev_b32 v8, 4, v1
	s_and_b32 s4, vcc_lo, s0
	s_cmp_eq_u32 s12, 0
	v_xor_b32_e32 v7, 8, v5
	s_cselect_b32 vcc_lo, -1, 0
	s_abs_i32 s18, s7
	v_add_nc_u64_e32 v[2:3], v[2:3], v[0:1]
	s_cvt_f32_u32 s0, s18
	v_xor_b32_e32 v0, 16, v5
	s_mov_b32 s12, s6
	v_add_nc_u64_e32 v[12:13], v[12:13], v[8:9]
	v_rcp_iflag_f32_e32 v1, s0
	s_sub_co_i32 s14, 0, s18
	v_cmp_gt_i32_e64 s0, 32, v0
	v_dual_lshlrev_b32 v20, 2, v11 :: v_dual_lshlrev_b32 v21, 2, v14
	s_delay_alu instid0(VALU_DEP_3) | instskip(NEXT) | instid1(VALU_DEP_3)
	v_dual_mov_b32 v26, 0x7c :: v_dual_cndmask_b32 v13, v13, v3
	v_cndmask_b32_e64 v0, v5, v0, s0
	s_delay_alu instid0(TRANS32_DEP_1) | instskip(SKIP_1) | instid1(VALU_DEP_3)
	v_readfirstlane_b32 s6, v1
	v_dual_cndmask_b32 v12, v12, v2 :: v_dual_mov_b32 v3, v9
	v_dual_mov_b32 v27, 1 :: v_dual_lshlrev_b32 v24, 2, v0
	v_cmp_gt_i32_e64 s0, 32, v7
	s_mul_f32 s6, s6, 0x4f7ffffe
	v_dual_mov_b32 v0, v9 :: v_dual_mov_b32 v2, v9
	s_ashr_i32 s1, s7, 31
	v_cndmask_b32_e64 v1, v5, v7, s0
	s_cvt_u32_f32 s6, s6
	v_dual_mov_b32 v7, v9 :: v_dual_mov_b32 v5, 0
	s_mov_b32 s0, s7
	s_delay_alu instid0(SALU_CYCLE_1)
	s_mul_i32 s14, s14, s6
	v_dual_lshlrev_b32 v25, 2, v1 :: v_dual_mov_b32 v1, v9
	s_mul_hi_u32 s19, s6, s14
	s_mul_u64 s[14:15], s[0:1], s[12:13]
	s_add_co_i32 s12, s6, s19
	s_mov_b32 s6, s13
	s_branch .LBB188_10
.LBB188_8:                              ;   in Loop: Header=BB188_10 Depth=1
	s_wait_xcnt 0x0
	s_or_b32 exec_lo, exec_lo, s19
	v_mov_b32_e32 v8, 1
.LBB188_9:                              ;   in Loop: Header=BB188_10 Depth=1
	s_or_b32 exec_lo, exec_lo, s0
	ds_bpermute_b32 v5, v24, v28
	s_wait_storecnt_dscnt 0x0
	v_add_nc_u32_e32 v4, v8, v4
	v_min_i32_e32 v5, v5, v28
	ds_bpermute_b32 v11, v25, v5
	s_wait_dscnt 0x0
	v_min_i32_e32 v5, v11, v5
	ds_bpermute_b32 v11, v19, v5
	s_wait_dscnt 0x0
	;; [unrolled: 3-line block ×5, first 2 shown]
	v_cmp_le_i32_e32 vcc_lo, s5, v5
	s_or_b32 s6, vcc_lo, s6
	s_delay_alu instid0(SALU_CYCLE_1)
	s_and_not1_b32 exec_lo, exec_lo, s6
	s_cbranch_execz .LBB188_21
.LBB188_10:                             ; =>This Loop Header: Depth=1
                                        ;     Child Loop BB188_13 Depth 2
	v_dual_mov_b32 v28, s5 :: v_dual_add_nc_u32 v29, v10, v6
	v_mov_b32_e32 v31, v17
	s_mov_b32 s19, exec_lo
	ds_store_b8 v16, v9 offset:4096
	ds_store_b128 v23, v[0:3]
	s_wait_dscnt 0x0
	v_cmpx_lt_i32_e64 v29, v17
	s_cbranch_execz .LBB188_18
; %bb.11:                               ;   in Loop: Header=BB188_10 Depth=1
	v_dual_mov_b32 v28, s5 :: v_dual_ashrrev_i32 v11, 31, v10
	v_mul_lo_u32 v30, v5, s7
	v_mov_b32_e32 v31, v17
	s_mov_b32 s20, 0
	s_delay_alu instid0(VALU_DEP_3) | instskip(NEXT) | instid1(VALU_DEP_1)
	v_add_nc_u64_e32 v[14:15], v[6:7], v[10:11]
	v_lshl_add_u64 v[10:11], v[14:15], 2, s[10:11]
	v_lshl_add_u64 v[14:15], v[14:15], 4, s[8:9]
	s_branch .LBB188_13
.LBB188_12:                             ;   in Loop: Header=BB188_13 Depth=2
	s_wait_xcnt 0x0
	s_or_b32 exec_lo, exec_lo, s0
	v_add_nc_u32_e32 v29, 8, v29
	s_xor_b32 s21, vcc_lo, -1
	v_add_nc_u64_e32 v[10:11], 32, v[10:11]
	v_add_nc_u64_e32 v[14:15], 0x80, v[14:15]
	s_delay_alu instid0(VALU_DEP_3) | instskip(SKIP_1) | instid1(SALU_CYCLE_1)
	v_cmp_ge_i32_e64 s0, v29, v17
	s_or_b32 s0, s21, s0
	s_and_b32 s0, exec_lo, s0
	s_delay_alu instid0(SALU_CYCLE_1) | instskip(NEXT) | instid1(SALU_CYCLE_1)
	s_or_b32 s20, s0, s20
	s_and_not1_b32 exec_lo, exec_lo, s20
	s_cbranch_execz .LBB188_17
.LBB188_13:                             ;   Parent Loop BB188_10 Depth=1
                                        ; =>  This Inner Loop Header: Depth=2
	global_load_b32 v8, v[10:11], off
	s_wait_loadcnt 0x0
	v_subrev_nc_u32_e32 v32, s16, v8
	s_delay_alu instid0(VALU_DEP_1) | instskip(NEXT) | instid1(VALU_DEP_1)
	v_sub_nc_u32_e32 v8, 0, v32
	v_max_i32_e32 v8, v32, v8
	s_delay_alu instid0(VALU_DEP_1) | instskip(NEXT) | instid1(VALU_DEP_1)
	v_mul_u64_e32 v[34:35], s[12:13], v[8:9]
	v_mul_lo_u32 v33, v35, s18
	s_delay_alu instid0(VALU_DEP_1) | instskip(NEXT) | instid1(VALU_DEP_1)
	v_dual_sub_nc_u32 v8, v8, v33 :: v_dual_add_nc_u32 v33, 1, v35
	v_cmp_le_u32_e32 vcc_lo, s18, v8
	s_delay_alu instid0(VALU_DEP_2) | instskip(SKIP_1) | instid1(VALU_DEP_1)
	v_dual_cndmask_b32 v33, v35, v33, vcc_lo :: v_dual_ashrrev_i32 v35, 31, v32
	v_subrev_nc_u32_e32 v34, s18, v8
	v_dual_cndmask_b32 v8, v8, v34, vcc_lo :: v_dual_add_nc_u32 v34, 1, v33
	s_delay_alu instid0(VALU_DEP_1) | instskip(NEXT) | instid1(VALU_DEP_2)
	v_cmp_le_u32_e32 vcc_lo, s18, v8
	v_dual_cndmask_b32 v8, v33, v34, vcc_lo :: v_dual_bitop2_b32 v35, s1, v35 bitop3:0x14
	s_delay_alu instid0(VALU_DEP_1) | instskip(NEXT) | instid1(VALU_DEP_1)
	v_xor_b32_e32 v8, v8, v35
	v_dual_mov_b32 v8, v31 :: v_dual_sub_nc_u32 v33, v8, v35
	s_delay_alu instid0(VALU_DEP_1) | instskip(SKIP_3) | instid1(SALU_CYCLE_1)
	v_cmp_ne_u32_e64 s0, v33, v5
	v_cmp_eq_u32_e32 vcc_lo, v33, v5
	s_wait_xcnt 0x0
	s_and_saveexec_b32 s21, s0
	s_xor_b32 s0, exec_lo, s21
; %bb.14:                               ;   in Loop: Header=BB188_13 Depth=2
	v_min_i32_e32 v28, v33, v28
                                        ; implicit-def: $vgpr32
                                        ; implicit-def: $vgpr8
; %bb.15:                               ;   in Loop: Header=BB188_13 Depth=2
	s_or_saveexec_b32 s0, s0
	v_mov_b32_e32 v31, v29
	s_xor_b32 exec_lo, exec_lo, s0
	s_cbranch_execz .LBB188_12
; %bb.16:                               ;   in Loop: Header=BB188_13 Depth=2
	global_load_b128 v[34:37], v[14:15], off
	v_sub_nc_u32_e32 v31, v32, v30
	s_delay_alu instid0(VALU_DEP_1)
	v_lshl_add_u32 v32, v31, 4, v18
	v_mov_b32_e32 v31, v8
	ds_store_b8 v16, v27 offset:4096
	s_wait_loadcnt 0x0
	ds_store_2addr_b64 v32, v[34:35], v[36:37] offset1:1
	s_branch .LBB188_12
.LBB188_17:                             ;   in Loop: Header=BB188_10 Depth=1
	s_or_b32 exec_lo, exec_lo, s20
.LBB188_18:                             ;   in Loop: Header=BB188_10 Depth=1
	s_delay_alu instid0(SALU_CYCLE_1)
	s_or_b32 exec_lo, exec_lo, s19
	ds_bpermute_b32 v8, v19, v31
	s_wait_dscnt 0x0
	ds_load_u8 v11, v16 offset:4096
	v_min_i32_e32 v8, v8, v31
	ds_bpermute_b32 v10, v20, v8
	s_wait_dscnt 0x0
	v_min_i32_e32 v8, v10, v8
	ds_bpermute_b32 v10, v21, v8
	s_wait_dscnt 0x0
	v_min_i32_e32 v8, v10, v8
	ds_bpermute_b32 v10, v22, v8
	v_and_b32_e32 v8, 1, v11
	s_delay_alu instid0(VALU_DEP_1)
	v_cmp_eq_u32_e32 vcc_lo, 1, v8
	v_mov_b32_e32 v8, 0
	s_and_saveexec_b32 s0, vcc_lo
	s_cbranch_execz .LBB188_9
; %bb.19:                               ;   in Loop: Header=BB188_10 Depth=1
	v_add_nc_u32_e32 v5, s17, v5
	global_store_b32 v4, v5, s[2:3] scale_offset
	s_wait_xcnt 0x0
	s_and_saveexec_b32 s19, s4
	s_cbranch_execz .LBB188_8
; %bb.20:                               ;   in Loop: Header=BB188_10 Depth=1
	v_ashrrev_i32_e32 v5, 31, v4
	ds_load_2addr_b64 v[30:33], v23 offset1:1
	v_mul_u64_e32 v[14:15], s[14:15], v[4:5]
	s_delay_alu instid0(VALU_DEP_1)
	v_lshl_add_u64 v[14:15], v[14:15], 4, v[12:13]
	s_wait_dscnt 0x0
	global_store_b128 v[14:15], v[30:33], off
	s_branch .LBB188_8
.LBB188_21:
	s_endpgm
	.section	.rodata,"a",@progbits
	.p2align	6, 0x0
	.amdhsa_kernel _ZN9rocsparseL44csr2gebsr_wavefront_per_row_multipass_kernelILi256ELi4ELi8ELi32E21rocsparse_complex_numIdEEEv20rocsparse_direction_iiiiii21rocsparse_index_base_PKT3_PKiS9_S4_PS5_PiSB_
		.amdhsa_group_segment_fixed_size 4104
		.amdhsa_private_segment_fixed_size 0
		.amdhsa_kernarg_size 88
		.amdhsa_user_sgpr_count 2
		.amdhsa_user_sgpr_dispatch_ptr 0
		.amdhsa_user_sgpr_queue_ptr 0
		.amdhsa_user_sgpr_kernarg_segment_ptr 1
		.amdhsa_user_sgpr_dispatch_id 0
		.amdhsa_user_sgpr_kernarg_preload_length 0
		.amdhsa_user_sgpr_kernarg_preload_offset 0
		.amdhsa_user_sgpr_private_segment_size 0
		.amdhsa_wavefront_size32 1
		.amdhsa_uses_dynamic_stack 0
		.amdhsa_enable_private_segment 0
		.amdhsa_system_sgpr_workgroup_id_x 1
		.amdhsa_system_sgpr_workgroup_id_y 0
		.amdhsa_system_sgpr_workgroup_id_z 0
		.amdhsa_system_sgpr_workgroup_info 0
		.amdhsa_system_vgpr_workitem_id 0
		.amdhsa_next_free_vgpr 38
		.amdhsa_next_free_sgpr 22
		.amdhsa_named_barrier_count 0
		.amdhsa_reserve_vcc 1
		.amdhsa_float_round_mode_32 0
		.amdhsa_float_round_mode_16_64 0
		.amdhsa_float_denorm_mode_32 3
		.amdhsa_float_denorm_mode_16_64 3
		.amdhsa_fp16_overflow 0
		.amdhsa_memory_ordered 1
		.amdhsa_forward_progress 1
		.amdhsa_inst_pref_size 12
		.amdhsa_round_robin_scheduling 0
		.amdhsa_exception_fp_ieee_invalid_op 0
		.amdhsa_exception_fp_denorm_src 0
		.amdhsa_exception_fp_ieee_div_zero 0
		.amdhsa_exception_fp_ieee_overflow 0
		.amdhsa_exception_fp_ieee_underflow 0
		.amdhsa_exception_fp_ieee_inexact 0
		.amdhsa_exception_int_div_zero 0
	.end_amdhsa_kernel
	.section	.text._ZN9rocsparseL44csr2gebsr_wavefront_per_row_multipass_kernelILi256ELi4ELi8ELi32E21rocsparse_complex_numIdEEEv20rocsparse_direction_iiiiii21rocsparse_index_base_PKT3_PKiS9_S4_PS5_PiSB_,"axG",@progbits,_ZN9rocsparseL44csr2gebsr_wavefront_per_row_multipass_kernelILi256ELi4ELi8ELi32E21rocsparse_complex_numIdEEEv20rocsparse_direction_iiiiii21rocsparse_index_base_PKT3_PKiS9_S4_PS5_PiSB_,comdat
.Lfunc_end188:
	.size	_ZN9rocsparseL44csr2gebsr_wavefront_per_row_multipass_kernelILi256ELi4ELi8ELi32E21rocsparse_complex_numIdEEEv20rocsparse_direction_iiiiii21rocsparse_index_base_PKT3_PKiS9_S4_PS5_PiSB_, .Lfunc_end188-_ZN9rocsparseL44csr2gebsr_wavefront_per_row_multipass_kernelILi256ELi4ELi8ELi32E21rocsparse_complex_numIdEEEv20rocsparse_direction_iiiiii21rocsparse_index_base_PKT3_PKiS9_S4_PS5_PiSB_
                                        ; -- End function
	.set _ZN9rocsparseL44csr2gebsr_wavefront_per_row_multipass_kernelILi256ELi4ELi8ELi32E21rocsparse_complex_numIdEEEv20rocsparse_direction_iiiiii21rocsparse_index_base_PKT3_PKiS9_S4_PS5_PiSB_.num_vgpr, 38
	.set _ZN9rocsparseL44csr2gebsr_wavefront_per_row_multipass_kernelILi256ELi4ELi8ELi32E21rocsparse_complex_numIdEEEv20rocsparse_direction_iiiiii21rocsparse_index_base_PKT3_PKiS9_S4_PS5_PiSB_.num_agpr, 0
	.set _ZN9rocsparseL44csr2gebsr_wavefront_per_row_multipass_kernelILi256ELi4ELi8ELi32E21rocsparse_complex_numIdEEEv20rocsparse_direction_iiiiii21rocsparse_index_base_PKT3_PKiS9_S4_PS5_PiSB_.numbered_sgpr, 22
	.set _ZN9rocsparseL44csr2gebsr_wavefront_per_row_multipass_kernelILi256ELi4ELi8ELi32E21rocsparse_complex_numIdEEEv20rocsparse_direction_iiiiii21rocsparse_index_base_PKT3_PKiS9_S4_PS5_PiSB_.num_named_barrier, 0
	.set _ZN9rocsparseL44csr2gebsr_wavefront_per_row_multipass_kernelILi256ELi4ELi8ELi32E21rocsparse_complex_numIdEEEv20rocsparse_direction_iiiiii21rocsparse_index_base_PKT3_PKiS9_S4_PS5_PiSB_.private_seg_size, 0
	.set _ZN9rocsparseL44csr2gebsr_wavefront_per_row_multipass_kernelILi256ELi4ELi8ELi32E21rocsparse_complex_numIdEEEv20rocsparse_direction_iiiiii21rocsparse_index_base_PKT3_PKiS9_S4_PS5_PiSB_.uses_vcc, 1
	.set _ZN9rocsparseL44csr2gebsr_wavefront_per_row_multipass_kernelILi256ELi4ELi8ELi32E21rocsparse_complex_numIdEEEv20rocsparse_direction_iiiiii21rocsparse_index_base_PKT3_PKiS9_S4_PS5_PiSB_.uses_flat_scratch, 0
	.set _ZN9rocsparseL44csr2gebsr_wavefront_per_row_multipass_kernelILi256ELi4ELi8ELi32E21rocsparse_complex_numIdEEEv20rocsparse_direction_iiiiii21rocsparse_index_base_PKT3_PKiS9_S4_PS5_PiSB_.has_dyn_sized_stack, 0
	.set _ZN9rocsparseL44csr2gebsr_wavefront_per_row_multipass_kernelILi256ELi4ELi8ELi32E21rocsparse_complex_numIdEEEv20rocsparse_direction_iiiiii21rocsparse_index_base_PKT3_PKiS9_S4_PS5_PiSB_.has_recursion, 0
	.set _ZN9rocsparseL44csr2gebsr_wavefront_per_row_multipass_kernelILi256ELi4ELi8ELi32E21rocsparse_complex_numIdEEEv20rocsparse_direction_iiiiii21rocsparse_index_base_PKT3_PKiS9_S4_PS5_PiSB_.has_indirect_call, 0
	.section	.AMDGPU.csdata,"",@progbits
; Kernel info:
; codeLenInByte = 1444
; TotalNumSgprs: 24
; NumVgprs: 38
; ScratchSize: 0
; MemoryBound: 0
; FloatMode: 240
; IeeeMode: 1
; LDSByteSize: 4104 bytes/workgroup (compile time only)
; SGPRBlocks: 0
; VGPRBlocks: 2
; NumSGPRsForWavesPerEU: 24
; NumVGPRsForWavesPerEU: 38
; NamedBarCnt: 0
; Occupancy: 16
; WaveLimiterHint : 0
; COMPUTE_PGM_RSRC2:SCRATCH_EN: 0
; COMPUTE_PGM_RSRC2:USER_SGPR: 2
; COMPUTE_PGM_RSRC2:TRAP_HANDLER: 0
; COMPUTE_PGM_RSRC2:TGID_X_EN: 1
; COMPUTE_PGM_RSRC2:TGID_Y_EN: 0
; COMPUTE_PGM_RSRC2:TGID_Z_EN: 0
; COMPUTE_PGM_RSRC2:TIDIG_COMP_CNT: 0
	.section	.text._ZN9rocsparseL44csr2gebsr_wavefront_per_row_multipass_kernelILi256ELi4ELi16ELi64E21rocsparse_complex_numIdEEEv20rocsparse_direction_iiiiii21rocsparse_index_base_PKT3_PKiS9_S4_PS5_PiSB_,"axG",@progbits,_ZN9rocsparseL44csr2gebsr_wavefront_per_row_multipass_kernelILi256ELi4ELi16ELi64E21rocsparse_complex_numIdEEEv20rocsparse_direction_iiiiii21rocsparse_index_base_PKT3_PKiS9_S4_PS5_PiSB_,comdat
	.globl	_ZN9rocsparseL44csr2gebsr_wavefront_per_row_multipass_kernelILi256ELi4ELi16ELi64E21rocsparse_complex_numIdEEEv20rocsparse_direction_iiiiii21rocsparse_index_base_PKT3_PKiS9_S4_PS5_PiSB_ ; -- Begin function _ZN9rocsparseL44csr2gebsr_wavefront_per_row_multipass_kernelILi256ELi4ELi16ELi64E21rocsparse_complex_numIdEEEv20rocsparse_direction_iiiiii21rocsparse_index_base_PKT3_PKiS9_S4_PS5_PiSB_
	.p2align	8
	.type	_ZN9rocsparseL44csr2gebsr_wavefront_per_row_multipass_kernelILi256ELi4ELi16ELi64E21rocsparse_complex_numIdEEEv20rocsparse_direction_iiiiii21rocsparse_index_base_PKT3_PKiS9_S4_PS5_PiSB_,@function
_ZN9rocsparseL44csr2gebsr_wavefront_per_row_multipass_kernelILi256ELi4ELi16ELi64E21rocsparse_complex_numIdEEEv20rocsparse_direction_iiiiii21rocsparse_index_base_PKT3_PKiS9_S4_PS5_PiSB_: ; @_ZN9rocsparseL44csr2gebsr_wavefront_per_row_multipass_kernelILi256ELi4ELi16ELi64E21rocsparse_complex_numIdEEEv20rocsparse_direction_iiiiii21rocsparse_index_base_PKT3_PKiS9_S4_PS5_PiSB_
; %bb.0:
	s_clause 0x1
	s_load_b128 s[4:7], s[0:1], 0xc
	s_load_b64 s[12:13], s[0:1], 0x0
	s_bfe_u32 s2, ttmp6, 0x4000c
	s_and_b32 s3, ttmp6, 15
	s_add_co_i32 s2, s2, 1
	s_getreg_b32 s8, hwreg(HW_REG_IB_STS2, 6, 4)
	s_mul_i32 s2, ttmp9, s2
	v_dual_lshrrev_b32 v16, 6, v0 :: v_dual_mov_b32 v4, 0
	s_add_co_i32 s3, s3, s2
	s_cmp_eq_u32 s8, 0
	v_bfe_u32 v1, v0, 4, 2
	s_cselect_b32 s2, ttmp9, s3
	s_clause 0x1
	s_load_b32 s16, s[0:1], 0x1c
	s_load_b64 s[8:9], s[0:1], 0x28
	v_lshl_or_b32 v2, s2, 2, v16
	v_mov_b32_e32 v10, 0
	s_wait_kmcnt 0x0
	s_delay_alu instid0(VALU_DEP_2) | instskip(SKIP_1) | instid1(VALU_DEP_2)
	v_mad_u32 v3, v2, s6, v1
	v_cmp_gt_i32_e32 vcc_lo, s6, v1
	v_cmp_gt_i32_e64 s2, s13, v3
	s_and_b32 s2, vcc_lo, s2
	s_delay_alu instid0(SALU_CYCLE_1)
	s_and_saveexec_b32 s3, s2
	s_cbranch_execz .LBB189_2
; %bb.1:
	global_load_b32 v5, v3, s[8:9] scale_offset
	s_wait_loadcnt 0x0
	v_subrev_nc_u32_e32 v10, s16, v5
.LBB189_2:
	s_or_b32 exec_lo, exec_lo, s3
	v_mov_b32_e32 v17, 0
	s_and_saveexec_b32 s3, s2
	s_cbranch_execz .LBB189_4
; %bb.3:
	global_load_b32 v3, v3, s[8:9] offset:4 scale_offset
	s_wait_loadcnt 0x0
	v_subrev_nc_u32_e32 v17, s16, v3
.LBB189_4:
	s_or_b32 exec_lo, exec_lo, s3
	s_load_b32 s17, s[0:1], 0x38
	s_mov_b32 s3, exec_lo
	v_cmpx_gt_i32_e64 s4, v2
	s_cbranch_execz .LBB189_6
; %bb.5:
	s_load_b64 s[8:9], s[0:1], 0x48
	s_wait_kmcnt 0x0
	global_load_b32 v2, v2, s[8:9] scale_offset
	s_wait_loadcnt 0x0
	v_subrev_nc_u32_e32 v4, s17, v2
.LBB189_6:
	s_or_b32 exec_lo, exec_lo, s3
	s_cmp_lt_i32 s5, 1
	s_cbranch_scc1 .LBB189_21
; %bb.7:
	v_and_b32_e32 v2, 0xc0, v0
	v_dual_lshlrev_b32 v3, 8, v1 :: v_dual_bitop2_b32 v6, 15, v0 bitop3:0x40
	v_mbcnt_lo_u32_b32 v5, -1, 0
	s_clause 0x3
	s_load_b64 s[2:3], s[0:1], 0x50
	s_load_b64 s[14:15], s[0:1], 0x40
	;; [unrolled: 1-line block ×4, first 2 shown]
	v_mov_b32_e32 v9, 0
	v_lshl_or_b32 v18, v2, 4, v3
	v_mul_lo_u32 v2, s7, v1
	v_xor_b32_e32 v3, 4, v5
	v_xor_b32_e32 v0, 8, v5
	;; [unrolled: 1-line block ×3, first 2 shown]
	v_mul_lo_u32 v8, s6, v6
	v_lshl_or_b32 v23, v5, 2, 60
	v_bfrev_b32_e32 v27, 0.5
	s_wait_xcnt 0x0
	v_cmp_gt_i32_e64 s0, 32, v0
	s_mov_b32 s13, 0
	v_dual_mov_b32 v28, 1 :: v_dual_bitop2_b32 v15, 1, v5 bitop3:0x14
	v_cndmask_b32_e64 v11, v5, v0, s0
	v_cmp_gt_i32_e64 s0, 32, v3
	v_lshlrev_b32_e32 v0, 4, v6
	s_wait_kmcnt 0x0
	v_lshl_add_u64 v[12:13], v[8:9], 4, s[14:15]
	v_dual_mov_b32 v1, v9 :: v_dual_lshlrev_b32 v8, 4, v1
	v_cndmask_b32_e64 v14, v5, v3, s0
	v_cmp_gt_i32_e64 s0, 32, v7
	v_ashrrev_i32_e32 v3, 31, v2
	v_cmp_gt_i32_e64 s1, 32, v15
	v_dual_lshlrev_b32 v19, 2, v11 :: v_dual_bitop2_b32 v24, v18, v0 bitop3:0x54
	s_delay_alu instid0(VALU_DEP_4) | instskip(SKIP_3) | instid1(VALU_DEP_4)
	v_cndmask_b32_e64 v7, v5, v7, s0
	v_cmp_gt_u32_e64 s0, s7, v6
	v_lshl_add_u64 v[2:3], v[2:3], 4, s[14:15]
	v_dual_cndmask_b32 v15, v5, v15, s1 :: v_dual_lshlrev_b32 v20, 2, v14
	v_lshlrev_b32_e32 v21, 2, v7
	s_and_b32 s4, vcc_lo, s0
	s_cmp_eq_u32 s12, 0
	v_add_nc_u64_e32 v[2:3], v[2:3], v[0:1]
	s_cselect_b32 vcc_lo, -1, 0
	s_abs_i32 s18, s7
	v_or_b32_e32 v0, 32, v5
	s_cvt_f32_u32 s0, s18
	v_dual_lshlrev_b32 v22, 2, v15 :: v_dual_bitop2_b32 v7, 16, v5 bitop3:0x14
	s_mov_b32 s12, s6
	s_delay_alu instid0(SALU_CYCLE_1)
	v_rcp_iflag_f32_e32 v1, s0
	v_cmp_gt_i32_e64 s0, 32, v0
	v_add_nc_u64_e32 v[12:13], v[12:13], v[8:9]
	s_sub_co_i32 s14, 0, s18
	s_ashr_i32 s1, s7, 31
	v_cndmask_b32_e64 v0, v5, v0, s0
	s_delay_alu instid0(TRANS32_DEP_1) | instskip(SKIP_1) | instid1(VALU_DEP_4)
	v_readfirstlane_b32 s6, v1
	v_cmp_gt_i32_e64 s0, 32, v7
	v_dual_cndmask_b32 v13, v13, v3 :: v_dual_cndmask_b32 v12, v12, v2
	v_mov_b32_e32 v2, v9
	s_mul_f32 s6, s6, 0x4f7ffffe
	v_cndmask_b32_e64 v1, v5, v7, s0
	v_dual_mov_b32 v7, v9 :: v_dual_lshlrev_b32 v25, 2, v0
	s_delay_alu instid0(SALU_CYCLE_1) | instskip(NEXT) | instid1(VALU_DEP_2)
	s_cvt_u32_f32 s6, s6
	v_dual_mov_b32 v0, v9 :: v_dual_lshlrev_b32 v26, 2, v1
	v_mov_b32_e32 v1, v9
	s_delay_alu instid0(SALU_CYCLE_1)
	s_mul_i32 s14, s14, s6
	v_dual_mov_b32 v3, v9 :: v_dual_mov_b32 v5, 0
	s_mov_b32 s0, s7
	s_mul_hi_u32 s19, s6, s14
	s_mul_u64 s[14:15], s[0:1], s[12:13]
	s_add_co_i32 s12, s6, s19
	s_mov_b32 s6, s13
	s_branch .LBB189_10
.LBB189_8:                              ;   in Loop: Header=BB189_10 Depth=1
	s_wait_xcnt 0x0
	s_or_b32 exec_lo, exec_lo, s19
	v_mov_b32_e32 v8, 1
.LBB189_9:                              ;   in Loop: Header=BB189_10 Depth=1
	s_or_b32 exec_lo, exec_lo, s0
	ds_bpermute_b32 v5, v25, v29
	s_wait_storecnt_dscnt 0x0
	v_dual_add_nc_u32 v4, v8, v4 :: v_dual_min_i32 v5, v5, v29
	ds_bpermute_b32 v11, v26, v5
	s_wait_dscnt 0x0
	v_min_i32_e32 v5, v11, v5
	ds_bpermute_b32 v11, v19, v5
	s_wait_dscnt 0x0
	v_min_i32_e32 v5, v11, v5
	;; [unrolled: 3-line block ×5, first 2 shown]
	ds_bpermute_b32 v5, v27, v5
	s_wait_dscnt 0x0
	v_cmp_le_i32_e32 vcc_lo, s5, v5
	s_or_b32 s6, vcc_lo, s6
	s_delay_alu instid0(SALU_CYCLE_1)
	s_and_not1_b32 exec_lo, exec_lo, s6
	s_cbranch_execz .LBB189_21
.LBB189_10:                             ; =>This Loop Header: Depth=1
                                        ;     Child Loop BB189_13 Depth 2
	v_dual_mov_b32 v29, s5 :: v_dual_add_nc_u32 v30, v10, v6
	v_mov_b32_e32 v32, v17
	s_mov_b32 s19, exec_lo
	ds_store_b8 v16, v9 offset:4096
	ds_store_b128 v24, v[0:3]
	s_wait_dscnt 0x0
	v_cmpx_lt_i32_e64 v30, v17
	s_cbranch_execz .LBB189_18
; %bb.11:                               ;   in Loop: Header=BB189_10 Depth=1
	v_dual_ashrrev_i32 v11, 31, v10 :: v_dual_mov_b32 v29, s5
	v_mul_lo_u32 v31, v5, s7
	v_mov_b32_e32 v32, v17
	s_mov_b32 s20, 0
	s_delay_alu instid0(VALU_DEP_3) | instskip(NEXT) | instid1(VALU_DEP_1)
	v_add_nc_u64_e32 v[14:15], v[6:7], v[10:11]
	v_lshl_add_u64 v[10:11], v[14:15], 2, s[10:11]
	v_lshl_add_u64 v[14:15], v[14:15], 4, s[8:9]
	s_branch .LBB189_13
.LBB189_12:                             ;   in Loop: Header=BB189_13 Depth=2
	s_wait_xcnt 0x0
	s_or_b32 exec_lo, exec_lo, s0
	v_add_nc_u32_e32 v30, 16, v30
	s_xor_b32 s21, vcc_lo, -1
	v_add_nc_u64_e32 v[10:11], 64, v[10:11]
	v_add_nc_u64_e32 v[14:15], 0x100, v[14:15]
	s_delay_alu instid0(VALU_DEP_3) | instskip(SKIP_1) | instid1(SALU_CYCLE_1)
	v_cmp_ge_i32_e64 s0, v30, v17
	s_or_b32 s0, s21, s0
	s_and_b32 s0, exec_lo, s0
	s_delay_alu instid0(SALU_CYCLE_1) | instskip(NEXT) | instid1(SALU_CYCLE_1)
	s_or_b32 s20, s0, s20
	s_and_not1_b32 exec_lo, exec_lo, s20
	s_cbranch_execz .LBB189_17
.LBB189_13:                             ;   Parent Loop BB189_10 Depth=1
                                        ; =>  This Inner Loop Header: Depth=2
	global_load_b32 v8, v[10:11], off
	s_wait_loadcnt 0x0
	v_subrev_nc_u32_e32 v33, s16, v8
	s_delay_alu instid0(VALU_DEP_1) | instskip(NEXT) | instid1(VALU_DEP_1)
	v_sub_nc_u32_e32 v8, 0, v33
	v_max_i32_e32 v8, v33, v8
	s_delay_alu instid0(VALU_DEP_1) | instskip(NEXT) | instid1(VALU_DEP_1)
	v_mul_u64_e32 v[34:35], s[12:13], v[8:9]
	v_mul_lo_u32 v34, v35, s18
	s_delay_alu instid0(VALU_DEP_1) | instskip(NEXT) | instid1(VALU_DEP_1)
	v_dual_sub_nc_u32 v8, v8, v34 :: v_dual_add_nc_u32 v34, 1, v35
	v_cmp_le_u32_e32 vcc_lo, s18, v8
	s_delay_alu instid0(VALU_DEP_2) | instskip(SKIP_1) | instid1(VALU_DEP_1)
	v_dual_cndmask_b32 v34, v35, v34 :: v_dual_ashrrev_i32 v35, 31, v33
	v_subrev_nc_u32_e32 v36, s18, v8
	v_dual_cndmask_b32 v8, v8, v36, vcc_lo :: v_dual_add_nc_u32 v36, 1, v34
	s_delay_alu instid0(VALU_DEP_1) | instskip(NEXT) | instid1(VALU_DEP_2)
	v_cmp_le_u32_e32 vcc_lo, s18, v8
	v_dual_cndmask_b32 v8, v34, v36, vcc_lo :: v_dual_bitop2_b32 v35, s1, v35 bitop3:0x14
	s_delay_alu instid0(VALU_DEP_1) | instskip(NEXT) | instid1(VALU_DEP_1)
	v_xor_b32_e32 v8, v8, v35
	v_sub_nc_u32_e32 v34, v8, v35
	v_mov_b32_e32 v8, v32
	s_delay_alu instid0(VALU_DEP_2) | instskip(SKIP_3) | instid1(SALU_CYCLE_1)
	v_cmp_ne_u32_e64 s0, v34, v5
	v_cmp_eq_u32_e32 vcc_lo, v34, v5
	s_wait_xcnt 0x0
	s_and_saveexec_b32 s21, s0
	s_xor_b32 s0, exec_lo, s21
; %bb.14:                               ;   in Loop: Header=BB189_13 Depth=2
	v_min_i32_e32 v29, v34, v29
                                        ; implicit-def: $vgpr33
                                        ; implicit-def: $vgpr8
; %bb.15:                               ;   in Loop: Header=BB189_13 Depth=2
	s_or_saveexec_b32 s0, s0
	v_mov_b32_e32 v32, v30
	s_xor_b32 exec_lo, exec_lo, s0
	s_cbranch_execz .LBB189_12
; %bb.16:                               ;   in Loop: Header=BB189_13 Depth=2
	global_load_b128 v[34:37], v[14:15], off
	v_sub_nc_u32_e32 v32, v33, v31
	s_delay_alu instid0(VALU_DEP_1)
	v_lshl_add_u32 v33, v32, 4, v18
	v_mov_b32_e32 v32, v8
	ds_store_b8 v16, v28 offset:4096
	s_wait_loadcnt 0x0
	ds_store_2addr_b64 v33, v[34:35], v[36:37] offset1:1
	s_branch .LBB189_12
.LBB189_17:                             ;   in Loop: Header=BB189_10 Depth=1
	s_or_b32 exec_lo, exec_lo, s20
.LBB189_18:                             ;   in Loop: Header=BB189_10 Depth=1
	s_delay_alu instid0(SALU_CYCLE_1)
	s_or_b32 exec_lo, exec_lo, s19
	ds_bpermute_b32 v8, v19, v32
	s_wait_dscnt 0x0
	ds_load_u8 v11, v16 offset:4096
	v_min_i32_e32 v8, v8, v32
	ds_bpermute_b32 v10, v20, v8
	s_wait_dscnt 0x0
	v_min_i32_e32 v8, v10, v8
	ds_bpermute_b32 v10, v21, v8
	s_wait_dscnt 0x0
	;; [unrolled: 3-line block ×3, first 2 shown]
	v_min_i32_e32 v8, v10, v8
	ds_bpermute_b32 v10, v23, v8
	v_and_b32_e32 v8, 1, v11
	s_delay_alu instid0(VALU_DEP_1)
	v_cmp_eq_u32_e32 vcc_lo, 1, v8
	v_mov_b32_e32 v8, 0
	s_and_saveexec_b32 s0, vcc_lo
	s_cbranch_execz .LBB189_9
; %bb.19:                               ;   in Loop: Header=BB189_10 Depth=1
	v_add_nc_u32_e32 v5, s17, v5
	global_store_b32 v4, v5, s[2:3] scale_offset
	s_wait_xcnt 0x0
	s_and_saveexec_b32 s19, s4
	s_cbranch_execz .LBB189_8
; %bb.20:                               ;   in Loop: Header=BB189_10 Depth=1
	v_ashrrev_i32_e32 v5, 31, v4
	ds_load_2addr_b64 v[30:33], v24 offset1:1
	v_mul_u64_e32 v[14:15], s[14:15], v[4:5]
	s_delay_alu instid0(VALU_DEP_1)
	v_lshl_add_u64 v[14:15], v[14:15], 4, v[12:13]
	s_wait_dscnt 0x0
	global_store_b128 v[14:15], v[30:33], off
	s_branch .LBB189_8
.LBB189_21:
	s_endpgm
	.section	.rodata,"a",@progbits
	.p2align	6, 0x0
	.amdhsa_kernel _ZN9rocsparseL44csr2gebsr_wavefront_per_row_multipass_kernelILi256ELi4ELi16ELi64E21rocsparse_complex_numIdEEEv20rocsparse_direction_iiiiii21rocsparse_index_base_PKT3_PKiS9_S4_PS5_PiSB_
		.amdhsa_group_segment_fixed_size 4104
		.amdhsa_private_segment_fixed_size 0
		.amdhsa_kernarg_size 88
		.amdhsa_user_sgpr_count 2
		.amdhsa_user_sgpr_dispatch_ptr 0
		.amdhsa_user_sgpr_queue_ptr 0
		.amdhsa_user_sgpr_kernarg_segment_ptr 1
		.amdhsa_user_sgpr_dispatch_id 0
		.amdhsa_user_sgpr_kernarg_preload_length 0
		.amdhsa_user_sgpr_kernarg_preload_offset 0
		.amdhsa_user_sgpr_private_segment_size 0
		.amdhsa_wavefront_size32 1
		.amdhsa_uses_dynamic_stack 0
		.amdhsa_enable_private_segment 0
		.amdhsa_system_sgpr_workgroup_id_x 1
		.amdhsa_system_sgpr_workgroup_id_y 0
		.amdhsa_system_sgpr_workgroup_id_z 0
		.amdhsa_system_sgpr_workgroup_info 0
		.amdhsa_system_vgpr_workitem_id 0
		.amdhsa_next_free_vgpr 38
		.amdhsa_next_free_sgpr 22
		.amdhsa_named_barrier_count 0
		.amdhsa_reserve_vcc 1
		.amdhsa_float_round_mode_32 0
		.amdhsa_float_round_mode_16_64 0
		.amdhsa_float_denorm_mode_32 3
		.amdhsa_float_denorm_mode_16_64 3
		.amdhsa_fp16_overflow 0
		.amdhsa_memory_ordered 1
		.amdhsa_forward_progress 1
		.amdhsa_inst_pref_size 12
		.amdhsa_round_robin_scheduling 0
		.amdhsa_exception_fp_ieee_invalid_op 0
		.amdhsa_exception_fp_denorm_src 0
		.amdhsa_exception_fp_ieee_div_zero 0
		.amdhsa_exception_fp_ieee_overflow 0
		.amdhsa_exception_fp_ieee_underflow 0
		.amdhsa_exception_fp_ieee_inexact 0
		.amdhsa_exception_int_div_zero 0
	.end_amdhsa_kernel
	.section	.text._ZN9rocsparseL44csr2gebsr_wavefront_per_row_multipass_kernelILi256ELi4ELi16ELi64E21rocsparse_complex_numIdEEEv20rocsparse_direction_iiiiii21rocsparse_index_base_PKT3_PKiS9_S4_PS5_PiSB_,"axG",@progbits,_ZN9rocsparseL44csr2gebsr_wavefront_per_row_multipass_kernelILi256ELi4ELi16ELi64E21rocsparse_complex_numIdEEEv20rocsparse_direction_iiiiii21rocsparse_index_base_PKT3_PKiS9_S4_PS5_PiSB_,comdat
.Lfunc_end189:
	.size	_ZN9rocsparseL44csr2gebsr_wavefront_per_row_multipass_kernelILi256ELi4ELi16ELi64E21rocsparse_complex_numIdEEEv20rocsparse_direction_iiiiii21rocsparse_index_base_PKT3_PKiS9_S4_PS5_PiSB_, .Lfunc_end189-_ZN9rocsparseL44csr2gebsr_wavefront_per_row_multipass_kernelILi256ELi4ELi16ELi64E21rocsparse_complex_numIdEEEv20rocsparse_direction_iiiiii21rocsparse_index_base_PKT3_PKiS9_S4_PS5_PiSB_
                                        ; -- End function
	.set _ZN9rocsparseL44csr2gebsr_wavefront_per_row_multipass_kernelILi256ELi4ELi16ELi64E21rocsparse_complex_numIdEEEv20rocsparse_direction_iiiiii21rocsparse_index_base_PKT3_PKiS9_S4_PS5_PiSB_.num_vgpr, 38
	.set _ZN9rocsparseL44csr2gebsr_wavefront_per_row_multipass_kernelILi256ELi4ELi16ELi64E21rocsparse_complex_numIdEEEv20rocsparse_direction_iiiiii21rocsparse_index_base_PKT3_PKiS9_S4_PS5_PiSB_.num_agpr, 0
	.set _ZN9rocsparseL44csr2gebsr_wavefront_per_row_multipass_kernelILi256ELi4ELi16ELi64E21rocsparse_complex_numIdEEEv20rocsparse_direction_iiiiii21rocsparse_index_base_PKT3_PKiS9_S4_PS5_PiSB_.numbered_sgpr, 22
	.set _ZN9rocsparseL44csr2gebsr_wavefront_per_row_multipass_kernelILi256ELi4ELi16ELi64E21rocsparse_complex_numIdEEEv20rocsparse_direction_iiiiii21rocsparse_index_base_PKT3_PKiS9_S4_PS5_PiSB_.num_named_barrier, 0
	.set _ZN9rocsparseL44csr2gebsr_wavefront_per_row_multipass_kernelILi256ELi4ELi16ELi64E21rocsparse_complex_numIdEEEv20rocsparse_direction_iiiiii21rocsparse_index_base_PKT3_PKiS9_S4_PS5_PiSB_.private_seg_size, 0
	.set _ZN9rocsparseL44csr2gebsr_wavefront_per_row_multipass_kernelILi256ELi4ELi16ELi64E21rocsparse_complex_numIdEEEv20rocsparse_direction_iiiiii21rocsparse_index_base_PKT3_PKiS9_S4_PS5_PiSB_.uses_vcc, 1
	.set _ZN9rocsparseL44csr2gebsr_wavefront_per_row_multipass_kernelILi256ELi4ELi16ELi64E21rocsparse_complex_numIdEEEv20rocsparse_direction_iiiiii21rocsparse_index_base_PKT3_PKiS9_S4_PS5_PiSB_.uses_flat_scratch, 0
	.set _ZN9rocsparseL44csr2gebsr_wavefront_per_row_multipass_kernelILi256ELi4ELi16ELi64E21rocsparse_complex_numIdEEEv20rocsparse_direction_iiiiii21rocsparse_index_base_PKT3_PKiS9_S4_PS5_PiSB_.has_dyn_sized_stack, 0
	.set _ZN9rocsparseL44csr2gebsr_wavefront_per_row_multipass_kernelILi256ELi4ELi16ELi64E21rocsparse_complex_numIdEEEv20rocsparse_direction_iiiiii21rocsparse_index_base_PKT3_PKiS9_S4_PS5_PiSB_.has_recursion, 0
	.set _ZN9rocsparseL44csr2gebsr_wavefront_per_row_multipass_kernelILi256ELi4ELi16ELi64E21rocsparse_complex_numIdEEEv20rocsparse_direction_iiiiii21rocsparse_index_base_PKT3_PKiS9_S4_PS5_PiSB_.has_indirect_call, 0
	.section	.AMDGPU.csdata,"",@progbits
; Kernel info:
; codeLenInByte = 1504
; TotalNumSgprs: 24
; NumVgprs: 38
; ScratchSize: 0
; MemoryBound: 0
; FloatMode: 240
; IeeeMode: 1
; LDSByteSize: 4104 bytes/workgroup (compile time only)
; SGPRBlocks: 0
; VGPRBlocks: 2
; NumSGPRsForWavesPerEU: 24
; NumVGPRsForWavesPerEU: 38
; NamedBarCnt: 0
; Occupancy: 16
; WaveLimiterHint : 0
; COMPUTE_PGM_RSRC2:SCRATCH_EN: 0
; COMPUTE_PGM_RSRC2:USER_SGPR: 2
; COMPUTE_PGM_RSRC2:TRAP_HANDLER: 0
; COMPUTE_PGM_RSRC2:TGID_X_EN: 1
; COMPUTE_PGM_RSRC2:TGID_Y_EN: 0
; COMPUTE_PGM_RSRC2:TGID_Z_EN: 0
; COMPUTE_PGM_RSRC2:TIDIG_COMP_CNT: 0
	.section	.text._ZN9rocsparseL44csr2gebsr_wavefront_per_row_multipass_kernelILi256ELi4ELi16ELi32E21rocsparse_complex_numIdEEEv20rocsparse_direction_iiiiii21rocsparse_index_base_PKT3_PKiS9_S4_PS5_PiSB_,"axG",@progbits,_ZN9rocsparseL44csr2gebsr_wavefront_per_row_multipass_kernelILi256ELi4ELi16ELi32E21rocsparse_complex_numIdEEEv20rocsparse_direction_iiiiii21rocsparse_index_base_PKT3_PKiS9_S4_PS5_PiSB_,comdat
	.globl	_ZN9rocsparseL44csr2gebsr_wavefront_per_row_multipass_kernelILi256ELi4ELi16ELi32E21rocsparse_complex_numIdEEEv20rocsparse_direction_iiiiii21rocsparse_index_base_PKT3_PKiS9_S4_PS5_PiSB_ ; -- Begin function _ZN9rocsparseL44csr2gebsr_wavefront_per_row_multipass_kernelILi256ELi4ELi16ELi32E21rocsparse_complex_numIdEEEv20rocsparse_direction_iiiiii21rocsparse_index_base_PKT3_PKiS9_S4_PS5_PiSB_
	.p2align	8
	.type	_ZN9rocsparseL44csr2gebsr_wavefront_per_row_multipass_kernelILi256ELi4ELi16ELi32E21rocsparse_complex_numIdEEEv20rocsparse_direction_iiiiii21rocsparse_index_base_PKT3_PKiS9_S4_PS5_PiSB_,@function
_ZN9rocsparseL44csr2gebsr_wavefront_per_row_multipass_kernelILi256ELi4ELi16ELi32E21rocsparse_complex_numIdEEEv20rocsparse_direction_iiiiii21rocsparse_index_base_PKT3_PKiS9_S4_PS5_PiSB_: ; @_ZN9rocsparseL44csr2gebsr_wavefront_per_row_multipass_kernelILi256ELi4ELi16ELi32E21rocsparse_complex_numIdEEEv20rocsparse_direction_iiiiii21rocsparse_index_base_PKT3_PKiS9_S4_PS5_PiSB_
; %bb.0:
	s_clause 0x1
	s_load_b128 s[4:7], s[0:1], 0xc
	s_load_b64 s[14:15], s[0:1], 0x0
	s_bfe_u32 s2, ttmp6, 0x4000c
	s_and_b32 s3, ttmp6, 15
	s_add_co_i32 s2, s2, 1
	s_getreg_b32 s8, hwreg(HW_REG_IB_STS2, 6, 4)
	s_mul_i32 s2, ttmp9, s2
	v_dual_lshrrev_b32 v22, 5, v0 :: v_dual_mov_b32 v4, 0
	s_add_co_i32 s3, s3, s2
	s_cmp_eq_u32 s8, 0
	v_bfe_u32 v1, v0, 3, 2
	s_cselect_b32 s2, ttmp9, s3
	s_clause 0x1
	s_load_b32 s18, s[0:1], 0x1c
	s_load_b64 s[8:9], s[0:1], 0x28
	v_lshl_or_b32 v2, s2, 3, v22
	v_mov_b32_e32 v20, 0
	s_wait_kmcnt 0x0
	s_delay_alu instid0(VALU_DEP_2) | instskip(SKIP_1) | instid1(VALU_DEP_2)
	v_mad_u32 v3, v2, s6, v1
	v_cmp_gt_i32_e32 vcc_lo, s6, v1
	v_cmp_gt_i32_e64 s2, s15, v3
	s_and_b32 s2, vcc_lo, s2
	s_delay_alu instid0(SALU_CYCLE_1)
	s_and_saveexec_b32 s3, s2
	s_cbranch_execz .LBB190_2
; %bb.1:
	global_load_b32 v5, v3, s[8:9] scale_offset
	s_wait_loadcnt 0x0
	v_subrev_nc_u32_e32 v20, s18, v5
.LBB190_2:
	s_or_b32 exec_lo, exec_lo, s3
	v_mov_b32_e32 v23, 0
	s_and_saveexec_b32 s3, s2
	s_cbranch_execz .LBB190_4
; %bb.3:
	global_load_b32 v3, v3, s[8:9] offset:4 scale_offset
	s_wait_loadcnt 0x0
	v_subrev_nc_u32_e32 v23, s18, v3
.LBB190_4:
	s_or_b32 exec_lo, exec_lo, s3
	s_load_b32 s19, s[0:1], 0x38
	s_mov_b32 s3, exec_lo
	v_cmpx_gt_i32_e64 s4, v2
	s_cbranch_execz .LBB190_6
; %bb.5:
	s_load_b64 s[8:9], s[0:1], 0x48
	s_wait_kmcnt 0x0
	global_load_b32 v2, v2, s[8:9] scale_offset
	s_wait_loadcnt 0x0
	v_subrev_nc_u32_e32 v4, s19, v2
.LBB190_6:
	s_or_b32 exec_lo, exec_lo, s3
	s_cmp_lt_i32 s5, 1
	s_cbranch_scc1 .LBB190_28
; %bb.7:
	v_mbcnt_lo_u32_b32 v5, -1, 0
	v_dual_lshlrev_b32 v2, 8, v1 :: v_dual_bitop2_b32 v24, 7, v0 bitop3:0x40
	s_clause 0x3
	s_load_b64 s[8:9], s[0:1], 0x50
	s_load_b64 s[20:21], s[0:1], 0x40
	;; [unrolled: 1-line block ×4, first 2 shown]
	s_cmp_eq_u32 s14, 0
	v_xor_b32_e32 v0, 2, v5
	v_xor_b32_e32 v3, 4, v5
	v_lshl_or_b32 v25, v22, 10, v2
	s_mov_b32 s3, 0
	s_mov_b32 s2, s6
	v_mov_b32_e32 v7, 0
	s_wait_xcnt 0x0
	v_cmp_gt_i32_e64 s0, 32, v3
	v_xor_b32_e32 v8, 16, v5
	v_lshl_or_b32 v29, v5, 2, 28
	v_dual_mov_b32 v38, 0 :: v_dual_mov_b32 v36, 1
	s_delay_alu instid0(VALU_DEP_4) | instskip(SKIP_1) | instid1(VALU_DEP_1)
	v_dual_cndmask_b32 v3, v5, v3, s0 :: v_dual_bitop2_b32 v2, 1, v5 bitop3:0x14
	v_cmp_gt_i32_e64 s0, 32, v0
	v_dual_lshlrev_b32 v26, 2, v3 :: v_dual_cndmask_b32 v0, v5, v0, s0
	s_delay_alu instid0(VALU_DEP_3) | instskip(NEXT) | instid1(VALU_DEP_1)
	v_cmp_gt_i32_e64 s0, 32, v2
	v_dual_lshlrev_b32 v27, 2, v0 :: v_dual_cndmask_b32 v6, v5, v2, s0
	s_cselect_b32 s0, -1, 0
	s_cmp_lg_u32 s14, 0
	s_mov_b32 s14, s7
	s_cselect_b32 s4, -1, 0
	s_ashr_i32 s15, s7, 31
	v_mul_lo_u32 v2, s7, v1
	s_mul_u64 s[16:17], s[14:15], s[2:3]
	s_abs_i32 s14, s7
	v_dual_lshlrev_b32 v28, 2, v6 :: v_dual_lshlrev_b32 v0, 4, v24
	s_cvt_f32_u32 s2, s14
	v_dual_mov_b32 v1, v7 :: v_dual_lshlrev_b32 v6, 4, v1
	v_cmp_gt_i32_e64 s1, 32, v8
	v_xor_b32_e32 v10, 8, v5
	v_rcp_iflag_f32_e32 v13, s2
	v_dual_ashrrev_i32 v3, 31, v2 :: v_dual_bitop2_b32 v30, v25, v0 bitop3:0x54
	s_delay_alu instid0(VALU_DEP_3) | instskip(NEXT) | instid1(VALU_DEP_3)
	v_cndmask_b32_e64 v12, v5, v8, s1
	v_cmp_gt_i32_e64 s1, 32, v10
	s_wait_kmcnt 0x0
	v_add_nc_u64_e32 v[8:9], s[20:21], v[6:7]
	v_lshl_add_u64 v[2:3], v[2:3], 4, s[20:21]
	v_readfirstlane_b32 s2, v13
	v_dual_lshlrev_b32 v31, 2, v12 :: v_dual_cndmask_b32 v5, v5, v10, s1
	v_mul_lo_u32 v12, v24, s6
	s_delay_alu instid0(VALU_DEP_4) | instskip(SKIP_1) | instid1(VALU_DEP_3)
	v_add_nc_u64_e32 v[10:11], v[2:3], v[0:1]
	s_mul_f32 s20, s2, 0x4f7ffffe
	v_dual_lshlrev_b32 v32, 2, v5 :: v_dual_bitop2_b32 v0, 8, v24 bitop3:0x54
	v_cmp_gt_u32_e64 s1, s7, v24
	s_delay_alu instid0(SALU_CYCLE_1)
	s_cvt_u32_f32 s21, s20
	v_mov_b32_e32 v33, 0x7c
	v_cmp_gt_u32_e64 s2, s7, v0
	v_dual_mov_b32 v13, v7 :: v_dual_mov_b32 v15, v7
	v_lshl_add_u32 v14, s6, 3, v12
	s_sub_co_i32 s6, 0, s14
	v_or_b32_e32 v34, 0x80, v30
	s_mul_i32 s20, s6, s21
	v_dual_mov_b32 v2, v7 :: v_dual_bitop2_b32 v35, -8, v24 bitop3:0x54
	v_dual_mov_b32 v0, v7 :: v_dual_mov_b32 v3, v7
	s_and_b32 s6, s1, vcc_lo
	s_mul_hi_u32 s1, s21, s20
	s_and_b32 s20, vcc_lo, s2
	s_add_co_i32 s2, s21, s1
	s_mov_b32 s21, s3
	s_branch .LBB190_10
.LBB190_8:                              ;   in Loop: Header=BB190_10 Depth=1
	s_wait_xcnt 0x0
	s_or_b32 exec_lo, exec_lo, s22
	v_mov_b32_e32 v5, 1
.LBB190_9:                              ;   in Loop: Header=BB190_10 Depth=1
	s_or_b32 exec_lo, exec_lo, s1
	ds_bpermute_b32 v6, v31, v37
	s_wait_storecnt_dscnt 0x0
	v_dual_add_nc_u32 v4, v5, v4 :: v_dual_min_i32 v6, v6, v37
	ds_bpermute_b32 v16, v32, v6
	s_wait_dscnt 0x0
	v_min_i32_e32 v6, v16, v6
	ds_bpermute_b32 v16, v26, v6
	s_wait_dscnt 0x0
	v_min_i32_e32 v6, v16, v6
	;; [unrolled: 3-line block ×4, first 2 shown]
	ds_bpermute_b32 v38, v33, v6
	s_wait_dscnt 0x0
	v_cmp_le_i32_e32 vcc_lo, s5, v38
	s_or_b32 s21, vcc_lo, s21
	s_delay_alu instid0(SALU_CYCLE_1)
	s_and_not1_b32 exec_lo, exec_lo, s21
	s_cbranch_execz .LBB190_28
.LBB190_10:                             ; =>This Loop Header: Depth=1
                                        ;     Child Loop BB190_11 Depth 2
                                        ;     Child Loop BB190_15 Depth 2
	v_dual_mov_b32 v5, v30 :: v_dual_mov_b32 v6, v35
	s_mov_b32 s1, 0
	ds_store_b8 v22, v7 offset:8192
.LBB190_11:                             ;   Parent Loop BB190_10 Depth=1
                                        ; =>  This Inner Loop Header: Depth=2
	v_add_co_u32 v6, s22, v6, 8
	s_xor_b32 s22, s22, -1
	ds_store_b128 v5, v[0:3]
	v_add_nc_u32_e32 v5, 0x80, v5
	s_and_b32 s22, exec_lo, s22
	s_delay_alu instid0(SALU_CYCLE_1) | instskip(NEXT) | instid1(SALU_CYCLE_1)
	s_or_b32 s1, s22, s1
	s_and_not1_b32 exec_lo, exec_lo, s1
	s_cbranch_execnz .LBB190_11
; %bb.12:                               ;   in Loop: Header=BB190_10 Depth=1
	s_or_b32 exec_lo, exec_lo, s1
	v_dual_mov_b32 v37, s5 :: v_dual_add_nc_u32 v16, v20, v24
	v_mov_b32_e32 v17, v23
	s_mov_b32 s22, exec_lo
	s_wait_dscnt 0x0
	s_delay_alu instid0(VALU_DEP_2)
	v_cmpx_lt_i32_e64 v16, v23
	s_cbranch_execz .LBB190_20
; %bb.13:                               ;   in Loop: Header=BB190_10 Depth=1
	v_mul_lo_u32 v5, v38, s7
	v_dual_ashrrev_i32 v17, 31, v16 :: v_dual_mov_b32 v37, s5
	s_mov_b32 s23, 0
	s_delay_alu instid0(VALU_DEP_1)
	v_lshl_add_u64 v[18:19], v[16:17], 2, s[12:13]
	v_lshl_add_u64 v[20:21], v[16:17], 4, s[10:11]
	v_mov_b32_e32 v17, v23
	s_branch .LBB190_15
.LBB190_14:                             ;   in Loop: Header=BB190_15 Depth=2
	s_wait_xcnt 0x0
	s_or_b32 exec_lo, exec_lo, s1
	v_add_nc_u32_e32 v16, 8, v16
	s_xor_b32 s24, vcc_lo, -1
	v_add_nc_u64_e32 v[18:19], 32, v[18:19]
	v_add_nc_u64_e32 v[20:21], 0x80, v[20:21]
	s_delay_alu instid0(VALU_DEP_3) | instskip(SKIP_1) | instid1(SALU_CYCLE_1)
	v_cmp_ge_i32_e64 s1, v16, v23
	s_or_b32 s1, s24, s1
	s_and_b32 s1, exec_lo, s1
	s_delay_alu instid0(SALU_CYCLE_1) | instskip(NEXT) | instid1(SALU_CYCLE_1)
	s_or_b32 s23, s1, s23
	s_and_not1_b32 exec_lo, exec_lo, s23
	s_cbranch_execz .LBB190_19
.LBB190_15:                             ;   Parent Loop BB190_10 Depth=1
                                        ; =>  This Inner Loop Header: Depth=2
	global_load_b32 v6, v[18:19], off
	s_wait_loadcnt 0x0
	v_subrev_nc_u32_e32 v39, s18, v6
	s_delay_alu instid0(VALU_DEP_1) | instskip(NEXT) | instid1(VALU_DEP_1)
	v_sub_nc_u32_e32 v6, 0, v39
	v_max_i32_e32 v6, v39, v6
	s_delay_alu instid0(VALU_DEP_1) | instskip(NEXT) | instid1(VALU_DEP_1)
	v_mul_u64_e32 v[40:41], s[2:3], v[6:7]
	v_mul_lo_u32 v40, v41, s14
	s_delay_alu instid0(VALU_DEP_1) | instskip(NEXT) | instid1(VALU_DEP_1)
	v_dual_sub_nc_u32 v6, v6, v40 :: v_dual_add_nc_u32 v40, 1, v41
	v_cmp_le_u32_e32 vcc_lo, s14, v6
	s_delay_alu instid0(VALU_DEP_2) | instskip(SKIP_1) | instid1(VALU_DEP_1)
	v_dual_cndmask_b32 v40, v41, v40 :: v_dual_ashrrev_i32 v41, 31, v39
	v_subrev_nc_u32_e32 v42, s14, v6
	v_dual_cndmask_b32 v6, v6, v42, vcc_lo :: v_dual_add_nc_u32 v42, 1, v40
	s_delay_alu instid0(VALU_DEP_1) | instskip(NEXT) | instid1(VALU_DEP_2)
	v_cmp_le_u32_e32 vcc_lo, s14, v6
	v_dual_cndmask_b32 v6, v40, v42, vcc_lo :: v_dual_bitop2_b32 v41, s15, v41 bitop3:0x14
	s_delay_alu instid0(VALU_DEP_1) | instskip(NEXT) | instid1(VALU_DEP_1)
	v_xor_b32_e32 v6, v6, v41
	v_dual_sub_nc_u32 v40, v6, v41 :: v_dual_mov_b32 v6, v17
	s_delay_alu instid0(VALU_DEP_1) | instskip(SKIP_3) | instid1(SALU_CYCLE_1)
	v_cmp_ne_u32_e64 s1, v40, v38
	v_cmp_eq_u32_e32 vcc_lo, v40, v38
	s_wait_xcnt 0x0
	s_and_saveexec_b32 s24, s1
	s_xor_b32 s1, exec_lo, s24
; %bb.16:                               ;   in Loop: Header=BB190_15 Depth=2
	v_min_i32_e32 v37, v40, v37
                                        ; implicit-def: $vgpr39
                                        ; implicit-def: $vgpr6
; %bb.17:                               ;   in Loop: Header=BB190_15 Depth=2
	s_or_saveexec_b32 s1, s1
	v_mov_b32_e32 v17, v16
	s_xor_b32 exec_lo, exec_lo, s1
	s_cbranch_execz .LBB190_14
; %bb.18:                               ;   in Loop: Header=BB190_15 Depth=2
	global_load_b128 v[40:43], v[20:21], off
	v_sub_nc_u32_e32 v17, v39, v5
	s_delay_alu instid0(VALU_DEP_1)
	v_lshl_add_u32 v39, v17, 4, v25
	v_mov_b32_e32 v17, v6
	ds_store_b8 v22, v36 offset:8192
	s_wait_loadcnt 0x0
	ds_store_2addr_b64 v39, v[40:41], v[42:43] offset1:1
	s_branch .LBB190_14
.LBB190_19:                             ;   in Loop: Header=BB190_10 Depth=1
	s_or_b32 exec_lo, exec_lo, s23
.LBB190_20:                             ;   in Loop: Header=BB190_10 Depth=1
	s_delay_alu instid0(SALU_CYCLE_1)
	s_or_b32 exec_lo, exec_lo, s22
	ds_bpermute_b32 v5, v26, v17
	s_wait_dscnt 0x0
	ds_load_u8 v16, v22 offset:8192
	v_min_i32_e32 v5, v5, v17
	ds_bpermute_b32 v6, v27, v5
	s_wait_dscnt 0x0
	v_min_i32_e32 v5, v6, v5
	ds_bpermute_b32 v6, v28, v5
	s_wait_dscnt 0x0
	v_min_i32_e32 v5, v6, v5
	ds_bpermute_b32 v20, v29, v5
	v_and_b32_e32 v5, 1, v16
	s_delay_alu instid0(VALU_DEP_1)
	v_cmp_eq_u32_e32 vcc_lo, 1, v5
	v_mov_b32_e32 v5, 0
	s_and_saveexec_b32 s1, vcc_lo
	s_cbranch_execz .LBB190_9
; %bb.21:                               ;   in Loop: Header=BB190_10 Depth=1
	v_ashrrev_i32_e32 v5, 31, v4
	s_delay_alu instid0(VALU_DEP_1) | instskip(SKIP_3) | instid1(VALU_DEP_1)
	v_mul_u64_e32 v[16:17], s[16:17], v[4:5]
	v_add_nc_u32_e32 v5, s19, v38
	global_store_b32 v4, v5, s[8:9] scale_offset
	v_lshlrev_b64_e32 v[16:17], 4, v[16:17]
	v_add_nc_u64_e32 v[18:19], v[8:9], v[16:17]
	v_add_nc_u64_e32 v[16:17], v[10:11], v[16:17]
	s_wait_xcnt 0x0
	s_and_saveexec_b32 s22, s6
	s_cbranch_execz .LBB190_23
; %bb.22:                               ;   in Loop: Header=BB190_10 Depth=1
	ds_load_2addr_b64 v[38:41], v30 offset1:1
	v_lshl_add_u64 v[42:43], v[12:13], 4, v[18:19]
	s_delay_alu instid0(VALU_DEP_1)
	v_dual_cndmask_b32 v43, v43, v17, s0 :: v_dual_cndmask_b32 v42, v42, v16, s0
	s_wait_dscnt 0x0
	global_store_b128 v[42:43], v[38:41], off
.LBB190_23:                             ;   in Loop: Header=BB190_10 Depth=1
	s_wait_xcnt 0x0
	s_or_b32 exec_lo, exec_lo, s22
	s_and_saveexec_b32 s22, s20
	s_cbranch_execz .LBB190_8
; %bb.24:                               ;   in Loop: Header=BB190_10 Depth=1
	s_and_not1_b32 vcc_lo, exec_lo, s4
	s_mov_b32 s23, -1
	s_cbranch_vccnz .LBB190_26
; %bb.25:                               ;   in Loop: Header=BB190_10 Depth=1
	ds_load_2addr_b64 v[38:41], v34 offset1:1
	v_lshl_add_u64 v[18:19], v[14:15], 4, v[18:19]
	s_mov_b32 s23, 0
	s_wait_dscnt 0x0
	global_store_b128 v[18:19], v[38:41], off
.LBB190_26:                             ;   in Loop: Header=BB190_10 Depth=1
	s_and_not1_b32 vcc_lo, exec_lo, s23
	s_cbranch_vccnz .LBB190_8
; %bb.27:                               ;   in Loop: Header=BB190_10 Depth=1
	s_wait_xcnt 0x0
	ds_load_2addr_b64 v[38:41], v34 offset1:1
	s_wait_dscnt 0x0
	global_store_b128 v[16:17], v[38:41], off offset:128
	s_branch .LBB190_8
.LBB190_28:
	s_endpgm
	.section	.rodata,"a",@progbits
	.p2align	6, 0x0
	.amdhsa_kernel _ZN9rocsparseL44csr2gebsr_wavefront_per_row_multipass_kernelILi256ELi4ELi16ELi32E21rocsparse_complex_numIdEEEv20rocsparse_direction_iiiiii21rocsparse_index_base_PKT3_PKiS9_S4_PS5_PiSB_
		.amdhsa_group_segment_fixed_size 8200
		.amdhsa_private_segment_fixed_size 0
		.amdhsa_kernarg_size 88
		.amdhsa_user_sgpr_count 2
		.amdhsa_user_sgpr_dispatch_ptr 0
		.amdhsa_user_sgpr_queue_ptr 0
		.amdhsa_user_sgpr_kernarg_segment_ptr 1
		.amdhsa_user_sgpr_dispatch_id 0
		.amdhsa_user_sgpr_kernarg_preload_length 0
		.amdhsa_user_sgpr_kernarg_preload_offset 0
		.amdhsa_user_sgpr_private_segment_size 0
		.amdhsa_wavefront_size32 1
		.amdhsa_uses_dynamic_stack 0
		.amdhsa_enable_private_segment 0
		.amdhsa_system_sgpr_workgroup_id_x 1
		.amdhsa_system_sgpr_workgroup_id_y 0
		.amdhsa_system_sgpr_workgroup_id_z 0
		.amdhsa_system_sgpr_workgroup_info 0
		.amdhsa_system_vgpr_workitem_id 0
		.amdhsa_next_free_vgpr 44
		.amdhsa_next_free_sgpr 25
		.amdhsa_named_barrier_count 0
		.amdhsa_reserve_vcc 1
		.amdhsa_float_round_mode_32 0
		.amdhsa_float_round_mode_16_64 0
		.amdhsa_float_denorm_mode_32 3
		.amdhsa_float_denorm_mode_16_64 3
		.amdhsa_fp16_overflow 0
		.amdhsa_memory_ordered 1
		.amdhsa_forward_progress 1
		.amdhsa_inst_pref_size 13
		.amdhsa_round_robin_scheduling 0
		.amdhsa_exception_fp_ieee_invalid_op 0
		.amdhsa_exception_fp_denorm_src 0
		.amdhsa_exception_fp_ieee_div_zero 0
		.amdhsa_exception_fp_ieee_overflow 0
		.amdhsa_exception_fp_ieee_underflow 0
		.amdhsa_exception_fp_ieee_inexact 0
		.amdhsa_exception_int_div_zero 0
	.end_amdhsa_kernel
	.section	.text._ZN9rocsparseL44csr2gebsr_wavefront_per_row_multipass_kernelILi256ELi4ELi16ELi32E21rocsparse_complex_numIdEEEv20rocsparse_direction_iiiiii21rocsparse_index_base_PKT3_PKiS9_S4_PS5_PiSB_,"axG",@progbits,_ZN9rocsparseL44csr2gebsr_wavefront_per_row_multipass_kernelILi256ELi4ELi16ELi32E21rocsparse_complex_numIdEEEv20rocsparse_direction_iiiiii21rocsparse_index_base_PKT3_PKiS9_S4_PS5_PiSB_,comdat
.Lfunc_end190:
	.size	_ZN9rocsparseL44csr2gebsr_wavefront_per_row_multipass_kernelILi256ELi4ELi16ELi32E21rocsparse_complex_numIdEEEv20rocsparse_direction_iiiiii21rocsparse_index_base_PKT3_PKiS9_S4_PS5_PiSB_, .Lfunc_end190-_ZN9rocsparseL44csr2gebsr_wavefront_per_row_multipass_kernelILi256ELi4ELi16ELi32E21rocsparse_complex_numIdEEEv20rocsparse_direction_iiiiii21rocsparse_index_base_PKT3_PKiS9_S4_PS5_PiSB_
                                        ; -- End function
	.set _ZN9rocsparseL44csr2gebsr_wavefront_per_row_multipass_kernelILi256ELi4ELi16ELi32E21rocsparse_complex_numIdEEEv20rocsparse_direction_iiiiii21rocsparse_index_base_PKT3_PKiS9_S4_PS5_PiSB_.num_vgpr, 44
	.set _ZN9rocsparseL44csr2gebsr_wavefront_per_row_multipass_kernelILi256ELi4ELi16ELi32E21rocsparse_complex_numIdEEEv20rocsparse_direction_iiiiii21rocsparse_index_base_PKT3_PKiS9_S4_PS5_PiSB_.num_agpr, 0
	.set _ZN9rocsparseL44csr2gebsr_wavefront_per_row_multipass_kernelILi256ELi4ELi16ELi32E21rocsparse_complex_numIdEEEv20rocsparse_direction_iiiiii21rocsparse_index_base_PKT3_PKiS9_S4_PS5_PiSB_.numbered_sgpr, 25
	.set _ZN9rocsparseL44csr2gebsr_wavefront_per_row_multipass_kernelILi256ELi4ELi16ELi32E21rocsparse_complex_numIdEEEv20rocsparse_direction_iiiiii21rocsparse_index_base_PKT3_PKiS9_S4_PS5_PiSB_.num_named_barrier, 0
	.set _ZN9rocsparseL44csr2gebsr_wavefront_per_row_multipass_kernelILi256ELi4ELi16ELi32E21rocsparse_complex_numIdEEEv20rocsparse_direction_iiiiii21rocsparse_index_base_PKT3_PKiS9_S4_PS5_PiSB_.private_seg_size, 0
	.set _ZN9rocsparseL44csr2gebsr_wavefront_per_row_multipass_kernelILi256ELi4ELi16ELi32E21rocsparse_complex_numIdEEEv20rocsparse_direction_iiiiii21rocsparse_index_base_PKT3_PKiS9_S4_PS5_PiSB_.uses_vcc, 1
	.set _ZN9rocsparseL44csr2gebsr_wavefront_per_row_multipass_kernelILi256ELi4ELi16ELi32E21rocsparse_complex_numIdEEEv20rocsparse_direction_iiiiii21rocsparse_index_base_PKT3_PKiS9_S4_PS5_PiSB_.uses_flat_scratch, 0
	.set _ZN9rocsparseL44csr2gebsr_wavefront_per_row_multipass_kernelILi256ELi4ELi16ELi32E21rocsparse_complex_numIdEEEv20rocsparse_direction_iiiiii21rocsparse_index_base_PKT3_PKiS9_S4_PS5_PiSB_.has_dyn_sized_stack, 0
	.set _ZN9rocsparseL44csr2gebsr_wavefront_per_row_multipass_kernelILi256ELi4ELi16ELi32E21rocsparse_complex_numIdEEEv20rocsparse_direction_iiiiii21rocsparse_index_base_PKT3_PKiS9_S4_PS5_PiSB_.has_recursion, 0
	.set _ZN9rocsparseL44csr2gebsr_wavefront_per_row_multipass_kernelILi256ELi4ELi16ELi32E21rocsparse_complex_numIdEEEv20rocsparse_direction_iiiiii21rocsparse_index_base_PKT3_PKiS9_S4_PS5_PiSB_.has_indirect_call, 0
	.section	.AMDGPU.csdata,"",@progbits
; Kernel info:
; codeLenInByte = 1660
; TotalNumSgprs: 27
; NumVgprs: 44
; ScratchSize: 0
; MemoryBound: 0
; FloatMode: 240
; IeeeMode: 1
; LDSByteSize: 8200 bytes/workgroup (compile time only)
; SGPRBlocks: 0
; VGPRBlocks: 2
; NumSGPRsForWavesPerEU: 27
; NumVGPRsForWavesPerEU: 44
; NamedBarCnt: 0
; Occupancy: 16
; WaveLimiterHint : 0
; COMPUTE_PGM_RSRC2:SCRATCH_EN: 0
; COMPUTE_PGM_RSRC2:USER_SGPR: 2
; COMPUTE_PGM_RSRC2:TRAP_HANDLER: 0
; COMPUTE_PGM_RSRC2:TGID_X_EN: 1
; COMPUTE_PGM_RSRC2:TGID_Y_EN: 0
; COMPUTE_PGM_RSRC2:TGID_Z_EN: 0
; COMPUTE_PGM_RSRC2:TIDIG_COMP_CNT: 0
	.section	.text._ZN9rocsparseL44csr2gebsr_wavefront_per_row_multipass_kernelILi256ELi4ELi32ELi64E21rocsparse_complex_numIdEEEv20rocsparse_direction_iiiiii21rocsparse_index_base_PKT3_PKiS9_S4_PS5_PiSB_,"axG",@progbits,_ZN9rocsparseL44csr2gebsr_wavefront_per_row_multipass_kernelILi256ELi4ELi32ELi64E21rocsparse_complex_numIdEEEv20rocsparse_direction_iiiiii21rocsparse_index_base_PKT3_PKiS9_S4_PS5_PiSB_,comdat
	.globl	_ZN9rocsparseL44csr2gebsr_wavefront_per_row_multipass_kernelILi256ELi4ELi32ELi64E21rocsparse_complex_numIdEEEv20rocsparse_direction_iiiiii21rocsparse_index_base_PKT3_PKiS9_S4_PS5_PiSB_ ; -- Begin function _ZN9rocsparseL44csr2gebsr_wavefront_per_row_multipass_kernelILi256ELi4ELi32ELi64E21rocsparse_complex_numIdEEEv20rocsparse_direction_iiiiii21rocsparse_index_base_PKT3_PKiS9_S4_PS5_PiSB_
	.p2align	8
	.type	_ZN9rocsparseL44csr2gebsr_wavefront_per_row_multipass_kernelILi256ELi4ELi32ELi64E21rocsparse_complex_numIdEEEv20rocsparse_direction_iiiiii21rocsparse_index_base_PKT3_PKiS9_S4_PS5_PiSB_,@function
_ZN9rocsparseL44csr2gebsr_wavefront_per_row_multipass_kernelILi256ELi4ELi32ELi64E21rocsparse_complex_numIdEEEv20rocsparse_direction_iiiiii21rocsparse_index_base_PKT3_PKiS9_S4_PS5_PiSB_: ; @_ZN9rocsparseL44csr2gebsr_wavefront_per_row_multipass_kernelILi256ELi4ELi32ELi64E21rocsparse_complex_numIdEEEv20rocsparse_direction_iiiiii21rocsparse_index_base_PKT3_PKiS9_S4_PS5_PiSB_
; %bb.0:
	s_clause 0x1
	s_load_b128 s[4:7], s[0:1], 0xc
	s_load_b64 s[14:15], s[0:1], 0x0
	s_bfe_u32 s2, ttmp6, 0x4000c
	s_and_b32 s3, ttmp6, 15
	s_add_co_i32 s2, s2, 1
	s_getreg_b32 s8, hwreg(HW_REG_IB_STS2, 6, 4)
	s_mul_i32 s2, ttmp9, s2
	v_dual_lshrrev_b32 v22, 6, v0 :: v_dual_mov_b32 v4, 0
	s_add_co_i32 s3, s3, s2
	s_cmp_eq_u32 s8, 0
	v_bfe_u32 v1, v0, 4, 2
	s_cselect_b32 s2, ttmp9, s3
	s_clause 0x1
	s_load_b32 s18, s[0:1], 0x1c
	s_load_b64 s[8:9], s[0:1], 0x28
	v_lshl_or_b32 v2, s2, 2, v22
	v_mov_b32_e32 v20, 0
	s_wait_kmcnt 0x0
	s_delay_alu instid0(VALU_DEP_2) | instskip(SKIP_1) | instid1(VALU_DEP_2)
	v_mad_u32 v3, v2, s6, v1
	v_cmp_gt_i32_e32 vcc_lo, s6, v1
	v_cmp_gt_i32_e64 s2, s15, v3
	s_and_b32 s2, vcc_lo, s2
	s_delay_alu instid0(SALU_CYCLE_1)
	s_and_saveexec_b32 s3, s2
	s_cbranch_execz .LBB191_2
; %bb.1:
	global_load_b32 v5, v3, s[8:9] scale_offset
	s_wait_loadcnt 0x0
	v_subrev_nc_u32_e32 v20, s18, v5
.LBB191_2:
	s_or_b32 exec_lo, exec_lo, s3
	v_mov_b32_e32 v23, 0
	s_and_saveexec_b32 s3, s2
	s_cbranch_execz .LBB191_4
; %bb.3:
	global_load_b32 v3, v3, s[8:9] offset:4 scale_offset
	s_wait_loadcnt 0x0
	v_subrev_nc_u32_e32 v23, s18, v3
.LBB191_4:
	s_or_b32 exec_lo, exec_lo, s3
	s_load_b32 s19, s[0:1], 0x38
	s_mov_b32 s3, exec_lo
	v_cmpx_gt_i32_e64 s4, v2
	s_cbranch_execz .LBB191_6
; %bb.5:
	s_load_b64 s[8:9], s[0:1], 0x48
	s_wait_kmcnt 0x0
	global_load_b32 v2, v2, s[8:9] scale_offset
	s_wait_loadcnt 0x0
	v_subrev_nc_u32_e32 v4, s19, v2
.LBB191_6:
	s_or_b32 exec_lo, exec_lo, s3
	s_cmp_lt_i32 s5, 1
	s_cbranch_scc1 .LBB191_28
; %bb.7:
	v_dual_lshlrev_b32 v2, 9, v1 :: v_dual_bitop2_b32 v24, 15, v0 bitop3:0x40
	v_mbcnt_lo_u32_b32 v5, -1, 0
	s_clause 0x3
	s_load_b64 s[8:9], s[0:1], 0x50
	s_load_b64 s[20:21], s[0:1], 0x40
	;; [unrolled: 1-line block ×4, first 2 shown]
	s_cmp_eq_u32 s14, 0
	v_lshl_or_b32 v25, v22, 11, v2
	s_mov_b32 s3, 0
	v_xor_b32_e32 v2, 4, v5
	v_xor_b32_e32 v0, 8, v5
	s_mov_b32 s2, s6
	v_xor_b32_e32 v10, 16, v5
	v_or_b32_e32 v8, 32, v5
	v_lshl_or_b32 v30, v5, 2, 60
	s_wait_xcnt 0x0
	v_cmp_gt_i32_e64 s0, 32, v0
	v_bfrev_b32_e32 v34, 0.5
	v_mov_b32_e32 v39, 0
	v_cmp_gt_i32_e64 s1, 32, v8
	s_delay_alu instid0(VALU_DEP_4) | instskip(SKIP_2) | instid1(VALU_DEP_4)
	v_dual_mov_b32 v7, 0 :: v_dual_cndmask_b32 v0, v5, v0, s0
	v_xor_b32_e32 v3, 2, v5
	v_cmp_gt_i32_e64 s0, 32, v2
	v_cndmask_b32_e64 v12, v5, v8, s1
	v_cmp_gt_i32_e64 s1, 32, v10
	v_dual_mov_b32 v15, v7 :: v_dual_lshlrev_b32 v26, 2, v0
	s_delay_alu instid0(VALU_DEP_4) | instskip(SKIP_2) | instid1(VALU_DEP_2)
	v_dual_cndmask_b32 v2, v5, v2, s0 :: v_dual_bitop2_b32 v36, -16, v24 bitop3:0x54
	v_cmp_gt_i32_e64 s0, 32, v3
	v_dual_mov_b32 v37, 1 :: v_dual_bitop2_b32 v6, 1, v5 bitop3:0x14
	v_cndmask_b32_e64 v3, v5, v3, s0
	s_delay_alu instid0(VALU_DEP_2) | instskip(NEXT) | instid1(VALU_DEP_1)
	v_cmp_gt_i32_e64 s0, 32, v6
	v_dual_lshlrev_b32 v28, 2, v3 :: v_dual_cndmask_b32 v0, v5, v6, s0
	s_cselect_b32 s0, -1, 0
	s_cmp_lg_u32 s14, 0
	s_mov_b32 s14, s7
	s_cselect_b32 s4, -1, 0
	s_ashr_i32 s15, s7, 31
	v_dual_lshlrev_b32 v27, 2, v2 :: v_dual_lshlrev_b32 v29, 2, v0
	v_mul_lo_u32 v2, s7, v1
	s_mul_u64 s[16:17], s[14:15], s[2:3]
	s_abs_i32 s14, s7
	v_lshlrev_b32_e32 v0, 4, v24
	s_cvt_f32_u32 s2, s14
	v_dual_mov_b32 v1, v7 :: v_dual_lshlrev_b32 v6, 4, v1
	v_cndmask_b32_e64 v5, v5, v10, s1
	s_delay_alu instid0(SALU_CYCLE_1)
	v_rcp_iflag_f32_e32 v13, s2
	v_lshlrev_b32_e32 v32, 2, v12
	v_mul_lo_u32 v12, v24, s6
	v_dual_ashrrev_i32 v3, 31, v2 :: v_dual_bitop2_b32 v31, v25, v0 bitop3:0x54
	s_wait_kmcnt 0x0
	v_add_nc_u64_e32 v[8:9], s[20:21], v[6:7]
	v_cmp_gt_u32_e64 s1, s7, v24
	v_readfirstlane_b32 s2, v13
	v_lshl_add_u64 v[2:3], v[2:3], 4, s[20:21]
	v_dual_mov_b32 v13, v7 :: v_dual_lshlrev_b32 v33, 2, v5
	v_or_b32_e32 v35, 0x100, v31
	s_mul_f32 s20, s2, 0x4f7ffffe
	s_delay_alu instid0(VALU_DEP_3)
	v_add_nc_u64_e32 v[10:11], v[2:3], v[0:1]
	v_or_b32_e32 v0, 16, v24
	v_lshl_add_u32 v14, s6, 4, v12
	s_cvt_u32_f32 s21, s20
	s_sub_co_i32 s6, 0, s14
	v_mov_b32_e32 v2, v7
	v_cmp_gt_u32_e64 s2, s7, v0
	s_mul_i32 s20, s6, s21
	v_dual_mov_b32 v0, v7 :: v_dual_mov_b32 v3, v7
	s_and_b32 s6, s1, vcc_lo
	s_mul_hi_u32 s1, s21, s20
	s_and_b32 s20, vcc_lo, s2
	s_add_co_i32 s2, s21, s1
	s_mov_b32 s21, s3
	s_branch .LBB191_10
.LBB191_8:                              ;   in Loop: Header=BB191_10 Depth=1
	s_wait_xcnt 0x0
	s_or_b32 exec_lo, exec_lo, s22
	v_mov_b32_e32 v5, 1
.LBB191_9:                              ;   in Loop: Header=BB191_10 Depth=1
	s_or_b32 exec_lo, exec_lo, s1
	ds_bpermute_b32 v6, v32, v38
	s_wait_storecnt_dscnt 0x0
	v_dual_add_nc_u32 v4, v5, v4 :: v_dual_min_i32 v6, v6, v38
	ds_bpermute_b32 v16, v33, v6
	s_wait_dscnt 0x0
	v_min_i32_e32 v6, v16, v6
	ds_bpermute_b32 v16, v26, v6
	s_wait_dscnt 0x0
	v_min_i32_e32 v6, v16, v6
	ds_bpermute_b32 v16, v27, v6
	s_wait_dscnt 0x0
	v_min_i32_e32 v6, v16, v6
	ds_bpermute_b32 v16, v28, v6
	s_wait_dscnt 0x0
	v_min_i32_e32 v6, v16, v6
	ds_bpermute_b32 v16, v29, v6
	s_wait_dscnt 0x0
	v_min_i32_e32 v6, v16, v6
	ds_bpermute_b32 v39, v34, v6
	s_wait_dscnt 0x0
	v_cmp_le_i32_e32 vcc_lo, s5, v39
	s_or_b32 s21, vcc_lo, s21
	s_delay_alu instid0(SALU_CYCLE_1)
	s_and_not1_b32 exec_lo, exec_lo, s21
	s_cbranch_execz .LBB191_28
.LBB191_10:                             ; =>This Loop Header: Depth=1
                                        ;     Child Loop BB191_11 Depth 2
                                        ;     Child Loop BB191_15 Depth 2
	v_dual_mov_b32 v5, v31 :: v_dual_mov_b32 v6, v36
	s_mov_b32 s1, 0
	ds_store_b8 v22, v7 offset:8192
.LBB191_11:                             ;   Parent Loop BB191_10 Depth=1
                                        ; =>  This Inner Loop Header: Depth=2
	v_add_co_u32 v6, s22, v6, 16
	s_xor_b32 s22, s22, -1
	ds_store_b128 v5, v[0:3]
	v_add_nc_u32_e32 v5, 0x100, v5
	s_and_b32 s22, exec_lo, s22
	s_delay_alu instid0(SALU_CYCLE_1) | instskip(NEXT) | instid1(SALU_CYCLE_1)
	s_or_b32 s1, s22, s1
	s_and_not1_b32 exec_lo, exec_lo, s1
	s_cbranch_execnz .LBB191_11
; %bb.12:                               ;   in Loop: Header=BB191_10 Depth=1
	s_or_b32 exec_lo, exec_lo, s1
	v_dual_add_nc_u32 v16, v20, v24 :: v_dual_mov_b32 v38, s5
	v_mov_b32_e32 v17, v23
	s_mov_b32 s22, exec_lo
	s_wait_dscnt 0x0
	s_delay_alu instid0(VALU_DEP_2)
	v_cmpx_lt_i32_e64 v16, v23
	s_cbranch_execz .LBB191_20
; %bb.13:                               ;   in Loop: Header=BB191_10 Depth=1
	v_mul_lo_u32 v5, v39, s7
	v_dual_mov_b32 v38, s5 :: v_dual_ashrrev_i32 v17, 31, v16
	s_mov_b32 s23, 0
	s_delay_alu instid0(VALU_DEP_1)
	v_lshl_add_u64 v[18:19], v[16:17], 2, s[12:13]
	v_lshl_add_u64 v[20:21], v[16:17], 4, s[10:11]
	v_mov_b32_e32 v17, v23
	s_branch .LBB191_15
.LBB191_14:                             ;   in Loop: Header=BB191_15 Depth=2
	s_wait_xcnt 0x0
	s_or_b32 exec_lo, exec_lo, s1
	v_add_nc_u32_e32 v16, 16, v16
	s_xor_b32 s24, vcc_lo, -1
	v_add_nc_u64_e32 v[18:19], 64, v[18:19]
	v_add_nc_u64_e32 v[20:21], 0x100, v[20:21]
	s_delay_alu instid0(VALU_DEP_3) | instskip(SKIP_1) | instid1(SALU_CYCLE_1)
	v_cmp_ge_i32_e64 s1, v16, v23
	s_or_b32 s1, s24, s1
	s_and_b32 s1, exec_lo, s1
	s_delay_alu instid0(SALU_CYCLE_1) | instskip(NEXT) | instid1(SALU_CYCLE_1)
	s_or_b32 s23, s1, s23
	s_and_not1_b32 exec_lo, exec_lo, s23
	s_cbranch_execz .LBB191_19
.LBB191_15:                             ;   Parent Loop BB191_10 Depth=1
                                        ; =>  This Inner Loop Header: Depth=2
	global_load_b32 v6, v[18:19], off
	s_wait_loadcnt 0x0
	v_subrev_nc_u32_e32 v40, s18, v6
	s_delay_alu instid0(VALU_DEP_1) | instskip(NEXT) | instid1(VALU_DEP_1)
	v_sub_nc_u32_e32 v6, 0, v40
	v_max_i32_e32 v6, v40, v6
	s_delay_alu instid0(VALU_DEP_1) | instskip(NEXT) | instid1(VALU_DEP_1)
	v_mul_u64_e32 v[42:43], s[2:3], v[6:7]
	v_mul_lo_u32 v41, v43, s14
	s_delay_alu instid0(VALU_DEP_1) | instskip(NEXT) | instid1(VALU_DEP_1)
	v_dual_sub_nc_u32 v6, v6, v41 :: v_dual_add_nc_u32 v41, 1, v43
	v_cmp_le_u32_e32 vcc_lo, s14, v6
	s_delay_alu instid0(VALU_DEP_2) | instskip(SKIP_1) | instid1(VALU_DEP_1)
	v_dual_cndmask_b32 v41, v43, v41, vcc_lo :: v_dual_ashrrev_i32 v43, 31, v40
	v_subrev_nc_u32_e32 v42, s14, v6
	v_dual_cndmask_b32 v6, v6, v42, vcc_lo :: v_dual_add_nc_u32 v42, 1, v41
	s_delay_alu instid0(VALU_DEP_1) | instskip(NEXT) | instid1(VALU_DEP_2)
	v_cmp_le_u32_e32 vcc_lo, s14, v6
	v_dual_cndmask_b32 v6, v41, v42, vcc_lo :: v_dual_bitop2_b32 v43, s15, v43 bitop3:0x14
	s_delay_alu instid0(VALU_DEP_1) | instskip(NEXT) | instid1(VALU_DEP_1)
	v_xor_b32_e32 v6, v6, v43
	v_dual_mov_b32 v6, v17 :: v_dual_sub_nc_u32 v41, v6, v43
	s_delay_alu instid0(VALU_DEP_1) | instskip(SKIP_3) | instid1(SALU_CYCLE_1)
	v_cmp_ne_u32_e64 s1, v41, v39
	v_cmp_eq_u32_e32 vcc_lo, v41, v39
	s_wait_xcnt 0x0
	s_and_saveexec_b32 s24, s1
	s_xor_b32 s1, exec_lo, s24
; %bb.16:                               ;   in Loop: Header=BB191_15 Depth=2
	v_min_i32_e32 v38, v41, v38
                                        ; implicit-def: $vgpr40
                                        ; implicit-def: $vgpr6
; %bb.17:                               ;   in Loop: Header=BB191_15 Depth=2
	s_or_saveexec_b32 s1, s1
	v_mov_b32_e32 v17, v16
	s_xor_b32 exec_lo, exec_lo, s1
	s_cbranch_execz .LBB191_14
; %bb.18:                               ;   in Loop: Header=BB191_15 Depth=2
	global_load_b128 v[42:45], v[20:21], off
	v_sub_nc_u32_e32 v17, v40, v5
	s_delay_alu instid0(VALU_DEP_1)
	v_lshl_add_u32 v40, v17, 4, v25
	v_mov_b32_e32 v17, v6
	ds_store_b8 v22, v37 offset:8192
	s_wait_loadcnt 0x0
	ds_store_2addr_b64 v40, v[42:43], v[44:45] offset1:1
	s_branch .LBB191_14
.LBB191_19:                             ;   in Loop: Header=BB191_10 Depth=1
	s_or_b32 exec_lo, exec_lo, s23
.LBB191_20:                             ;   in Loop: Header=BB191_10 Depth=1
	s_delay_alu instid0(SALU_CYCLE_1)
	s_or_b32 exec_lo, exec_lo, s22
	ds_bpermute_b32 v5, v26, v17
	s_wait_dscnt 0x0
	ds_load_u8 v16, v22 offset:8192
	v_min_i32_e32 v5, v5, v17
	ds_bpermute_b32 v6, v27, v5
	s_wait_dscnt 0x0
	v_min_i32_e32 v5, v6, v5
	ds_bpermute_b32 v6, v28, v5
	s_wait_dscnt 0x0
	;; [unrolled: 3-line block ×3, first 2 shown]
	v_min_i32_e32 v5, v6, v5
	ds_bpermute_b32 v20, v30, v5
	v_and_b32_e32 v5, 1, v16
	s_delay_alu instid0(VALU_DEP_1)
	v_cmp_eq_u32_e32 vcc_lo, 1, v5
	v_mov_b32_e32 v5, 0
	s_and_saveexec_b32 s1, vcc_lo
	s_cbranch_execz .LBB191_9
; %bb.21:                               ;   in Loop: Header=BB191_10 Depth=1
	v_ashrrev_i32_e32 v5, 31, v4
	s_delay_alu instid0(VALU_DEP_1) | instskip(SKIP_3) | instid1(VALU_DEP_1)
	v_mul_u64_e32 v[16:17], s[16:17], v[4:5]
	v_add_nc_u32_e32 v5, s19, v39
	global_store_b32 v4, v5, s[8:9] scale_offset
	v_lshlrev_b64_e32 v[16:17], 4, v[16:17]
	v_add_nc_u64_e32 v[18:19], v[8:9], v[16:17]
	v_add_nc_u64_e32 v[16:17], v[10:11], v[16:17]
	s_wait_xcnt 0x0
	s_and_saveexec_b32 s22, s6
	s_cbranch_execz .LBB191_23
; %bb.22:                               ;   in Loop: Header=BB191_10 Depth=1
	ds_load_2addr_b64 v[40:43], v31 offset1:1
	v_lshl_add_u64 v[44:45], v[12:13], 4, v[18:19]
	s_delay_alu instid0(VALU_DEP_1)
	v_dual_cndmask_b32 v45, v45, v17, s0 :: v_dual_cndmask_b32 v44, v44, v16, s0
	s_wait_dscnt 0x0
	global_store_b128 v[44:45], v[40:43], off
.LBB191_23:                             ;   in Loop: Header=BB191_10 Depth=1
	s_wait_xcnt 0x0
	s_or_b32 exec_lo, exec_lo, s22
	s_and_saveexec_b32 s22, s20
	s_cbranch_execz .LBB191_8
; %bb.24:                               ;   in Loop: Header=BB191_10 Depth=1
	s_and_not1_b32 vcc_lo, exec_lo, s4
	s_mov_b32 s23, -1
	s_cbranch_vccnz .LBB191_26
; %bb.25:                               ;   in Loop: Header=BB191_10 Depth=1
	ds_load_2addr_b64 v[40:43], v35 offset1:1
	v_lshl_add_u64 v[18:19], v[14:15], 4, v[18:19]
	s_mov_b32 s23, 0
	s_wait_dscnt 0x0
	global_store_b128 v[18:19], v[40:43], off
.LBB191_26:                             ;   in Loop: Header=BB191_10 Depth=1
	s_and_not1_b32 vcc_lo, exec_lo, s23
	s_cbranch_vccnz .LBB191_8
; %bb.27:                               ;   in Loop: Header=BB191_10 Depth=1
	s_wait_xcnt 0x0
	ds_load_2addr_b64 v[40:43], v35 offset1:1
	s_wait_dscnt 0x0
	global_store_b128 v[16:17], v[40:43], off offset:256
	s_branch .LBB191_8
.LBB191_28:
	s_endpgm
	.section	.rodata,"a",@progbits
	.p2align	6, 0x0
	.amdhsa_kernel _ZN9rocsparseL44csr2gebsr_wavefront_per_row_multipass_kernelILi256ELi4ELi32ELi64E21rocsparse_complex_numIdEEEv20rocsparse_direction_iiiiii21rocsparse_index_base_PKT3_PKiS9_S4_PS5_PiSB_
		.amdhsa_group_segment_fixed_size 8200
		.amdhsa_private_segment_fixed_size 0
		.amdhsa_kernarg_size 88
		.amdhsa_user_sgpr_count 2
		.amdhsa_user_sgpr_dispatch_ptr 0
		.amdhsa_user_sgpr_queue_ptr 0
		.amdhsa_user_sgpr_kernarg_segment_ptr 1
		.amdhsa_user_sgpr_dispatch_id 0
		.amdhsa_user_sgpr_kernarg_preload_length 0
		.amdhsa_user_sgpr_kernarg_preload_offset 0
		.amdhsa_user_sgpr_private_segment_size 0
		.amdhsa_wavefront_size32 1
		.amdhsa_uses_dynamic_stack 0
		.amdhsa_enable_private_segment 0
		.amdhsa_system_sgpr_workgroup_id_x 1
		.amdhsa_system_sgpr_workgroup_id_y 0
		.amdhsa_system_sgpr_workgroup_id_z 0
		.amdhsa_system_sgpr_workgroup_info 0
		.amdhsa_system_vgpr_workitem_id 0
		.amdhsa_next_free_vgpr 46
		.amdhsa_next_free_sgpr 25
		.amdhsa_named_barrier_count 0
		.amdhsa_reserve_vcc 1
		.amdhsa_float_round_mode_32 0
		.amdhsa_float_round_mode_16_64 0
		.amdhsa_float_denorm_mode_32 3
		.amdhsa_float_denorm_mode_16_64 3
		.amdhsa_fp16_overflow 0
		.amdhsa_memory_ordered 1
		.amdhsa_forward_progress 1
		.amdhsa_inst_pref_size 14
		.amdhsa_round_robin_scheduling 0
		.amdhsa_exception_fp_ieee_invalid_op 0
		.amdhsa_exception_fp_denorm_src 0
		.amdhsa_exception_fp_ieee_div_zero 0
		.amdhsa_exception_fp_ieee_overflow 0
		.amdhsa_exception_fp_ieee_underflow 0
		.amdhsa_exception_fp_ieee_inexact 0
		.amdhsa_exception_int_div_zero 0
	.end_amdhsa_kernel
	.section	.text._ZN9rocsparseL44csr2gebsr_wavefront_per_row_multipass_kernelILi256ELi4ELi32ELi64E21rocsparse_complex_numIdEEEv20rocsparse_direction_iiiiii21rocsparse_index_base_PKT3_PKiS9_S4_PS5_PiSB_,"axG",@progbits,_ZN9rocsparseL44csr2gebsr_wavefront_per_row_multipass_kernelILi256ELi4ELi32ELi64E21rocsparse_complex_numIdEEEv20rocsparse_direction_iiiiii21rocsparse_index_base_PKT3_PKiS9_S4_PS5_PiSB_,comdat
.Lfunc_end191:
	.size	_ZN9rocsparseL44csr2gebsr_wavefront_per_row_multipass_kernelILi256ELi4ELi32ELi64E21rocsparse_complex_numIdEEEv20rocsparse_direction_iiiiii21rocsparse_index_base_PKT3_PKiS9_S4_PS5_PiSB_, .Lfunc_end191-_ZN9rocsparseL44csr2gebsr_wavefront_per_row_multipass_kernelILi256ELi4ELi32ELi64E21rocsparse_complex_numIdEEEv20rocsparse_direction_iiiiii21rocsparse_index_base_PKT3_PKiS9_S4_PS5_PiSB_
                                        ; -- End function
	.set _ZN9rocsparseL44csr2gebsr_wavefront_per_row_multipass_kernelILi256ELi4ELi32ELi64E21rocsparse_complex_numIdEEEv20rocsparse_direction_iiiiii21rocsparse_index_base_PKT3_PKiS9_S4_PS5_PiSB_.num_vgpr, 46
	.set _ZN9rocsparseL44csr2gebsr_wavefront_per_row_multipass_kernelILi256ELi4ELi32ELi64E21rocsparse_complex_numIdEEEv20rocsparse_direction_iiiiii21rocsparse_index_base_PKT3_PKiS9_S4_PS5_PiSB_.num_agpr, 0
	.set _ZN9rocsparseL44csr2gebsr_wavefront_per_row_multipass_kernelILi256ELi4ELi32ELi64E21rocsparse_complex_numIdEEEv20rocsparse_direction_iiiiii21rocsparse_index_base_PKT3_PKiS9_S4_PS5_PiSB_.numbered_sgpr, 25
	.set _ZN9rocsparseL44csr2gebsr_wavefront_per_row_multipass_kernelILi256ELi4ELi32ELi64E21rocsparse_complex_numIdEEEv20rocsparse_direction_iiiiii21rocsparse_index_base_PKT3_PKiS9_S4_PS5_PiSB_.num_named_barrier, 0
	.set _ZN9rocsparseL44csr2gebsr_wavefront_per_row_multipass_kernelILi256ELi4ELi32ELi64E21rocsparse_complex_numIdEEEv20rocsparse_direction_iiiiii21rocsparse_index_base_PKT3_PKiS9_S4_PS5_PiSB_.private_seg_size, 0
	.set _ZN9rocsparseL44csr2gebsr_wavefront_per_row_multipass_kernelILi256ELi4ELi32ELi64E21rocsparse_complex_numIdEEEv20rocsparse_direction_iiiiii21rocsparse_index_base_PKT3_PKiS9_S4_PS5_PiSB_.uses_vcc, 1
	.set _ZN9rocsparseL44csr2gebsr_wavefront_per_row_multipass_kernelILi256ELi4ELi32ELi64E21rocsparse_complex_numIdEEEv20rocsparse_direction_iiiiii21rocsparse_index_base_PKT3_PKiS9_S4_PS5_PiSB_.uses_flat_scratch, 0
	.set _ZN9rocsparseL44csr2gebsr_wavefront_per_row_multipass_kernelILi256ELi4ELi32ELi64E21rocsparse_complex_numIdEEEv20rocsparse_direction_iiiiii21rocsparse_index_base_PKT3_PKiS9_S4_PS5_PiSB_.has_dyn_sized_stack, 0
	.set _ZN9rocsparseL44csr2gebsr_wavefront_per_row_multipass_kernelILi256ELi4ELi32ELi64E21rocsparse_complex_numIdEEEv20rocsparse_direction_iiiiii21rocsparse_index_base_PKT3_PKiS9_S4_PS5_PiSB_.has_recursion, 0
	.set _ZN9rocsparseL44csr2gebsr_wavefront_per_row_multipass_kernelILi256ELi4ELi32ELi64E21rocsparse_complex_numIdEEEv20rocsparse_direction_iiiiii21rocsparse_index_base_PKT3_PKiS9_S4_PS5_PiSB_.has_indirect_call, 0
	.section	.AMDGPU.csdata,"",@progbits
; Kernel info:
; codeLenInByte = 1704
; TotalNumSgprs: 27
; NumVgprs: 46
; ScratchSize: 0
; MemoryBound: 0
; FloatMode: 240
; IeeeMode: 1
; LDSByteSize: 8200 bytes/workgroup (compile time only)
; SGPRBlocks: 0
; VGPRBlocks: 2
; NumSGPRsForWavesPerEU: 27
; NumVGPRsForWavesPerEU: 46
; NamedBarCnt: 0
; Occupancy: 16
; WaveLimiterHint : 0
; COMPUTE_PGM_RSRC2:SCRATCH_EN: 0
; COMPUTE_PGM_RSRC2:USER_SGPR: 2
; COMPUTE_PGM_RSRC2:TRAP_HANDLER: 0
; COMPUTE_PGM_RSRC2:TGID_X_EN: 1
; COMPUTE_PGM_RSRC2:TGID_Y_EN: 0
; COMPUTE_PGM_RSRC2:TGID_Z_EN: 0
; COMPUTE_PGM_RSRC2:TIDIG_COMP_CNT: 0
	.section	.text._ZN9rocsparseL44csr2gebsr_wavefront_per_row_multipass_kernelILi256ELi4ELi32ELi32E21rocsparse_complex_numIdEEEv20rocsparse_direction_iiiiii21rocsparse_index_base_PKT3_PKiS9_S4_PS5_PiSB_,"axG",@progbits,_ZN9rocsparseL44csr2gebsr_wavefront_per_row_multipass_kernelILi256ELi4ELi32ELi32E21rocsparse_complex_numIdEEEv20rocsparse_direction_iiiiii21rocsparse_index_base_PKT3_PKiS9_S4_PS5_PiSB_,comdat
	.globl	_ZN9rocsparseL44csr2gebsr_wavefront_per_row_multipass_kernelILi256ELi4ELi32ELi32E21rocsparse_complex_numIdEEEv20rocsparse_direction_iiiiii21rocsparse_index_base_PKT3_PKiS9_S4_PS5_PiSB_ ; -- Begin function _ZN9rocsparseL44csr2gebsr_wavefront_per_row_multipass_kernelILi256ELi4ELi32ELi32E21rocsparse_complex_numIdEEEv20rocsparse_direction_iiiiii21rocsparse_index_base_PKT3_PKiS9_S4_PS5_PiSB_
	.p2align	8
	.type	_ZN9rocsparseL44csr2gebsr_wavefront_per_row_multipass_kernelILi256ELi4ELi32ELi32E21rocsparse_complex_numIdEEEv20rocsparse_direction_iiiiii21rocsparse_index_base_PKT3_PKiS9_S4_PS5_PiSB_,@function
_ZN9rocsparseL44csr2gebsr_wavefront_per_row_multipass_kernelILi256ELi4ELi32ELi32E21rocsparse_complex_numIdEEEv20rocsparse_direction_iiiiii21rocsparse_index_base_PKT3_PKiS9_S4_PS5_PiSB_: ; @_ZN9rocsparseL44csr2gebsr_wavefront_per_row_multipass_kernelILi256ELi4ELi32ELi32E21rocsparse_complex_numIdEEEv20rocsparse_direction_iiiiii21rocsparse_index_base_PKT3_PKiS9_S4_PS5_PiSB_
; %bb.0:
	s_clause 0x1
	s_load_b128 s[4:7], s[0:1], 0xc
	s_load_b64 s[14:15], s[0:1], 0x0
	s_bfe_u32 s2, ttmp6, 0x4000c
	s_and_b32 s3, ttmp6, 15
	s_add_co_i32 s2, s2, 1
	s_getreg_b32 s8, hwreg(HW_REG_IB_STS2, 6, 4)
	s_mul_i32 s2, ttmp9, s2
	v_dual_lshrrev_b32 v26, 5, v0 :: v_dual_mov_b32 v4, 0
	s_add_co_i32 s3, s3, s2
	s_cmp_eq_u32 s8, 0
	v_bfe_u32 v1, v0, 3, 2
	s_cselect_b32 s2, ttmp9, s3
	s_clause 0x1
	s_load_b32 s20, s[0:1], 0x1c
	s_load_b64 s[8:9], s[0:1], 0x28
	v_lshl_or_b32 v2, s2, 3, v26
	v_mov_b32_e32 v24, 0
	s_wait_kmcnt 0x0
	s_delay_alu instid0(VALU_DEP_2) | instskip(SKIP_1) | instid1(VALU_DEP_2)
	v_mad_u32 v3, v2, s6, v1
	v_cmp_gt_i32_e32 vcc_lo, s6, v1
	v_cmp_gt_i32_e64 s2, s15, v3
	s_and_b32 s2, vcc_lo, s2
	s_delay_alu instid0(SALU_CYCLE_1)
	s_and_saveexec_b32 s3, s2
	s_cbranch_execz .LBB192_2
; %bb.1:
	global_load_b32 v5, v3, s[8:9] scale_offset
	s_wait_loadcnt 0x0
	v_subrev_nc_u32_e32 v24, s20, v5
.LBB192_2:
	s_or_b32 exec_lo, exec_lo, s3
	v_mov_b32_e32 v27, 0
	s_and_saveexec_b32 s3, s2
	s_cbranch_execz .LBB192_4
; %bb.3:
	global_load_b32 v3, v3, s[8:9] offset:4 scale_offset
	s_wait_loadcnt 0x0
	v_subrev_nc_u32_e32 v27, s20, v3
.LBB192_4:
	s_or_b32 exec_lo, exec_lo, s3
	s_load_b32 s21, s[0:1], 0x38
	s_mov_b32 s3, exec_lo
	v_cmpx_gt_i32_e64 s4, v2
	s_cbranch_execz .LBB192_6
; %bb.5:
	s_load_b64 s[8:9], s[0:1], 0x48
	s_wait_kmcnt 0x0
	global_load_b32 v2, v2, s[8:9] scale_offset
	s_wait_loadcnt 0x0
	v_subrev_nc_u32_e32 v4, s21, v2
.LBB192_6:
	s_or_b32 exec_lo, exec_lo, s3
	s_cmp_lt_i32 s5, 1
	s_cbranch_scc1 .LBB192_38
; %bb.7:
	v_mbcnt_lo_u32_b32 v5, -1, 0
	v_dual_lshlrev_b32 v3, 9, v1 :: v_dual_bitop2_b32 v28, 7, v0 bitop3:0x40
	s_clause 0x3
	s_load_b64 s[8:9], s[0:1], 0x50
	s_load_b64 s[2:3], s[0:1], 0x40
	;; [unrolled: 1-line block ×4, first 2 shown]
	v_dual_mov_b32 v7, 0 :: v_dual_bitop2_b32 v8, 16, v5 bitop3:0x14
	v_xor_b32_e32 v0, 2, v5
	v_xor_b32_e32 v2, 4, v5
	v_lshl_or_b32 v29, v26, 11, v3
	s_cmp_eq_u32 s14, 0
	s_wait_xcnt 0x0
	v_cmp_gt_i32_e64 s1, 32, v8
	v_xor_b32_e32 v9, 8, v5
	v_cmp_gt_i32_e64 s0, 32, v2
	s_mov_b32 s15, 0
	s_mov_b32 s16, s7
	v_cndmask_b32_e64 v12, v5, v8, s1
	v_cmp_gt_i32_e64 s1, 32, v9
	v_dual_cndmask_b32 v2, v5, v2, s0 :: v_dual_bitop2_b32 v6, 1, v5 bitop3:0x14
	v_cmp_gt_i32_e64 s0, 32, v0
	v_lshl_or_b32 v33, v5, 2, 28
	s_delay_alu instid0(VALU_DEP_3) | instskip(SKIP_1) | instid1(VALU_DEP_4)
	v_dual_lshlrev_b32 v30, 2, v2 :: v_dual_bitop2_b32 v41, -8, v28 bitop3:0x54
	v_mul_lo_u32 v2, s7, v1
	v_cndmask_b32_e64 v0, v5, v0, s0
	v_cmp_gt_i32_e64 s0, 32, v6
	v_lshlrev_b32_e32 v35, 2, v12
	v_mul_lo_u32 v12, v28, s6
	s_delay_alu instid0(VALU_DEP_4) | instskip(NEXT) | instid1(VALU_DEP_4)
	v_dual_mov_b32 v44, 0 :: v_dual_lshlrev_b32 v31, 2, v0
	v_dual_cndmask_b32 v6, v5, v6, s0 :: v_dual_lshlrev_b32 v0, 4, v28
	s_cselect_b32 s0, -1, 0
	s_cmp_lg_u32 s14, 0
	s_mov_b32 s14, s6
	s_delay_alu instid0(VALU_DEP_1)
	v_dual_lshlrev_b32 v32, 2, v6 :: v_dual_bitop2_b32 v34, v29, v0 bitop3:0x54
	v_dual_ashrrev_i32 v3, 31, v2 :: v_dual_lshlrev_b32 v6, 4, v1
	v_mov_b32_e32 v1, v7
	s_cselect_b32 s22, -1, 0
	s_ashr_i32 s17, s7, 31
	s_wait_kmcnt 0x0
	v_lshl_add_u64 v[2:3], v[2:3], 4, s[2:3]
	s_mul_u64 s[18:19], s[16:17], s[14:15]
	s_abs_i32 s16, s7
	v_cndmask_b32_e64 v5, v5, v9, s1
	v_add_nc_u64_e32 v[8:9], s[2:3], v[6:7]
	s_cvt_f32_u32 s3, s16
	v_add_nc_u64_e32 v[10:11], v[2:3], v[0:1]
	v_dual_mov_b32 v13, v7 :: v_dual_bitop2_b32 v0, 8, v28 bitop3:0x54
	s_delay_alu instid0(SALU_CYCLE_1) | instskip(SKIP_2) | instid1(VALU_DEP_2)
	v_rcp_iflag_f32_e32 v1, s3
	s_lshl_b32 s6, s6, 3
	v_cmp_gt_u32_e64 s1, s7, v28
	v_cmp_gt_u32_e64 s2, s7, v0
	v_dual_mov_b32 v15, v7 :: v_dual_bitop2_b32 v0, 16, v28 bitop3:0x54
	v_dual_mov_b32 v17, v7 :: v_dual_add_nc_u32 v14, s6, v12
	s_delay_alu instid0(TRANS32_DEP_1) | instskip(NEXT) | instid1(VALU_DEP_3)
	v_readfirstlane_b32 s14, v1
	v_cmp_gt_u32_e64 s3, s7, v0
	s_delay_alu instid0(VALU_DEP_3) | instskip(SKIP_2) | instid1(VALU_DEP_2)
	v_dual_add_nc_u32 v16, s6, v14 :: v_dual_bitop2_b32 v0, 24, v28 bitop3:0x54
	v_dual_mov_b32 v37, 0x7c :: v_dual_lshlrev_b32 v36, 2, v5
	s_mul_f32 s14, s14, 0x4f7ffffe
	v_cmp_gt_u32_e64 s4, s7, v0
	s_delay_alu instid0(VALU_DEP_3) | instskip(NEXT) | instid1(SALU_CYCLE_1)
	v_dual_mov_b32 v19, v7 :: v_dual_add_nc_u32 v18, s6, v16
	s_cvt_u32_f32 s14, s14
	s_and_b32 s6, s1, vcc_lo
	s_sub_co_i32 s1, 0, s16
	v_or_b32_e32 v38, 0x80, v34
	s_mul_i32 s1, s1, s14
	v_or_b32_e32 v39, 0x100, v34
	v_or_b32_e32 v40, 0x180, v34
	v_dual_mov_b32 v0, v7 :: v_dual_mov_b32 v1, v7
	v_dual_mov_b32 v2, v7 :: v_dual_mov_b32 v3, v7
	v_mov_b32_e32 v42, 1
	s_mul_hi_u32 s1, s14, s1
	s_and_b32 s2, vcc_lo, s2
	s_and_b32 s3, vcc_lo, s3
	;; [unrolled: 1-line block ×3, first 2 shown]
	s_add_co_i32 s14, s14, s1
	s_mov_b32 s23, s15
	s_branch .LBB192_10
.LBB192_8:                              ;   in Loop: Header=BB192_10 Depth=1
	s_wait_xcnt 0x0
	s_or_b32 exec_lo, exec_lo, s24
	v_mov_b32_e32 v5, 1
.LBB192_9:                              ;   in Loop: Header=BB192_10 Depth=1
	s_or_b32 exec_lo, exec_lo, s1
	ds_bpermute_b32 v6, v35, v43
	s_wait_storecnt_dscnt 0x0
	v_dual_add_nc_u32 v4, v5, v4 :: v_dual_min_i32 v6, v6, v43
	ds_bpermute_b32 v20, v36, v6
	s_wait_dscnt 0x0
	v_min_i32_e32 v6, v20, v6
	ds_bpermute_b32 v20, v30, v6
	s_wait_dscnt 0x0
	v_min_i32_e32 v6, v20, v6
	;; [unrolled: 3-line block ×4, first 2 shown]
	ds_bpermute_b32 v44, v37, v6
	s_wait_dscnt 0x0
	v_cmp_le_i32_e32 vcc_lo, s5, v44
	s_or_b32 s23, vcc_lo, s23
	s_delay_alu instid0(SALU_CYCLE_1)
	s_and_not1_b32 exec_lo, exec_lo, s23
	s_cbranch_execz .LBB192_38
.LBB192_10:                             ; =>This Loop Header: Depth=1
                                        ;     Child Loop BB192_11 Depth 2
                                        ;     Child Loop BB192_15 Depth 2
	v_dual_mov_b32 v5, v34 :: v_dual_mov_b32 v6, v41
	s_mov_b32 s1, 0
	ds_store_b8 v26, v7 offset:16384
.LBB192_11:                             ;   Parent Loop BB192_10 Depth=1
                                        ; =>  This Inner Loop Header: Depth=2
	v_add_nc_u32_e32 v6, 8, v6
	ds_store_b128 v5, v[0:3]
	v_add_nc_u32_e32 v5, 0x80, v5
	v_cmp_lt_u32_e32 vcc_lo, 23, v6
	s_or_b32 s1, vcc_lo, s1
	s_delay_alu instid0(SALU_CYCLE_1)
	s_and_not1_b32 exec_lo, exec_lo, s1
	s_cbranch_execnz .LBB192_11
; %bb.12:                               ;   in Loop: Header=BB192_10 Depth=1
	s_or_b32 exec_lo, exec_lo, s1
	v_dual_mov_b32 v43, s5 :: v_dual_add_nc_u32 v20, v24, v28
	v_mov_b32_e32 v21, v27
	s_mov_b32 s24, exec_lo
	s_wait_dscnt 0x0
	s_delay_alu instid0(VALU_DEP_2)
	v_cmpx_lt_i32_e64 v20, v27
	s_cbranch_execz .LBB192_20
; %bb.13:                               ;   in Loop: Header=BB192_10 Depth=1
	v_mul_lo_u32 v5, v44, s7
	v_dual_ashrrev_i32 v21, 31, v20 :: v_dual_mov_b32 v43, s5
	s_mov_b32 s25, 0
	s_delay_alu instid0(VALU_DEP_1)
	v_lshl_add_u64 v[22:23], v[20:21], 2, s[12:13]
	v_lshl_add_u64 v[24:25], v[20:21], 4, s[10:11]
	v_mov_b32_e32 v21, v27
	s_branch .LBB192_15
.LBB192_14:                             ;   in Loop: Header=BB192_15 Depth=2
	s_wait_xcnt 0x0
	s_or_b32 exec_lo, exec_lo, s1
	v_add_nc_u32_e32 v20, 8, v20
	s_xor_b32 s26, vcc_lo, -1
	v_add_nc_u64_e32 v[22:23], 32, v[22:23]
	v_add_nc_u64_e32 v[24:25], 0x80, v[24:25]
	s_delay_alu instid0(VALU_DEP_3) | instskip(SKIP_1) | instid1(SALU_CYCLE_1)
	v_cmp_ge_i32_e64 s1, v20, v27
	s_or_b32 s1, s26, s1
	s_and_b32 s1, exec_lo, s1
	s_delay_alu instid0(SALU_CYCLE_1) | instskip(NEXT) | instid1(SALU_CYCLE_1)
	s_or_b32 s25, s1, s25
	s_and_not1_b32 exec_lo, exec_lo, s25
	s_cbranch_execz .LBB192_19
.LBB192_15:                             ;   Parent Loop BB192_10 Depth=1
                                        ; =>  This Inner Loop Header: Depth=2
	global_load_b32 v6, v[22:23], off
	s_wait_loadcnt 0x0
	v_subrev_nc_u32_e32 v45, s20, v6
	s_delay_alu instid0(VALU_DEP_1) | instskip(NEXT) | instid1(VALU_DEP_1)
	v_sub_nc_u32_e32 v6, 0, v45
	v_max_i32_e32 v6, v45, v6
	s_delay_alu instid0(VALU_DEP_1) | instskip(NEXT) | instid1(VALU_DEP_1)
	v_mul_u64_e32 v[46:47], s[14:15], v[6:7]
	v_mul_lo_u32 v46, v47, s16
	s_delay_alu instid0(VALU_DEP_1) | instskip(NEXT) | instid1(VALU_DEP_1)
	v_dual_sub_nc_u32 v6, v6, v46 :: v_dual_add_nc_u32 v46, 1, v47
	v_cmp_le_u32_e32 vcc_lo, s16, v6
	s_delay_alu instid0(VALU_DEP_2) | instskip(SKIP_1) | instid1(VALU_DEP_1)
	v_cndmask_b32_e32 v46, v47, v46, vcc_lo
	v_subrev_nc_u32_e32 v48, s16, v6
	v_dual_cndmask_b32 v6, v6, v48 :: v_dual_ashrrev_i32 v47, 31, v45
	s_delay_alu instid0(VALU_DEP_3) | instskip(NEXT) | instid1(VALU_DEP_2)
	v_add_nc_u32_e32 v48, 1, v46
	v_cmp_le_u32_e32 vcc_lo, s16, v6
	s_delay_alu instid0(VALU_DEP_2) | instskip(NEXT) | instid1(VALU_DEP_1)
	v_dual_cndmask_b32 v6, v46, v48, vcc_lo :: v_dual_bitop2_b32 v47, s17, v47 bitop3:0x14
	v_xor_b32_e32 v6, v6, v47
	s_delay_alu instid0(VALU_DEP_1) | instskip(NEXT) | instid1(VALU_DEP_1)
	v_dual_sub_nc_u32 v46, v6, v47 :: v_dual_mov_b32 v6, v21
	v_cmp_ne_u32_e64 s1, v46, v44
	v_cmp_eq_u32_e32 vcc_lo, v46, v44
	s_wait_xcnt 0x0
	s_and_saveexec_b32 s26, s1
	s_delay_alu instid0(SALU_CYCLE_1)
	s_xor_b32 s1, exec_lo, s26
; %bb.16:                               ;   in Loop: Header=BB192_15 Depth=2
	v_min_i32_e32 v43, v46, v43
                                        ; implicit-def: $vgpr45
                                        ; implicit-def: $vgpr6
; %bb.17:                               ;   in Loop: Header=BB192_15 Depth=2
	s_or_saveexec_b32 s1, s1
	v_mov_b32_e32 v21, v20
	s_xor_b32 exec_lo, exec_lo, s1
	s_cbranch_execz .LBB192_14
; %bb.18:                               ;   in Loop: Header=BB192_15 Depth=2
	global_load_b128 v[46:49], v[24:25], off
	v_sub_nc_u32_e32 v21, v45, v5
	s_delay_alu instid0(VALU_DEP_1)
	v_lshl_add_u32 v45, v21, 4, v29
	v_mov_b32_e32 v21, v6
	ds_store_b8 v26, v42 offset:16384
	s_wait_loadcnt 0x0
	ds_store_2addr_b64 v45, v[46:47], v[48:49] offset1:1
	s_branch .LBB192_14
.LBB192_19:                             ;   in Loop: Header=BB192_10 Depth=1
	s_or_b32 exec_lo, exec_lo, s25
.LBB192_20:                             ;   in Loop: Header=BB192_10 Depth=1
	s_delay_alu instid0(SALU_CYCLE_1)
	s_or_b32 exec_lo, exec_lo, s24
	ds_bpermute_b32 v5, v30, v21
	s_wait_dscnt 0x0
	ds_load_u8 v20, v26 offset:16384
	v_min_i32_e32 v5, v5, v21
	ds_bpermute_b32 v6, v31, v5
	s_wait_dscnt 0x0
	v_min_i32_e32 v5, v6, v5
	ds_bpermute_b32 v6, v32, v5
	s_wait_dscnt 0x0
	v_min_i32_e32 v5, v6, v5
	ds_bpermute_b32 v24, v33, v5
	v_and_b32_e32 v5, 1, v20
	s_delay_alu instid0(VALU_DEP_1)
	v_cmp_eq_u32_e32 vcc_lo, 1, v5
	v_mov_b32_e32 v5, 0
	s_and_saveexec_b32 s1, vcc_lo
	s_cbranch_execz .LBB192_9
; %bb.21:                               ;   in Loop: Header=BB192_10 Depth=1
	v_ashrrev_i32_e32 v5, 31, v4
	s_delay_alu instid0(VALU_DEP_1) | instskip(SKIP_3) | instid1(VALU_DEP_1)
	v_mul_u64_e32 v[20:21], s[18:19], v[4:5]
	v_add_nc_u32_e32 v5, s21, v44
	global_store_b32 v4, v5, s[8:9] scale_offset
	v_lshlrev_b64_e32 v[20:21], 4, v[20:21]
	v_add_nc_u64_e32 v[22:23], v[8:9], v[20:21]
	v_add_nc_u64_e32 v[20:21], v[10:11], v[20:21]
	s_wait_xcnt 0x0
	s_and_saveexec_b32 s24, s6
	s_cbranch_execz .LBB192_23
; %bb.22:                               ;   in Loop: Header=BB192_10 Depth=1
	ds_load_2addr_b64 v[44:47], v34 offset1:1
	v_lshl_add_u64 v[48:49], v[12:13], 4, v[22:23]
	s_delay_alu instid0(VALU_DEP_1)
	v_dual_cndmask_b32 v49, v49, v21, s0 :: v_dual_cndmask_b32 v48, v48, v20, s0
	s_wait_dscnt 0x0
	global_store_b128 v[48:49], v[44:47], off
.LBB192_23:                             ;   in Loop: Header=BB192_10 Depth=1
	s_wait_xcnt 0x0
	s_or_b32 exec_lo, exec_lo, s24
	s_and_saveexec_b32 s24, s2
	s_cbranch_execz .LBB192_28
; %bb.24:                               ;   in Loop: Header=BB192_10 Depth=1
	s_and_not1_b32 vcc_lo, exec_lo, s22
	s_mov_b32 s25, -1
	s_cbranch_vccnz .LBB192_26
; %bb.25:                               ;   in Loop: Header=BB192_10 Depth=1
	ds_load_2addr_b64 v[44:47], v38 offset1:1
	v_lshl_add_u64 v[48:49], v[14:15], 4, v[22:23]
	s_mov_b32 s25, 0
	s_wait_dscnt 0x0
	global_store_b128 v[48:49], v[44:47], off
.LBB192_26:                             ;   in Loop: Header=BB192_10 Depth=1
	s_and_not1_b32 vcc_lo, exec_lo, s25
	s_cbranch_vccnz .LBB192_28
; %bb.27:                               ;   in Loop: Header=BB192_10 Depth=1
	s_wait_xcnt 0x0
	ds_load_2addr_b64 v[44:47], v38 offset1:1
	s_wait_dscnt 0x0
	global_store_b128 v[20:21], v[44:47], off offset:128
.LBB192_28:                             ;   in Loop: Header=BB192_10 Depth=1
	s_wait_xcnt 0x0
	s_or_b32 exec_lo, exec_lo, s24
	s_and_saveexec_b32 s24, s3
	s_cbranch_execz .LBB192_33
; %bb.29:                               ;   in Loop: Header=BB192_10 Depth=1
	s_and_not1_b32 vcc_lo, exec_lo, s22
	s_mov_b32 s25, -1
	s_cbranch_vccnz .LBB192_31
; %bb.30:                               ;   in Loop: Header=BB192_10 Depth=1
	ds_load_2addr_b64 v[44:47], v39 offset1:1
	v_lshl_add_u64 v[48:49], v[16:17], 4, v[22:23]
	s_mov_b32 s25, 0
	s_wait_dscnt 0x0
	global_store_b128 v[48:49], v[44:47], off
.LBB192_31:                             ;   in Loop: Header=BB192_10 Depth=1
	s_and_not1_b32 vcc_lo, exec_lo, s25
	s_cbranch_vccnz .LBB192_33
; %bb.32:                               ;   in Loop: Header=BB192_10 Depth=1
	s_wait_xcnt 0x0
	ds_load_2addr_b64 v[44:47], v39 offset1:1
	s_wait_dscnt 0x0
	global_store_b128 v[20:21], v[44:47], off offset:256
.LBB192_33:                             ;   in Loop: Header=BB192_10 Depth=1
	s_wait_xcnt 0x0
	s_or_b32 exec_lo, exec_lo, s24
	s_and_saveexec_b32 s24, s4
	s_cbranch_execz .LBB192_8
; %bb.34:                               ;   in Loop: Header=BB192_10 Depth=1
	s_and_not1_b32 vcc_lo, exec_lo, s22
	s_mov_b32 s25, -1
	s_cbranch_vccnz .LBB192_36
; %bb.35:                               ;   in Loop: Header=BB192_10 Depth=1
	ds_load_2addr_b64 v[44:47], v40 offset1:1
	v_lshl_add_u64 v[22:23], v[18:19], 4, v[22:23]
	s_mov_b32 s25, 0
	s_wait_dscnt 0x0
	global_store_b128 v[22:23], v[44:47], off
.LBB192_36:                             ;   in Loop: Header=BB192_10 Depth=1
	s_and_not1_b32 vcc_lo, exec_lo, s25
	s_cbranch_vccnz .LBB192_8
; %bb.37:                               ;   in Loop: Header=BB192_10 Depth=1
	s_wait_xcnt 0x0
	ds_load_2addr_b64 v[44:47], v40 offset1:1
	s_wait_dscnt 0x0
	global_store_b128 v[20:21], v[44:47], off offset:384
	s_branch .LBB192_8
.LBB192_38:
	s_endpgm
	.section	.rodata,"a",@progbits
	.p2align	6, 0x0
	.amdhsa_kernel _ZN9rocsparseL44csr2gebsr_wavefront_per_row_multipass_kernelILi256ELi4ELi32ELi32E21rocsparse_complex_numIdEEEv20rocsparse_direction_iiiiii21rocsparse_index_base_PKT3_PKiS9_S4_PS5_PiSB_
		.amdhsa_group_segment_fixed_size 16392
		.amdhsa_private_segment_fixed_size 0
		.amdhsa_kernarg_size 88
		.amdhsa_user_sgpr_count 2
		.amdhsa_user_sgpr_dispatch_ptr 0
		.amdhsa_user_sgpr_queue_ptr 0
		.amdhsa_user_sgpr_kernarg_segment_ptr 1
		.amdhsa_user_sgpr_dispatch_id 0
		.amdhsa_user_sgpr_kernarg_preload_length 0
		.amdhsa_user_sgpr_kernarg_preload_offset 0
		.amdhsa_user_sgpr_private_segment_size 0
		.amdhsa_wavefront_size32 1
		.amdhsa_uses_dynamic_stack 0
		.amdhsa_enable_private_segment 0
		.amdhsa_system_sgpr_workgroup_id_x 1
		.amdhsa_system_sgpr_workgroup_id_y 0
		.amdhsa_system_sgpr_workgroup_id_z 0
		.amdhsa_system_sgpr_workgroup_info 0
		.amdhsa_system_vgpr_workitem_id 0
		.amdhsa_next_free_vgpr 50
		.amdhsa_next_free_sgpr 27
		.amdhsa_named_barrier_count 0
		.amdhsa_reserve_vcc 1
		.amdhsa_float_round_mode_32 0
		.amdhsa_float_round_mode_16_64 0
		.amdhsa_float_denorm_mode_32 3
		.amdhsa_float_denorm_mode_16_64 3
		.amdhsa_fp16_overflow 0
		.amdhsa_memory_ordered 1
		.amdhsa_forward_progress 1
		.amdhsa_inst_pref_size 16
		.amdhsa_round_robin_scheduling 0
		.amdhsa_exception_fp_ieee_invalid_op 0
		.amdhsa_exception_fp_denorm_src 0
		.amdhsa_exception_fp_ieee_div_zero 0
		.amdhsa_exception_fp_ieee_overflow 0
		.amdhsa_exception_fp_ieee_underflow 0
		.amdhsa_exception_fp_ieee_inexact 0
		.amdhsa_exception_int_div_zero 0
	.end_amdhsa_kernel
	.section	.text._ZN9rocsparseL44csr2gebsr_wavefront_per_row_multipass_kernelILi256ELi4ELi32ELi32E21rocsparse_complex_numIdEEEv20rocsparse_direction_iiiiii21rocsparse_index_base_PKT3_PKiS9_S4_PS5_PiSB_,"axG",@progbits,_ZN9rocsparseL44csr2gebsr_wavefront_per_row_multipass_kernelILi256ELi4ELi32ELi32E21rocsparse_complex_numIdEEEv20rocsparse_direction_iiiiii21rocsparse_index_base_PKT3_PKiS9_S4_PS5_PiSB_,comdat
.Lfunc_end192:
	.size	_ZN9rocsparseL44csr2gebsr_wavefront_per_row_multipass_kernelILi256ELi4ELi32ELi32E21rocsparse_complex_numIdEEEv20rocsparse_direction_iiiiii21rocsparse_index_base_PKT3_PKiS9_S4_PS5_PiSB_, .Lfunc_end192-_ZN9rocsparseL44csr2gebsr_wavefront_per_row_multipass_kernelILi256ELi4ELi32ELi32E21rocsparse_complex_numIdEEEv20rocsparse_direction_iiiiii21rocsparse_index_base_PKT3_PKiS9_S4_PS5_PiSB_
                                        ; -- End function
	.set _ZN9rocsparseL44csr2gebsr_wavefront_per_row_multipass_kernelILi256ELi4ELi32ELi32E21rocsparse_complex_numIdEEEv20rocsparse_direction_iiiiii21rocsparse_index_base_PKT3_PKiS9_S4_PS5_PiSB_.num_vgpr, 50
	.set _ZN9rocsparseL44csr2gebsr_wavefront_per_row_multipass_kernelILi256ELi4ELi32ELi32E21rocsparse_complex_numIdEEEv20rocsparse_direction_iiiiii21rocsparse_index_base_PKT3_PKiS9_S4_PS5_PiSB_.num_agpr, 0
	.set _ZN9rocsparseL44csr2gebsr_wavefront_per_row_multipass_kernelILi256ELi4ELi32ELi32E21rocsparse_complex_numIdEEEv20rocsparse_direction_iiiiii21rocsparse_index_base_PKT3_PKiS9_S4_PS5_PiSB_.numbered_sgpr, 27
	.set _ZN9rocsparseL44csr2gebsr_wavefront_per_row_multipass_kernelILi256ELi4ELi32ELi32E21rocsparse_complex_numIdEEEv20rocsparse_direction_iiiiii21rocsparse_index_base_PKT3_PKiS9_S4_PS5_PiSB_.num_named_barrier, 0
	.set _ZN9rocsparseL44csr2gebsr_wavefront_per_row_multipass_kernelILi256ELi4ELi32ELi32E21rocsparse_complex_numIdEEEv20rocsparse_direction_iiiiii21rocsparse_index_base_PKT3_PKiS9_S4_PS5_PiSB_.private_seg_size, 0
	.set _ZN9rocsparseL44csr2gebsr_wavefront_per_row_multipass_kernelILi256ELi4ELi32ELi32E21rocsparse_complex_numIdEEEv20rocsparse_direction_iiiiii21rocsparse_index_base_PKT3_PKiS9_S4_PS5_PiSB_.uses_vcc, 1
	.set _ZN9rocsparseL44csr2gebsr_wavefront_per_row_multipass_kernelILi256ELi4ELi32ELi32E21rocsparse_complex_numIdEEEv20rocsparse_direction_iiiiii21rocsparse_index_base_PKT3_PKiS9_S4_PS5_PiSB_.uses_flat_scratch, 0
	.set _ZN9rocsparseL44csr2gebsr_wavefront_per_row_multipass_kernelILi256ELi4ELi32ELi32E21rocsparse_complex_numIdEEEv20rocsparse_direction_iiiiii21rocsparse_index_base_PKT3_PKiS9_S4_PS5_PiSB_.has_dyn_sized_stack, 0
	.set _ZN9rocsparseL44csr2gebsr_wavefront_per_row_multipass_kernelILi256ELi4ELi32ELi32E21rocsparse_complex_numIdEEEv20rocsparse_direction_iiiiii21rocsparse_index_base_PKT3_PKiS9_S4_PS5_PiSB_.has_recursion, 0
	.set _ZN9rocsparseL44csr2gebsr_wavefront_per_row_multipass_kernelILi256ELi4ELi32ELi32E21rocsparse_complex_numIdEEEv20rocsparse_direction_iiiiii21rocsparse_index_base_PKT3_PKiS9_S4_PS5_PiSB_.has_indirect_call, 0
	.section	.AMDGPU.csdata,"",@progbits
; Kernel info:
; codeLenInByte = 1932
; TotalNumSgprs: 29
; NumVgprs: 50
; ScratchSize: 0
; MemoryBound: 0
; FloatMode: 240
; IeeeMode: 1
; LDSByteSize: 16392 bytes/workgroup (compile time only)
; SGPRBlocks: 0
; VGPRBlocks: 3
; NumSGPRsForWavesPerEU: 29
; NumVGPRsForWavesPerEU: 50
; NamedBarCnt: 0
; Occupancy: 16
; WaveLimiterHint : 0
; COMPUTE_PGM_RSRC2:SCRATCH_EN: 0
; COMPUTE_PGM_RSRC2:USER_SGPR: 2
; COMPUTE_PGM_RSRC2:TRAP_HANDLER: 0
; COMPUTE_PGM_RSRC2:TGID_X_EN: 1
; COMPUTE_PGM_RSRC2:TGID_Y_EN: 0
; COMPUTE_PGM_RSRC2:TGID_Z_EN: 0
; COMPUTE_PGM_RSRC2:TIDIG_COMP_CNT: 0
	.section	.text._ZN9rocsparseL44csr2gebsr_wavefront_per_row_multipass_kernelILi256ELi4ELi64ELi64E21rocsparse_complex_numIdEEEv20rocsparse_direction_iiiiii21rocsparse_index_base_PKT3_PKiS9_S4_PS5_PiSB_,"axG",@progbits,_ZN9rocsparseL44csr2gebsr_wavefront_per_row_multipass_kernelILi256ELi4ELi64ELi64E21rocsparse_complex_numIdEEEv20rocsparse_direction_iiiiii21rocsparse_index_base_PKT3_PKiS9_S4_PS5_PiSB_,comdat
	.globl	_ZN9rocsparseL44csr2gebsr_wavefront_per_row_multipass_kernelILi256ELi4ELi64ELi64E21rocsparse_complex_numIdEEEv20rocsparse_direction_iiiiii21rocsparse_index_base_PKT3_PKiS9_S4_PS5_PiSB_ ; -- Begin function _ZN9rocsparseL44csr2gebsr_wavefront_per_row_multipass_kernelILi256ELi4ELi64ELi64E21rocsparse_complex_numIdEEEv20rocsparse_direction_iiiiii21rocsparse_index_base_PKT3_PKiS9_S4_PS5_PiSB_
	.p2align	8
	.type	_ZN9rocsparseL44csr2gebsr_wavefront_per_row_multipass_kernelILi256ELi4ELi64ELi64E21rocsparse_complex_numIdEEEv20rocsparse_direction_iiiiii21rocsparse_index_base_PKT3_PKiS9_S4_PS5_PiSB_,@function
_ZN9rocsparseL44csr2gebsr_wavefront_per_row_multipass_kernelILi256ELi4ELi64ELi64E21rocsparse_complex_numIdEEEv20rocsparse_direction_iiiiii21rocsparse_index_base_PKT3_PKiS9_S4_PS5_PiSB_: ; @_ZN9rocsparseL44csr2gebsr_wavefront_per_row_multipass_kernelILi256ELi4ELi64ELi64E21rocsparse_complex_numIdEEEv20rocsparse_direction_iiiiii21rocsparse_index_base_PKT3_PKiS9_S4_PS5_PiSB_
; %bb.0:
	s_clause 0x1
	s_load_b128 s[4:7], s[0:1], 0xc
	s_load_b64 s[14:15], s[0:1], 0x0
	s_bfe_u32 s2, ttmp6, 0x4000c
	s_and_b32 s3, ttmp6, 15
	s_add_co_i32 s2, s2, 1
	s_getreg_b32 s8, hwreg(HW_REG_IB_STS2, 6, 4)
	s_mul_i32 s2, ttmp9, s2
	v_dual_lshrrev_b32 v26, 6, v0 :: v_dual_mov_b32 v4, 0
	s_add_co_i32 s3, s3, s2
	s_cmp_eq_u32 s8, 0
	v_bfe_u32 v1, v0, 4, 2
	s_cselect_b32 s2, ttmp9, s3
	s_clause 0x1
	s_load_b32 s20, s[0:1], 0x1c
	s_load_b64 s[8:9], s[0:1], 0x28
	v_lshl_or_b32 v2, s2, 2, v26
	v_mov_b32_e32 v24, 0
	s_wait_kmcnt 0x0
	s_delay_alu instid0(VALU_DEP_2) | instskip(SKIP_1) | instid1(VALU_DEP_2)
	v_mad_u32 v3, v2, s6, v1
	v_cmp_gt_i32_e32 vcc_lo, s6, v1
	v_cmp_gt_i32_e64 s2, s15, v3
	s_and_b32 s2, vcc_lo, s2
	s_delay_alu instid0(SALU_CYCLE_1)
	s_and_saveexec_b32 s3, s2
	s_cbranch_execz .LBB193_2
; %bb.1:
	global_load_b32 v5, v3, s[8:9] scale_offset
	s_wait_loadcnt 0x0
	v_subrev_nc_u32_e32 v24, s20, v5
.LBB193_2:
	s_or_b32 exec_lo, exec_lo, s3
	v_mov_b32_e32 v27, 0
	s_and_saveexec_b32 s3, s2
	s_cbranch_execz .LBB193_4
; %bb.3:
	global_load_b32 v3, v3, s[8:9] offset:4 scale_offset
	s_wait_loadcnt 0x0
	v_subrev_nc_u32_e32 v27, s20, v3
.LBB193_4:
	s_or_b32 exec_lo, exec_lo, s3
	s_load_b32 s21, s[0:1], 0x38
	s_mov_b32 s3, exec_lo
	v_cmpx_gt_i32_e64 s4, v2
	s_cbranch_execz .LBB193_6
; %bb.5:
	s_load_b64 s[8:9], s[0:1], 0x48
	s_wait_kmcnt 0x0
	global_load_b32 v2, v2, s[8:9] scale_offset
	s_wait_loadcnt 0x0
	v_subrev_nc_u32_e32 v4, s21, v2
.LBB193_6:
	s_or_b32 exec_lo, exec_lo, s3
	s_cmp_lt_i32 s5, 1
	s_cbranch_scc1 .LBB193_38
; %bb.7:
	v_mbcnt_lo_u32_b32 v5, -1, 0
	v_dual_lshlrev_b32 v2, 10, v1 :: v_dual_bitop2_b32 v28, 15, v0 bitop3:0x40
	s_clause 0x3
	s_load_b64 s[8:9], s[0:1], 0x50
	s_load_b64 s[2:3], s[0:1], 0x40
	;; [unrolled: 1-line block ×4, first 2 shown]
	s_cmp_eq_u32 s14, 0
	v_xor_b32_e32 v0, 4, v5
	v_xor_b32_e32 v3, 8, v5
	v_lshl_or_b32 v29, v26, 12, v2
	v_xor_b32_e32 v6, 1, v5
	v_xor_b32_e32 v2, 2, v5
	s_mov_b32 s15, 0
	s_wait_xcnt 0x0
	v_cmp_gt_i32_e64 s0, 32, v3
	s_mov_b32 s16, s7
	v_lshl_or_b32 v34, v5, 2, 60
	v_bfrev_b32_e32 v38, 0.5
	v_dual_mov_b32 v45, 0 :: v_dual_cndmask_b32 v3, v5, v3, s0
	v_cmp_gt_i32_e64 s0, 32, v0
	s_mov_b32 s23, s15
	v_dual_mov_b32 v7, 0 :: v_dual_bitop2_b32 v8, 32, v5 bitop3:0x54
	v_or_b32_e32 v42, -16, v28
	v_cndmask_b32_e64 v0, v5, v0, s0
	v_cmp_gt_i32_e64 s0, 32, v2
	v_dual_mov_b32 v43, 1 :: v_dual_lshlrev_b32 v30, 2, v3
	s_delay_alu instid0(VALU_DEP_3) | instskip(NEXT) | instid1(VALU_DEP_3)
	v_dual_mov_b32 v15, v7 :: v_dual_lshlrev_b32 v31, 2, v0
	v_cndmask_b32_e64 v2, v5, v2, s0
	v_cmp_gt_i32_e64 s0, 32, v6
	v_dual_mov_b32 v13, v7 :: v_dual_lshlrev_b32 v0, 4, v28
	s_delay_alu instid0(VALU_DEP_3) | instskip(SKIP_1) | instid1(VALU_DEP_4)
	v_dual_mov_b32 v17, v7 :: v_dual_lshlrev_b32 v32, 2, v2
	v_mul_lo_u32 v2, s7, v1
	v_cndmask_b32_e64 v6, v5, v6, s0
	s_cselect_b32 s0, -1, 0
	s_cmp_lg_u32 s14, 0
	s_mov_b32 s14, s6
	s_cselect_b32 s22, -1, 0
	v_dual_lshlrev_b32 v33, 2, v6 :: v_dual_bitop2_b32 v35, v29, v0 bitop3:0x54
	v_dual_mov_b32 v1, v7 :: v_dual_lshlrev_b32 v6, 4, v1
	v_cmp_gt_i32_e64 s1, 32, v8
	v_ashrrev_i32_e32 v3, 31, v2
	s_ashr_i32 s17, s7, 31
	v_or_b32_e32 v39, 0x100, v35
	s_mul_u64 s[18:19], s[16:17], s[14:15]
	v_dual_cndmask_b32 v12, v5, v8, s1 :: v_dual_bitop2_b32 v9, 16, v5 bitop3:0x14
	s_abs_i32 s16, s7
	s_wait_kmcnt 0x0
	v_lshl_add_u64 v[2:3], v[2:3], 4, s[2:3]
	v_or_b32_e32 v40, 0x200, v35
	v_lshlrev_b32_e32 v36, 2, v12
	v_cmp_gt_i32_e64 s1, 32, v9
	v_mul_lo_u32 v12, v28, s6
	v_add_nc_u64_e32 v[10:11], v[2:3], v[0:1]
	v_or_b32_e32 v0, 16, v28
	s_lshl_b32 s6, s6, 4
	v_cndmask_b32_e64 v5, v5, v9, s1
	v_add_nc_u64_e32 v[8:9], s[2:3], v[6:7]
	s_cvt_f32_u32 s3, s16
	v_cmp_gt_u32_e64 s2, s7, v0
	v_or_b32_e32 v0, 32, v28
	v_cmp_gt_u32_e64 s1, s7, v28
	v_rcp_iflag_f32_e32 v1, s3
	v_dual_add_nc_u32 v14, s6, v12 :: v_dual_lshlrev_b32 v37, 2, v5
	v_or_b32_e32 v41, 0x300, v35
	v_mov_b32_e32 v3, v7
	v_cmp_gt_u32_e64 s3, s7, v0
	s_delay_alu instid0(VALU_DEP_4) | instskip(NEXT) | instid1(TRANS32_DEP_1)
	v_dual_add_nc_u32 v16, s6, v14 :: v_dual_bitop2_b32 v0, 48, v28 bitop3:0x54
	v_readfirstlane_b32 s14, v1
	v_dual_mov_b32 v1, v7 :: v_dual_mov_b32 v2, v7
	s_delay_alu instid0(VALU_DEP_3) | instskip(NEXT) | instid1(VALU_DEP_4)
	v_cmp_gt_u32_e64 s4, s7, v0
	v_dual_mov_b32 v19, v7 :: v_dual_add_nc_u32 v18, s6, v16
	s_mul_f32 s14, s14, 0x4f7ffffe
	s_and_b32 s6, s1, vcc_lo
	s_sub_co_i32 s1, 0, s16
	v_mov_b32_e32 v0, v7
	s_cvt_u32_f32 s14, s14
	s_and_b32 s2, vcc_lo, s2
	s_and_b32 s3, vcc_lo, s3
	;; [unrolled: 1-line block ×3, first 2 shown]
	s_mul_i32 s1, s1, s14
	s_delay_alu instid0(SALU_CYCLE_1) | instskip(NEXT) | instid1(SALU_CYCLE_1)
	s_mul_hi_u32 s1, s14, s1
	s_add_co_i32 s14, s14, s1
	s_branch .LBB193_10
.LBB193_8:                              ;   in Loop: Header=BB193_10 Depth=1
	s_wait_xcnt 0x0
	s_or_b32 exec_lo, exec_lo, s24
	v_mov_b32_e32 v5, 1
.LBB193_9:                              ;   in Loop: Header=BB193_10 Depth=1
	s_or_b32 exec_lo, exec_lo, s1
	ds_bpermute_b32 v6, v36, v44
	s_wait_storecnt_dscnt 0x0
	v_add_nc_u32_e32 v4, v5, v4
	v_min_i32_e32 v6, v6, v44
	ds_bpermute_b32 v20, v37, v6
	s_wait_dscnt 0x0
	v_min_i32_e32 v6, v20, v6
	ds_bpermute_b32 v20, v30, v6
	s_wait_dscnt 0x0
	;; [unrolled: 3-line block ×6, first 2 shown]
	v_cmp_le_i32_e32 vcc_lo, s5, v45
	s_or_b32 s23, vcc_lo, s23
	s_delay_alu instid0(SALU_CYCLE_1)
	s_and_not1_b32 exec_lo, exec_lo, s23
	s_cbranch_execz .LBB193_38
.LBB193_10:                             ; =>This Loop Header: Depth=1
                                        ;     Child Loop BB193_11 Depth 2
                                        ;     Child Loop BB193_15 Depth 2
	v_dual_mov_b32 v5, v35 :: v_dual_mov_b32 v6, v42
	s_mov_b32 s1, 0
	ds_store_b8 v26, v7 offset:16384
.LBB193_11:                             ;   Parent Loop BB193_10 Depth=1
                                        ; =>  This Inner Loop Header: Depth=2
	v_add_nc_u32_e32 v6, 16, v6
	ds_store_b128 v5, v[0:3]
	v_add_nc_u32_e32 v5, 0x100, v5
	v_cmp_lt_u32_e32 vcc_lo, 47, v6
	s_or_b32 s1, vcc_lo, s1
	s_delay_alu instid0(SALU_CYCLE_1)
	s_and_not1_b32 exec_lo, exec_lo, s1
	s_cbranch_execnz .LBB193_11
; %bb.12:                               ;   in Loop: Header=BB193_10 Depth=1
	s_or_b32 exec_lo, exec_lo, s1
	v_dual_add_nc_u32 v20, v24, v28 :: v_dual_mov_b32 v44, s5
	v_mov_b32_e32 v21, v27
	s_mov_b32 s24, exec_lo
	s_wait_dscnt 0x0
	s_delay_alu instid0(VALU_DEP_2)
	v_cmpx_lt_i32_e64 v20, v27
	s_cbranch_execz .LBB193_20
; %bb.13:                               ;   in Loop: Header=BB193_10 Depth=1
	v_mul_lo_u32 v5, v45, s7
	v_dual_mov_b32 v44, s5 :: v_dual_ashrrev_i32 v21, 31, v20
	s_mov_b32 s25, 0
	s_delay_alu instid0(VALU_DEP_1)
	v_lshl_add_u64 v[22:23], v[20:21], 2, s[12:13]
	v_lshl_add_u64 v[24:25], v[20:21], 4, s[10:11]
	v_mov_b32_e32 v21, v27
	s_branch .LBB193_15
.LBB193_14:                             ;   in Loop: Header=BB193_15 Depth=2
	s_wait_xcnt 0x0
	s_or_b32 exec_lo, exec_lo, s1
	v_add_nc_u32_e32 v20, 16, v20
	s_xor_b32 s26, vcc_lo, -1
	v_add_nc_u64_e32 v[22:23], 64, v[22:23]
	v_add_nc_u64_e32 v[24:25], 0x100, v[24:25]
	s_delay_alu instid0(VALU_DEP_3) | instskip(SKIP_1) | instid1(SALU_CYCLE_1)
	v_cmp_ge_i32_e64 s1, v20, v27
	s_or_b32 s1, s26, s1
	s_and_b32 s1, exec_lo, s1
	s_delay_alu instid0(SALU_CYCLE_1) | instskip(NEXT) | instid1(SALU_CYCLE_1)
	s_or_b32 s25, s1, s25
	s_and_not1_b32 exec_lo, exec_lo, s25
	s_cbranch_execz .LBB193_19
.LBB193_15:                             ;   Parent Loop BB193_10 Depth=1
                                        ; =>  This Inner Loop Header: Depth=2
	global_load_b32 v6, v[22:23], off
	s_wait_loadcnt 0x0
	v_subrev_nc_u32_e32 v46, s20, v6
	s_delay_alu instid0(VALU_DEP_1) | instskip(NEXT) | instid1(VALU_DEP_1)
	v_sub_nc_u32_e32 v6, 0, v46
	v_max_i32_e32 v6, v46, v6
	s_delay_alu instid0(VALU_DEP_1) | instskip(NEXT) | instid1(VALU_DEP_1)
	v_mul_u64_e32 v[48:49], s[14:15], v[6:7]
	v_mul_lo_u32 v47, v49, s16
	s_delay_alu instid0(VALU_DEP_1) | instskip(NEXT) | instid1(VALU_DEP_1)
	v_dual_sub_nc_u32 v6, v6, v47 :: v_dual_add_nc_u32 v47, 1, v49
	v_cmp_le_u32_e32 vcc_lo, s16, v6
	s_delay_alu instid0(VALU_DEP_2) | instskip(SKIP_1) | instid1(VALU_DEP_1)
	v_dual_cndmask_b32 v47, v49, v47, vcc_lo :: v_dual_ashrrev_i32 v49, 31, v46
	v_subrev_nc_u32_e32 v48, s16, v6
	v_dual_cndmask_b32 v6, v6, v48, vcc_lo :: v_dual_add_nc_u32 v48, 1, v47
	s_delay_alu instid0(VALU_DEP_1) | instskip(NEXT) | instid1(VALU_DEP_2)
	v_cmp_le_u32_e32 vcc_lo, s16, v6
	v_dual_cndmask_b32 v6, v47, v48, vcc_lo :: v_dual_bitop2_b32 v49, s17, v49 bitop3:0x14
	s_delay_alu instid0(VALU_DEP_1) | instskip(NEXT) | instid1(VALU_DEP_1)
	v_xor_b32_e32 v6, v6, v49
	v_dual_mov_b32 v6, v21 :: v_dual_sub_nc_u32 v47, v6, v49
	s_delay_alu instid0(VALU_DEP_1) | instskip(SKIP_3) | instid1(SALU_CYCLE_1)
	v_cmp_ne_u32_e64 s1, v47, v45
	v_cmp_eq_u32_e32 vcc_lo, v47, v45
	s_wait_xcnt 0x0
	s_and_saveexec_b32 s26, s1
	s_xor_b32 s1, exec_lo, s26
; %bb.16:                               ;   in Loop: Header=BB193_15 Depth=2
	v_min_i32_e32 v44, v47, v44
                                        ; implicit-def: $vgpr46
                                        ; implicit-def: $vgpr6
; %bb.17:                               ;   in Loop: Header=BB193_15 Depth=2
	s_or_saveexec_b32 s1, s1
	v_mov_b32_e32 v21, v20
	s_xor_b32 exec_lo, exec_lo, s1
	s_cbranch_execz .LBB193_14
; %bb.18:                               ;   in Loop: Header=BB193_15 Depth=2
	global_load_b128 v[48:51], v[24:25], off
	v_sub_nc_u32_e32 v21, v46, v5
	s_delay_alu instid0(VALU_DEP_1)
	v_lshl_add_u32 v46, v21, 4, v29
	v_mov_b32_e32 v21, v6
	ds_store_b8 v26, v43 offset:16384
	s_wait_loadcnt 0x0
	ds_store_2addr_b64 v46, v[48:49], v[50:51] offset1:1
	s_branch .LBB193_14
.LBB193_19:                             ;   in Loop: Header=BB193_10 Depth=1
	s_or_b32 exec_lo, exec_lo, s25
.LBB193_20:                             ;   in Loop: Header=BB193_10 Depth=1
	s_delay_alu instid0(SALU_CYCLE_1)
	s_or_b32 exec_lo, exec_lo, s24
	ds_bpermute_b32 v5, v30, v21
	s_wait_dscnt 0x0
	ds_load_u8 v20, v26 offset:16384
	v_min_i32_e32 v5, v5, v21
	ds_bpermute_b32 v6, v31, v5
	s_wait_dscnt 0x0
	v_min_i32_e32 v5, v6, v5
	ds_bpermute_b32 v6, v32, v5
	s_wait_dscnt 0x0
	;; [unrolled: 3-line block ×3, first 2 shown]
	v_min_i32_e32 v5, v6, v5
	ds_bpermute_b32 v24, v34, v5
	v_and_b32_e32 v5, 1, v20
	s_delay_alu instid0(VALU_DEP_1)
	v_cmp_eq_u32_e32 vcc_lo, 1, v5
	v_mov_b32_e32 v5, 0
	s_and_saveexec_b32 s1, vcc_lo
	s_cbranch_execz .LBB193_9
; %bb.21:                               ;   in Loop: Header=BB193_10 Depth=1
	v_ashrrev_i32_e32 v5, 31, v4
	s_delay_alu instid0(VALU_DEP_1) | instskip(SKIP_3) | instid1(VALU_DEP_1)
	v_mul_u64_e32 v[20:21], s[18:19], v[4:5]
	v_add_nc_u32_e32 v5, s21, v45
	global_store_b32 v4, v5, s[8:9] scale_offset
	v_lshlrev_b64_e32 v[20:21], 4, v[20:21]
	v_add_nc_u64_e32 v[22:23], v[8:9], v[20:21]
	v_add_nc_u64_e32 v[20:21], v[10:11], v[20:21]
	s_wait_xcnt 0x0
	s_and_saveexec_b32 s24, s6
	s_cbranch_execz .LBB193_23
; %bb.22:                               ;   in Loop: Header=BB193_10 Depth=1
	ds_load_2addr_b64 v[46:49], v35 offset1:1
	v_lshl_add_u64 v[50:51], v[12:13], 4, v[22:23]
	s_delay_alu instid0(VALU_DEP_1)
	v_dual_cndmask_b32 v51, v51, v21, s0 :: v_dual_cndmask_b32 v50, v50, v20, s0
	s_wait_dscnt 0x0
	global_store_b128 v[50:51], v[46:49], off
.LBB193_23:                             ;   in Loop: Header=BB193_10 Depth=1
	s_wait_xcnt 0x0
	s_or_b32 exec_lo, exec_lo, s24
	s_and_saveexec_b32 s24, s2
	s_cbranch_execz .LBB193_28
; %bb.24:                               ;   in Loop: Header=BB193_10 Depth=1
	s_and_not1_b32 vcc_lo, exec_lo, s22
	s_mov_b32 s25, -1
	s_cbranch_vccnz .LBB193_26
; %bb.25:                               ;   in Loop: Header=BB193_10 Depth=1
	ds_load_2addr_b64 v[46:49], v39 offset1:1
	v_lshl_add_u64 v[50:51], v[14:15], 4, v[22:23]
	s_mov_b32 s25, 0
	s_wait_dscnt 0x0
	global_store_b128 v[50:51], v[46:49], off
.LBB193_26:                             ;   in Loop: Header=BB193_10 Depth=1
	s_and_not1_b32 vcc_lo, exec_lo, s25
	s_cbranch_vccnz .LBB193_28
; %bb.27:                               ;   in Loop: Header=BB193_10 Depth=1
	s_wait_xcnt 0x0
	ds_load_2addr_b64 v[46:49], v39 offset1:1
	s_wait_dscnt 0x0
	global_store_b128 v[20:21], v[46:49], off offset:256
.LBB193_28:                             ;   in Loop: Header=BB193_10 Depth=1
	s_wait_xcnt 0x0
	s_or_b32 exec_lo, exec_lo, s24
	s_and_saveexec_b32 s24, s3
	s_cbranch_execz .LBB193_33
; %bb.29:                               ;   in Loop: Header=BB193_10 Depth=1
	s_and_not1_b32 vcc_lo, exec_lo, s22
	s_mov_b32 s25, -1
	s_cbranch_vccnz .LBB193_31
; %bb.30:                               ;   in Loop: Header=BB193_10 Depth=1
	ds_load_2addr_b64 v[46:49], v40 offset1:1
	v_lshl_add_u64 v[50:51], v[16:17], 4, v[22:23]
	s_mov_b32 s25, 0
	s_wait_dscnt 0x0
	global_store_b128 v[50:51], v[46:49], off
.LBB193_31:                             ;   in Loop: Header=BB193_10 Depth=1
	s_and_not1_b32 vcc_lo, exec_lo, s25
	s_cbranch_vccnz .LBB193_33
; %bb.32:                               ;   in Loop: Header=BB193_10 Depth=1
	s_wait_xcnt 0x0
	ds_load_2addr_b64 v[46:49], v40 offset1:1
	s_wait_dscnt 0x0
	global_store_b128 v[20:21], v[46:49], off offset:512
.LBB193_33:                             ;   in Loop: Header=BB193_10 Depth=1
	s_wait_xcnt 0x0
	s_or_b32 exec_lo, exec_lo, s24
	s_and_saveexec_b32 s24, s4
	s_cbranch_execz .LBB193_8
; %bb.34:                               ;   in Loop: Header=BB193_10 Depth=1
	s_and_not1_b32 vcc_lo, exec_lo, s22
	s_mov_b32 s25, -1
	s_cbranch_vccnz .LBB193_36
; %bb.35:                               ;   in Loop: Header=BB193_10 Depth=1
	ds_load_2addr_b64 v[46:49], v41 offset1:1
	v_lshl_add_u64 v[22:23], v[18:19], 4, v[22:23]
	s_mov_b32 s25, 0
	s_wait_dscnt 0x0
	global_store_b128 v[22:23], v[46:49], off
.LBB193_36:                             ;   in Loop: Header=BB193_10 Depth=1
	s_and_not1_b32 vcc_lo, exec_lo, s25
	s_cbranch_vccnz .LBB193_8
; %bb.37:                               ;   in Loop: Header=BB193_10 Depth=1
	s_wait_xcnt 0x0
	ds_load_2addr_b64 v[46:49], v41 offset1:1
	s_wait_dscnt 0x0
	global_store_b128 v[20:21], v[46:49], off offset:768
	s_branch .LBB193_8
.LBB193_38:
	s_endpgm
	.section	.rodata,"a",@progbits
	.p2align	6, 0x0
	.amdhsa_kernel _ZN9rocsparseL44csr2gebsr_wavefront_per_row_multipass_kernelILi256ELi4ELi64ELi64E21rocsparse_complex_numIdEEEv20rocsparse_direction_iiiiii21rocsparse_index_base_PKT3_PKiS9_S4_PS5_PiSB_
		.amdhsa_group_segment_fixed_size 16392
		.amdhsa_private_segment_fixed_size 0
		.amdhsa_kernarg_size 88
		.amdhsa_user_sgpr_count 2
		.amdhsa_user_sgpr_dispatch_ptr 0
		.amdhsa_user_sgpr_queue_ptr 0
		.amdhsa_user_sgpr_kernarg_segment_ptr 1
		.amdhsa_user_sgpr_dispatch_id 0
		.amdhsa_user_sgpr_kernarg_preload_length 0
		.amdhsa_user_sgpr_kernarg_preload_offset 0
		.amdhsa_user_sgpr_private_segment_size 0
		.amdhsa_wavefront_size32 1
		.amdhsa_uses_dynamic_stack 0
		.amdhsa_enable_private_segment 0
		.amdhsa_system_sgpr_workgroup_id_x 1
		.amdhsa_system_sgpr_workgroup_id_y 0
		.amdhsa_system_sgpr_workgroup_id_z 0
		.amdhsa_system_sgpr_workgroup_info 0
		.amdhsa_system_vgpr_workitem_id 0
		.amdhsa_next_free_vgpr 52
		.amdhsa_next_free_sgpr 27
		.amdhsa_named_barrier_count 0
		.amdhsa_reserve_vcc 1
		.amdhsa_float_round_mode_32 0
		.amdhsa_float_round_mode_16_64 0
		.amdhsa_float_denorm_mode_32 3
		.amdhsa_float_denorm_mode_16_64 3
		.amdhsa_fp16_overflow 0
		.amdhsa_memory_ordered 1
		.amdhsa_forward_progress 1
		.amdhsa_inst_pref_size 16
		.amdhsa_round_robin_scheduling 0
		.amdhsa_exception_fp_ieee_invalid_op 0
		.amdhsa_exception_fp_denorm_src 0
		.amdhsa_exception_fp_ieee_div_zero 0
		.amdhsa_exception_fp_ieee_overflow 0
		.amdhsa_exception_fp_ieee_underflow 0
		.amdhsa_exception_fp_ieee_inexact 0
		.amdhsa_exception_int_div_zero 0
	.end_amdhsa_kernel
	.section	.text._ZN9rocsparseL44csr2gebsr_wavefront_per_row_multipass_kernelILi256ELi4ELi64ELi64E21rocsparse_complex_numIdEEEv20rocsparse_direction_iiiiii21rocsparse_index_base_PKT3_PKiS9_S4_PS5_PiSB_,"axG",@progbits,_ZN9rocsparseL44csr2gebsr_wavefront_per_row_multipass_kernelILi256ELi4ELi64ELi64E21rocsparse_complex_numIdEEEv20rocsparse_direction_iiiiii21rocsparse_index_base_PKT3_PKiS9_S4_PS5_PiSB_,comdat
.Lfunc_end193:
	.size	_ZN9rocsparseL44csr2gebsr_wavefront_per_row_multipass_kernelILi256ELi4ELi64ELi64E21rocsparse_complex_numIdEEEv20rocsparse_direction_iiiiii21rocsparse_index_base_PKT3_PKiS9_S4_PS5_PiSB_, .Lfunc_end193-_ZN9rocsparseL44csr2gebsr_wavefront_per_row_multipass_kernelILi256ELi4ELi64ELi64E21rocsparse_complex_numIdEEEv20rocsparse_direction_iiiiii21rocsparse_index_base_PKT3_PKiS9_S4_PS5_PiSB_
                                        ; -- End function
	.set _ZN9rocsparseL44csr2gebsr_wavefront_per_row_multipass_kernelILi256ELi4ELi64ELi64E21rocsparse_complex_numIdEEEv20rocsparse_direction_iiiiii21rocsparse_index_base_PKT3_PKiS9_S4_PS5_PiSB_.num_vgpr, 52
	.set _ZN9rocsparseL44csr2gebsr_wavefront_per_row_multipass_kernelILi256ELi4ELi64ELi64E21rocsparse_complex_numIdEEEv20rocsparse_direction_iiiiii21rocsparse_index_base_PKT3_PKiS9_S4_PS5_PiSB_.num_agpr, 0
	.set _ZN9rocsparseL44csr2gebsr_wavefront_per_row_multipass_kernelILi256ELi4ELi64ELi64E21rocsparse_complex_numIdEEEv20rocsparse_direction_iiiiii21rocsparse_index_base_PKT3_PKiS9_S4_PS5_PiSB_.numbered_sgpr, 27
	.set _ZN9rocsparseL44csr2gebsr_wavefront_per_row_multipass_kernelILi256ELi4ELi64ELi64E21rocsparse_complex_numIdEEEv20rocsparse_direction_iiiiii21rocsparse_index_base_PKT3_PKiS9_S4_PS5_PiSB_.num_named_barrier, 0
	.set _ZN9rocsparseL44csr2gebsr_wavefront_per_row_multipass_kernelILi256ELi4ELi64ELi64E21rocsparse_complex_numIdEEEv20rocsparse_direction_iiiiii21rocsparse_index_base_PKT3_PKiS9_S4_PS5_PiSB_.private_seg_size, 0
	.set _ZN9rocsparseL44csr2gebsr_wavefront_per_row_multipass_kernelILi256ELi4ELi64ELi64E21rocsparse_complex_numIdEEEv20rocsparse_direction_iiiiii21rocsparse_index_base_PKT3_PKiS9_S4_PS5_PiSB_.uses_vcc, 1
	.set _ZN9rocsparseL44csr2gebsr_wavefront_per_row_multipass_kernelILi256ELi4ELi64ELi64E21rocsparse_complex_numIdEEEv20rocsparse_direction_iiiiii21rocsparse_index_base_PKT3_PKiS9_S4_PS5_PiSB_.uses_flat_scratch, 0
	.set _ZN9rocsparseL44csr2gebsr_wavefront_per_row_multipass_kernelILi256ELi4ELi64ELi64E21rocsparse_complex_numIdEEEv20rocsparse_direction_iiiiii21rocsparse_index_base_PKT3_PKiS9_S4_PS5_PiSB_.has_dyn_sized_stack, 0
	.set _ZN9rocsparseL44csr2gebsr_wavefront_per_row_multipass_kernelILi256ELi4ELi64ELi64E21rocsparse_complex_numIdEEEv20rocsparse_direction_iiiiii21rocsparse_index_base_PKT3_PKiS9_S4_PS5_PiSB_.has_recursion, 0
	.set _ZN9rocsparseL44csr2gebsr_wavefront_per_row_multipass_kernelILi256ELi4ELi64ELi64E21rocsparse_complex_numIdEEEv20rocsparse_direction_iiiiii21rocsparse_index_base_PKT3_PKiS9_S4_PS5_PiSB_.has_indirect_call, 0
	.section	.AMDGPU.csdata,"",@progbits
; Kernel info:
; codeLenInByte = 1964
; TotalNumSgprs: 29
; NumVgprs: 52
; ScratchSize: 0
; MemoryBound: 0
; FloatMode: 240
; IeeeMode: 1
; LDSByteSize: 16392 bytes/workgroup (compile time only)
; SGPRBlocks: 0
; VGPRBlocks: 3
; NumSGPRsForWavesPerEU: 29
; NumVGPRsForWavesPerEU: 52
; NamedBarCnt: 0
; Occupancy: 16
; WaveLimiterHint : 0
; COMPUTE_PGM_RSRC2:SCRATCH_EN: 0
; COMPUTE_PGM_RSRC2:USER_SGPR: 2
; COMPUTE_PGM_RSRC2:TRAP_HANDLER: 0
; COMPUTE_PGM_RSRC2:TGID_X_EN: 1
; COMPUTE_PGM_RSRC2:TGID_Y_EN: 0
; COMPUTE_PGM_RSRC2:TGID_Z_EN: 0
; COMPUTE_PGM_RSRC2:TIDIG_COMP_CNT: 0
	.section	.text._ZN9rocsparseL44csr2gebsr_wavefront_per_row_multipass_kernelILi256ELi4ELi64ELi32E21rocsparse_complex_numIdEEEv20rocsparse_direction_iiiiii21rocsparse_index_base_PKT3_PKiS9_S4_PS5_PiSB_,"axG",@progbits,_ZN9rocsparseL44csr2gebsr_wavefront_per_row_multipass_kernelILi256ELi4ELi64ELi32E21rocsparse_complex_numIdEEEv20rocsparse_direction_iiiiii21rocsparse_index_base_PKT3_PKiS9_S4_PS5_PiSB_,comdat
	.globl	_ZN9rocsparseL44csr2gebsr_wavefront_per_row_multipass_kernelILi256ELi4ELi64ELi32E21rocsparse_complex_numIdEEEv20rocsparse_direction_iiiiii21rocsparse_index_base_PKT3_PKiS9_S4_PS5_PiSB_ ; -- Begin function _ZN9rocsparseL44csr2gebsr_wavefront_per_row_multipass_kernelILi256ELi4ELi64ELi32E21rocsparse_complex_numIdEEEv20rocsparse_direction_iiiiii21rocsparse_index_base_PKT3_PKiS9_S4_PS5_PiSB_
	.p2align	8
	.type	_ZN9rocsparseL44csr2gebsr_wavefront_per_row_multipass_kernelILi256ELi4ELi64ELi32E21rocsparse_complex_numIdEEEv20rocsparse_direction_iiiiii21rocsparse_index_base_PKT3_PKiS9_S4_PS5_PiSB_,@function
_ZN9rocsparseL44csr2gebsr_wavefront_per_row_multipass_kernelILi256ELi4ELi64ELi32E21rocsparse_complex_numIdEEEv20rocsparse_direction_iiiiii21rocsparse_index_base_PKT3_PKiS9_S4_PS5_PiSB_: ; @_ZN9rocsparseL44csr2gebsr_wavefront_per_row_multipass_kernelILi256ELi4ELi64ELi32E21rocsparse_complex_numIdEEEv20rocsparse_direction_iiiiii21rocsparse_index_base_PKT3_PKiS9_S4_PS5_PiSB_
; %bb.0:
	s_clause 0x1
	s_load_b128 s[8:11], s[0:1], 0xc
	s_load_b64 s[4:5], s[0:1], 0x0
	s_bfe_u32 s2, ttmp6, 0x4000c
	s_and_b32 s3, ttmp6, 15
	s_add_co_i32 s2, s2, 1
	s_getreg_b32 s6, hwreg(HW_REG_IB_STS2, 6, 4)
	s_mul_i32 s2, ttmp9, s2
	v_dual_lshrrev_b32 v34, 5, v0 :: v_dual_mov_b32 v4, 0
	s_add_co_i32 s3, s3, s2
	s_cmp_eq_u32 s6, 0
	v_bfe_u32 v1, v0, 3, 2
	s_cselect_b32 s2, ttmp9, s3
	s_clause 0x1
	s_load_b32 s24, s[0:1], 0x1c
	s_load_b64 s[6:7], s[0:1], 0x28
	v_lshl_or_b32 v2, s2, 3, v34
	v_mov_b32_e32 v32, 0
	s_wait_kmcnt 0x0
	s_delay_alu instid0(VALU_DEP_2) | instskip(SKIP_1) | instid1(VALU_DEP_2)
	v_mad_u32 v3, v2, s10, v1
	v_cmp_gt_i32_e32 vcc_lo, s10, v1
	v_cmp_gt_i32_e64 s2, s5, v3
	s_and_b32 s2, vcc_lo, s2
	s_delay_alu instid0(SALU_CYCLE_1)
	s_and_saveexec_b32 s3, s2
	s_cbranch_execz .LBB194_2
; %bb.1:
	global_load_b32 v5, v3, s[6:7] scale_offset
	s_wait_loadcnt 0x0
	v_subrev_nc_u32_e32 v32, s24, v5
.LBB194_2:
	s_or_b32 exec_lo, exec_lo, s3
	v_mov_b32_e32 v35, 0
	s_and_saveexec_b32 s3, s2
	s_cbranch_execz .LBB194_4
; %bb.3:
	global_load_b32 v3, v3, s[6:7] offset:4 scale_offset
	s_wait_loadcnt 0x0
	v_subrev_nc_u32_e32 v35, s24, v3
.LBB194_4:
	s_or_b32 exec_lo, exec_lo, s3
	s_load_b32 s25, s[0:1], 0x38
	s_mov_b32 s3, exec_lo
	v_cmpx_gt_i32_e64 s8, v2
	s_cbranch_execz .LBB194_6
; %bb.5:
	s_load_b64 s[6:7], s[0:1], 0x48
	s_wait_kmcnt 0x0
	global_load_b32 v2, v2, s[6:7] scale_offset
	s_wait_loadcnt 0x0
	v_subrev_nc_u32_e32 v4, s25, v2
.LBB194_6:
	s_or_b32 exec_lo, exec_lo, s3
	s_cmp_lt_i32 s9, 1
	s_cbranch_scc1 .LBB194_58
; %bb.7:
	v_mbcnt_lo_u32_b32 v5, -1, 0
	v_dual_lshlrev_b32 v3, 10, v1 :: v_dual_bitop2_b32 v36, 7, v0 bitop3:0x40
	s_clause 0x3
	s_load_b64 s[12:13], s[0:1], 0x50
	s_load_b64 s[2:3], s[0:1], 0x40
	;; [unrolled: 1-line block ×4, first 2 shown]
	s_cmp_eq_u32 s4, 0
	v_xor_b32_e32 v0, 2, v5
	v_xor_b32_e32 v2, 4, v5
	v_mul_lo_u32 v12, v36, s10
	v_lshl_or_b32 v37, v34, 12, v3
	s_mov_b32 s19, 0
	s_mov_b32 s18, s10
	s_wait_xcnt 0x0
	v_cmp_gt_i32_e64 s0, 32, v2
	s_mov_b32 s20, s11
	v_lshl_or_b32 v41, v5, 2, 28
	v_dual_mov_b32 v56, 0 :: v_dual_mov_b32 v54, 1
	v_dual_cndmask_b32 v2, v5, v2, s0 :: v_dual_bitop2_b32 v6, 1, v5 bitop3:0x14
	v_cmp_gt_i32_e64 s0, 32, v0
	s_delay_alu instid0(VALU_DEP_2) | instskip(SKIP_1) | instid1(VALU_DEP_3)
	v_lshlrev_b32_e32 v38, 2, v2
	v_mul_lo_u32 v2, s11, v1
	v_cndmask_b32_e64 v0, v5, v0, s0
	v_cmp_gt_i32_e64 s0, 32, v6
	s_delay_alu instid0(VALU_DEP_2) | instskip(NEXT) | instid1(VALU_DEP_2)
	v_dual_mov_b32 v7, 0 :: v_dual_lshlrev_b32 v39, 2, v0
	v_dual_cndmask_b32 v6, v5, v6, s0 :: v_dual_lshlrev_b32 v0, 4, v36
	s_cselect_b32 s0, -1, 0
	s_cmp_lg_u32 s4, 0
	v_ashrrev_i32_e32 v3, 31, v2
	s_delay_alu instid0(VALU_DEP_2)
	v_dual_lshlrev_b32 v40, 2, v6 :: v_dual_bitop2_b32 v10, 16, v5 bitop3:0x14
	s_cselect_b32 s26, -1, 0
	s_ashr_i32 s21, s11, 31
	v_dual_lshlrev_b32 v6, 4, v1 :: v_dual_bitop2_b32 v42, v37, v0 bitop3:0x54
	s_mul_u64 s[22:23], s[20:21], s[18:19]
	s_lshl_b32 s18, s10, 3
	s_wait_kmcnt 0x0
	v_lshl_add_u64 v[2:3], v[2:3], 4, s[2:3]
	v_mov_b32_e32 v1, v7
	v_cmp_gt_i32_e64 s1, 32, v10
	v_dual_mov_b32 v45, 0x7c :: v_dual_add_nc_u32 v14, s18, v12
	v_add_nc_u64_e32 v[8:9], s[2:3], v[6:7]
	s_delay_alu instid0(VALU_DEP_3) | instskip(SKIP_3) | instid1(VALU_DEP_4)
	v_dual_cndmask_b32 v13, v5, v10, s1 :: v_dual_bitop2_b32 v6, 8, v5 bitop3:0x14
	v_add_nc_u64_e32 v[10:11], v[2:3], v[0:1]
	v_dual_mov_b32 v15, v7 :: v_dual_bitop2_b32 v1, 24, v36 bitop3:0x54
	v_dual_mov_b32 v17, v7 :: v_dual_add_nc_u32 v16, s18, v14
	v_cmp_gt_i32_e64 s1, 32, v6
	s_abs_i32 s10, s11
	v_cmp_gt_u32_e64 s4, s11, v1
	v_dual_mov_b32 v21, v7 :: v_dual_add_nc_u32 v18, s18, v16
	v_or_b32_e32 v1, 40, v36
	s_cvt_f32_u32 s7, s10
	v_dual_cndmask_b32 v5, v5, v6, s1 :: v_dual_lshlrev_b32 v43, 2, v13
	s_delay_alu instid0(VALU_DEP_3) | instskip(NEXT) | instid1(VALU_DEP_3)
	v_dual_add_nc_u32 v20, s18, v18 :: v_dual_bitop2_b32 v0, 8, v36 bitop3:0x54
	v_cmp_gt_u32_e64 s6, s11, v1
	v_rcp_iflag_f32_e32 v1, s7
	s_delay_alu instid0(VALU_DEP_3) | instskip(NEXT) | instid1(VALU_DEP_3)
	v_dual_mov_b32 v13, v7 :: v_dual_lshlrev_b32 v44, 2, v5
	v_cmp_gt_u32_e64 s2, s11, v0
	v_or_b32_e32 v0, 16, v36
	v_cmp_gt_u32_e64 s1, s11, v36
	v_dual_mov_b32 v25, v7 :: v_dual_add_nc_u32 v22, s18, v20
	s_delay_alu instid0(TRANS32_DEP_1) | instskip(NEXT) | instid1(VALU_DEP_4)
	v_readfirstlane_b32 s27, v1
	v_cmp_gt_u32_e64 s3, s11, v0
	v_dual_mov_b32 v19, v7 :: v_dual_bitop2_b32 v0, 32, v36 bitop3:0x54
	s_and_b32 s20, s1, vcc_lo
	s_mul_f32 s1, s27, 0x4f7ffffe
	v_dual_add_nc_u32 v24, s18, v22 :: v_dual_bitop2_b32 v2, 56, v36 bitop3:0x54
	s_delay_alu instid0(VALU_DEP_2) | instskip(SKIP_4) | instid1(VALU_DEP_2)
	v_cmp_gt_u32_e64 s5, s11, v0
	v_dual_mov_b32 v23, v7 :: v_dual_bitop2_b32 v0, 48, v36 bitop3:0x54
	s_cvt_u32_f32 s1, s1
	v_dual_mov_b32 v27, v7 :: v_dual_add_nc_u32 v26, s18, v24
	s_sub_co_i32 s18, 0, s10
	v_cmp_gt_u32_e64 s7, s11, v0
	v_cmp_gt_u32_e64 s8, s11, v2
	s_mul_i32 s18, s18, s1
	v_or_b32_e32 v46, 0x80, v42
	v_or_b32_e32 v47, 0x100, v42
	;; [unrolled: 1-line block ×7, first 2 shown]
	v_dual_mov_b32 v0, v7 :: v_dual_bitop2_b32 v53, -8, v36 bitop3:0x54
	v_dual_mov_b32 v1, v7 :: v_dual_mov_b32 v2, v7
	v_mov_b32_e32 v3, v7
	s_mul_hi_u32 s18, s1, s18
	s_and_b32 s2, vcc_lo, s2
	s_and_b32 s3, vcc_lo, s3
	;; [unrolled: 1-line block ×7, first 2 shown]
	s_add_co_i32 s18, s1, s18
	s_mov_b32 s27, s19
	s_branch .LBB194_10
.LBB194_8:                              ;   in Loop: Header=BB194_10 Depth=1
	s_wait_xcnt 0x0
	s_or_b32 exec_lo, exec_lo, s28
	v_mov_b32_e32 v5, 1
.LBB194_9:                              ;   in Loop: Header=BB194_10 Depth=1
	s_or_b32 exec_lo, exec_lo, s1
	ds_bpermute_b32 v6, v43, v55
	s_wait_storecnt_dscnt 0x0
	v_dual_add_nc_u32 v4, v5, v4 :: v_dual_min_i32 v6, v6, v55
	ds_bpermute_b32 v28, v44, v6
	s_wait_dscnt 0x0
	v_min_i32_e32 v6, v28, v6
	ds_bpermute_b32 v28, v38, v6
	s_wait_dscnt 0x0
	v_min_i32_e32 v6, v28, v6
	ds_bpermute_b32 v28, v39, v6
	s_wait_dscnt 0x0
	v_min_i32_e32 v6, v28, v6
	ds_bpermute_b32 v28, v40, v6
	s_wait_dscnt 0x0
	v_min_i32_e32 v6, v28, v6
	ds_bpermute_b32 v56, v45, v6
	s_wait_dscnt 0x0
	v_cmp_le_i32_e32 vcc_lo, s9, v56
	s_or_b32 s27, vcc_lo, s27
	s_delay_alu instid0(SALU_CYCLE_1)
	s_and_not1_b32 exec_lo, exec_lo, s27
	s_cbranch_execz .LBB194_58
.LBB194_10:                             ; =>This Loop Header: Depth=1
                                        ;     Child Loop BB194_11 Depth 2
                                        ;     Child Loop BB194_15 Depth 2
	v_dual_mov_b32 v5, v42 :: v_dual_mov_b32 v6, v53
	s_mov_b32 s1, 0
	ds_store_b8 v34, v7 offset:32768
.LBB194_11:                             ;   Parent Loop BB194_10 Depth=1
                                        ; =>  This Inner Loop Header: Depth=2
	v_add_nc_u32_e32 v6, 8, v6
	ds_store_b128 v5, v[0:3]
	v_add_nc_u32_e32 v5, 0x80, v5
	v_cmp_lt_u32_e32 vcc_lo, 55, v6
	s_or_b32 s1, vcc_lo, s1
	s_delay_alu instid0(SALU_CYCLE_1)
	s_and_not1_b32 exec_lo, exec_lo, s1
	s_cbranch_execnz .LBB194_11
; %bb.12:                               ;   in Loop: Header=BB194_10 Depth=1
	s_or_b32 exec_lo, exec_lo, s1
	v_dual_mov_b32 v55, s9 :: v_dual_add_nc_u32 v28, v32, v36
	v_mov_b32_e32 v29, v35
	s_mov_b32 s28, exec_lo
	s_wait_dscnt 0x0
	s_delay_alu instid0(VALU_DEP_2)
	v_cmpx_lt_i32_e64 v28, v35
	s_cbranch_execz .LBB194_20
; %bb.13:                               ;   in Loop: Header=BB194_10 Depth=1
	v_mul_lo_u32 v5, v56, s11
	v_dual_ashrrev_i32 v29, 31, v28 :: v_dual_mov_b32 v55, s9
	s_mov_b32 s29, 0
	s_delay_alu instid0(VALU_DEP_1)
	v_lshl_add_u64 v[30:31], v[28:29], 2, s[16:17]
	v_lshl_add_u64 v[32:33], v[28:29], 4, s[14:15]
	v_mov_b32_e32 v29, v35
	s_branch .LBB194_15
.LBB194_14:                             ;   in Loop: Header=BB194_15 Depth=2
	s_wait_xcnt 0x0
	s_or_b32 exec_lo, exec_lo, s1
	v_add_nc_u32_e32 v28, 8, v28
	s_xor_b32 s30, vcc_lo, -1
	v_add_nc_u64_e32 v[30:31], 32, v[30:31]
	v_add_nc_u64_e32 v[32:33], 0x80, v[32:33]
	s_delay_alu instid0(VALU_DEP_3) | instskip(SKIP_1) | instid1(SALU_CYCLE_1)
	v_cmp_ge_i32_e64 s1, v28, v35
	s_or_b32 s1, s30, s1
	s_and_b32 s1, exec_lo, s1
	s_delay_alu instid0(SALU_CYCLE_1) | instskip(NEXT) | instid1(SALU_CYCLE_1)
	s_or_b32 s29, s1, s29
	s_and_not1_b32 exec_lo, exec_lo, s29
	s_cbranch_execz .LBB194_19
.LBB194_15:                             ;   Parent Loop BB194_10 Depth=1
                                        ; =>  This Inner Loop Header: Depth=2
	global_load_b32 v6, v[30:31], off
	s_wait_loadcnt 0x0
	v_subrev_nc_u32_e32 v57, s24, v6
	s_delay_alu instid0(VALU_DEP_1) | instskip(NEXT) | instid1(VALU_DEP_1)
	v_sub_nc_u32_e32 v6, 0, v57
	v_max_i32_e32 v6, v57, v6
	s_delay_alu instid0(VALU_DEP_1) | instskip(NEXT) | instid1(VALU_DEP_1)
	v_mul_u64_e32 v[58:59], s[18:19], v[6:7]
	v_mul_lo_u32 v58, v59, s10
	s_delay_alu instid0(VALU_DEP_1) | instskip(NEXT) | instid1(VALU_DEP_1)
	v_dual_sub_nc_u32 v6, v6, v58 :: v_dual_add_nc_u32 v58, 1, v59
	v_cmp_le_u32_e32 vcc_lo, s10, v6
	s_delay_alu instid0(VALU_DEP_2) | instskip(SKIP_1) | instid1(VALU_DEP_1)
	v_cndmask_b32_e32 v58, v59, v58, vcc_lo
	v_subrev_nc_u32_e32 v60, s10, v6
	v_dual_cndmask_b32 v6, v6, v60 :: v_dual_ashrrev_i32 v59, 31, v57
	s_delay_alu instid0(VALU_DEP_3) | instskip(NEXT) | instid1(VALU_DEP_2)
	v_add_nc_u32_e32 v60, 1, v58
	v_cmp_le_u32_e32 vcc_lo, s10, v6
	s_delay_alu instid0(VALU_DEP_2) | instskip(NEXT) | instid1(VALU_DEP_1)
	v_dual_cndmask_b32 v6, v58, v60, vcc_lo :: v_dual_bitop2_b32 v59, s21, v59 bitop3:0x14
	v_xor_b32_e32 v6, v6, v59
	s_delay_alu instid0(VALU_DEP_1) | instskip(NEXT) | instid1(VALU_DEP_1)
	v_dual_sub_nc_u32 v58, v6, v59 :: v_dual_mov_b32 v6, v29
	v_cmp_ne_u32_e64 s1, v58, v56
	v_cmp_eq_u32_e32 vcc_lo, v58, v56
	s_wait_xcnt 0x0
	s_and_saveexec_b32 s30, s1
	s_delay_alu instid0(SALU_CYCLE_1)
	s_xor_b32 s1, exec_lo, s30
; %bb.16:                               ;   in Loop: Header=BB194_15 Depth=2
	v_min_i32_e32 v55, v58, v55
                                        ; implicit-def: $vgpr57
                                        ; implicit-def: $vgpr6
; %bb.17:                               ;   in Loop: Header=BB194_15 Depth=2
	s_or_saveexec_b32 s1, s1
	v_mov_b32_e32 v29, v28
	s_xor_b32 exec_lo, exec_lo, s1
	s_cbranch_execz .LBB194_14
; %bb.18:                               ;   in Loop: Header=BB194_15 Depth=2
	global_load_b128 v[58:61], v[32:33], off
	v_sub_nc_u32_e32 v29, v57, v5
	s_delay_alu instid0(VALU_DEP_1)
	v_lshl_add_u32 v57, v29, 4, v37
	v_mov_b32_e32 v29, v6
	ds_store_b8 v34, v54 offset:32768
	s_wait_loadcnt 0x0
	ds_store_2addr_b64 v57, v[58:59], v[60:61] offset1:1
	s_branch .LBB194_14
.LBB194_19:                             ;   in Loop: Header=BB194_10 Depth=1
	s_or_b32 exec_lo, exec_lo, s29
.LBB194_20:                             ;   in Loop: Header=BB194_10 Depth=1
	s_delay_alu instid0(SALU_CYCLE_1)
	s_or_b32 exec_lo, exec_lo, s28
	ds_bpermute_b32 v5, v38, v29
	s_wait_dscnt 0x0
	ds_load_u8 v28, v34 offset:32768
	v_min_i32_e32 v5, v5, v29
	ds_bpermute_b32 v6, v39, v5
	s_wait_dscnt 0x0
	v_min_i32_e32 v5, v6, v5
	ds_bpermute_b32 v6, v40, v5
	s_wait_dscnt 0x0
	v_min_i32_e32 v5, v6, v5
	ds_bpermute_b32 v32, v41, v5
	v_and_b32_e32 v5, 1, v28
	s_delay_alu instid0(VALU_DEP_1)
	v_cmp_eq_u32_e32 vcc_lo, 1, v5
	v_mov_b32_e32 v5, 0
	s_and_saveexec_b32 s1, vcc_lo
	s_cbranch_execz .LBB194_9
; %bb.21:                               ;   in Loop: Header=BB194_10 Depth=1
	v_ashrrev_i32_e32 v5, 31, v4
	s_delay_alu instid0(VALU_DEP_1) | instskip(SKIP_3) | instid1(VALU_DEP_1)
	v_mul_u64_e32 v[28:29], s[22:23], v[4:5]
	v_add_nc_u32_e32 v5, s25, v56
	global_store_b32 v4, v5, s[12:13] scale_offset
	v_lshlrev_b64_e32 v[28:29], 4, v[28:29]
	v_add_nc_u64_e32 v[30:31], v[8:9], v[28:29]
	v_add_nc_u64_e32 v[28:29], v[10:11], v[28:29]
	s_wait_xcnt 0x0
	s_and_saveexec_b32 s28, s20
	s_cbranch_execz .LBB194_23
; %bb.22:                               ;   in Loop: Header=BB194_10 Depth=1
	ds_load_2addr_b64 v[56:59], v42 offset1:1
	v_lshl_add_u64 v[60:61], v[12:13], 4, v[30:31]
	s_delay_alu instid0(VALU_DEP_1)
	v_dual_cndmask_b32 v61, v61, v29, s0 :: v_dual_cndmask_b32 v60, v60, v28, s0
	s_wait_dscnt 0x0
	global_store_b128 v[60:61], v[56:59], off
.LBB194_23:                             ;   in Loop: Header=BB194_10 Depth=1
	s_wait_xcnt 0x0
	s_or_b32 exec_lo, exec_lo, s28
	s_and_saveexec_b32 s28, s2
	s_cbranch_execz .LBB194_28
; %bb.24:                               ;   in Loop: Header=BB194_10 Depth=1
	s_and_not1_b32 vcc_lo, exec_lo, s26
	s_mov_b32 s29, -1
	s_cbranch_vccnz .LBB194_26
; %bb.25:                               ;   in Loop: Header=BB194_10 Depth=1
	ds_load_2addr_b64 v[56:59], v46 offset1:1
	v_lshl_add_u64 v[60:61], v[14:15], 4, v[30:31]
	s_mov_b32 s29, 0
	s_wait_dscnt 0x0
	global_store_b128 v[60:61], v[56:59], off
.LBB194_26:                             ;   in Loop: Header=BB194_10 Depth=1
	s_and_not1_b32 vcc_lo, exec_lo, s29
	s_cbranch_vccnz .LBB194_28
; %bb.27:                               ;   in Loop: Header=BB194_10 Depth=1
	s_wait_xcnt 0x0
	ds_load_2addr_b64 v[56:59], v46 offset1:1
	s_wait_dscnt 0x0
	global_store_b128 v[28:29], v[56:59], off offset:128
.LBB194_28:                             ;   in Loop: Header=BB194_10 Depth=1
	s_wait_xcnt 0x0
	s_or_b32 exec_lo, exec_lo, s28
	s_and_saveexec_b32 s28, s3
	s_cbranch_execz .LBB194_33
; %bb.29:                               ;   in Loop: Header=BB194_10 Depth=1
	s_and_not1_b32 vcc_lo, exec_lo, s26
	s_mov_b32 s29, -1
	s_cbranch_vccnz .LBB194_31
; %bb.30:                               ;   in Loop: Header=BB194_10 Depth=1
	ds_load_2addr_b64 v[56:59], v47 offset1:1
	v_lshl_add_u64 v[60:61], v[16:17], 4, v[30:31]
	s_mov_b32 s29, 0
	s_wait_dscnt 0x0
	global_store_b128 v[60:61], v[56:59], off
.LBB194_31:                             ;   in Loop: Header=BB194_10 Depth=1
	s_and_not1_b32 vcc_lo, exec_lo, s29
	s_cbranch_vccnz .LBB194_33
; %bb.32:                               ;   in Loop: Header=BB194_10 Depth=1
	s_wait_xcnt 0x0
	ds_load_2addr_b64 v[56:59], v47 offset1:1
	s_wait_dscnt 0x0
	global_store_b128 v[28:29], v[56:59], off offset:256
.LBB194_33:                             ;   in Loop: Header=BB194_10 Depth=1
	;; [unrolled: 23-line block ×6, first 2 shown]
	s_wait_xcnt 0x0
	s_or_b32 exec_lo, exec_lo, s28
	s_and_saveexec_b32 s28, s8
	s_cbranch_execz .LBB194_8
; %bb.54:                               ;   in Loop: Header=BB194_10 Depth=1
	s_and_not1_b32 vcc_lo, exec_lo, s26
	s_mov_b32 s29, -1
	s_cbranch_vccnz .LBB194_56
; %bb.55:                               ;   in Loop: Header=BB194_10 Depth=1
	ds_load_2addr_b64 v[56:59], v52 offset1:1
	v_lshl_add_u64 v[30:31], v[26:27], 4, v[30:31]
	s_mov_b32 s29, 0
	s_wait_dscnt 0x0
	global_store_b128 v[30:31], v[56:59], off
.LBB194_56:                             ;   in Loop: Header=BB194_10 Depth=1
	s_and_not1_b32 vcc_lo, exec_lo, s29
	s_cbranch_vccnz .LBB194_8
; %bb.57:                               ;   in Loop: Header=BB194_10 Depth=1
	s_wait_xcnt 0x0
	ds_load_2addr_b64 v[56:59], v52 offset1:1
	s_wait_dscnt 0x0
	global_store_b128 v[28:29], v[56:59], off offset:896
	s_branch .LBB194_8
.LBB194_58:
	s_endpgm
	.section	.rodata,"a",@progbits
	.p2align	6, 0x0
	.amdhsa_kernel _ZN9rocsparseL44csr2gebsr_wavefront_per_row_multipass_kernelILi256ELi4ELi64ELi32E21rocsparse_complex_numIdEEEv20rocsparse_direction_iiiiii21rocsparse_index_base_PKT3_PKiS9_S4_PS5_PiSB_
		.amdhsa_group_segment_fixed_size 32776
		.amdhsa_private_segment_fixed_size 0
		.amdhsa_kernarg_size 88
		.amdhsa_user_sgpr_count 2
		.amdhsa_user_sgpr_dispatch_ptr 0
		.amdhsa_user_sgpr_queue_ptr 0
		.amdhsa_user_sgpr_kernarg_segment_ptr 1
		.amdhsa_user_sgpr_dispatch_id 0
		.amdhsa_user_sgpr_kernarg_preload_length 0
		.amdhsa_user_sgpr_kernarg_preload_offset 0
		.amdhsa_user_sgpr_private_segment_size 0
		.amdhsa_wavefront_size32 1
		.amdhsa_uses_dynamic_stack 0
		.amdhsa_enable_private_segment 0
		.amdhsa_system_sgpr_workgroup_id_x 1
		.amdhsa_system_sgpr_workgroup_id_y 0
		.amdhsa_system_sgpr_workgroup_id_z 0
		.amdhsa_system_sgpr_workgroup_info 0
		.amdhsa_system_vgpr_workitem_id 0
		.amdhsa_next_free_vgpr 62
		.amdhsa_next_free_sgpr 31
		.amdhsa_named_barrier_count 0
		.amdhsa_reserve_vcc 1
		.amdhsa_float_round_mode_32 0
		.amdhsa_float_round_mode_16_64 0
		.amdhsa_float_denorm_mode_32 3
		.amdhsa_float_denorm_mode_16_64 3
		.amdhsa_fp16_overflow 0
		.amdhsa_memory_ordered 1
		.amdhsa_forward_progress 1
		.amdhsa_inst_pref_size 20
		.amdhsa_round_robin_scheduling 0
		.amdhsa_exception_fp_ieee_invalid_op 0
		.amdhsa_exception_fp_denorm_src 0
		.amdhsa_exception_fp_ieee_div_zero 0
		.amdhsa_exception_fp_ieee_overflow 0
		.amdhsa_exception_fp_ieee_underflow 0
		.amdhsa_exception_fp_ieee_inexact 0
		.amdhsa_exception_int_div_zero 0
	.end_amdhsa_kernel
	.section	.text._ZN9rocsparseL44csr2gebsr_wavefront_per_row_multipass_kernelILi256ELi4ELi64ELi32E21rocsparse_complex_numIdEEEv20rocsparse_direction_iiiiii21rocsparse_index_base_PKT3_PKiS9_S4_PS5_PiSB_,"axG",@progbits,_ZN9rocsparseL44csr2gebsr_wavefront_per_row_multipass_kernelILi256ELi4ELi64ELi32E21rocsparse_complex_numIdEEEv20rocsparse_direction_iiiiii21rocsparse_index_base_PKT3_PKiS9_S4_PS5_PiSB_,comdat
.Lfunc_end194:
	.size	_ZN9rocsparseL44csr2gebsr_wavefront_per_row_multipass_kernelILi256ELi4ELi64ELi32E21rocsparse_complex_numIdEEEv20rocsparse_direction_iiiiii21rocsparse_index_base_PKT3_PKiS9_S4_PS5_PiSB_, .Lfunc_end194-_ZN9rocsparseL44csr2gebsr_wavefront_per_row_multipass_kernelILi256ELi4ELi64ELi32E21rocsparse_complex_numIdEEEv20rocsparse_direction_iiiiii21rocsparse_index_base_PKT3_PKiS9_S4_PS5_PiSB_
                                        ; -- End function
	.set _ZN9rocsparseL44csr2gebsr_wavefront_per_row_multipass_kernelILi256ELi4ELi64ELi32E21rocsparse_complex_numIdEEEv20rocsparse_direction_iiiiii21rocsparse_index_base_PKT3_PKiS9_S4_PS5_PiSB_.num_vgpr, 62
	.set _ZN9rocsparseL44csr2gebsr_wavefront_per_row_multipass_kernelILi256ELi4ELi64ELi32E21rocsparse_complex_numIdEEEv20rocsparse_direction_iiiiii21rocsparse_index_base_PKT3_PKiS9_S4_PS5_PiSB_.num_agpr, 0
	.set _ZN9rocsparseL44csr2gebsr_wavefront_per_row_multipass_kernelILi256ELi4ELi64ELi32E21rocsparse_complex_numIdEEEv20rocsparse_direction_iiiiii21rocsparse_index_base_PKT3_PKiS9_S4_PS5_PiSB_.numbered_sgpr, 31
	.set _ZN9rocsparseL44csr2gebsr_wavefront_per_row_multipass_kernelILi256ELi4ELi64ELi32E21rocsparse_complex_numIdEEEv20rocsparse_direction_iiiiii21rocsparse_index_base_PKT3_PKiS9_S4_PS5_PiSB_.num_named_barrier, 0
	.set _ZN9rocsparseL44csr2gebsr_wavefront_per_row_multipass_kernelILi256ELi4ELi64ELi32E21rocsparse_complex_numIdEEEv20rocsparse_direction_iiiiii21rocsparse_index_base_PKT3_PKiS9_S4_PS5_PiSB_.private_seg_size, 0
	.set _ZN9rocsparseL44csr2gebsr_wavefront_per_row_multipass_kernelILi256ELi4ELi64ELi32E21rocsparse_complex_numIdEEEv20rocsparse_direction_iiiiii21rocsparse_index_base_PKT3_PKiS9_S4_PS5_PiSB_.uses_vcc, 1
	.set _ZN9rocsparseL44csr2gebsr_wavefront_per_row_multipass_kernelILi256ELi4ELi64ELi32E21rocsparse_complex_numIdEEEv20rocsparse_direction_iiiiii21rocsparse_index_base_PKT3_PKiS9_S4_PS5_PiSB_.uses_flat_scratch, 0
	.set _ZN9rocsparseL44csr2gebsr_wavefront_per_row_multipass_kernelILi256ELi4ELi64ELi32E21rocsparse_complex_numIdEEEv20rocsparse_direction_iiiiii21rocsparse_index_base_PKT3_PKiS9_S4_PS5_PiSB_.has_dyn_sized_stack, 0
	.set _ZN9rocsparseL44csr2gebsr_wavefront_per_row_multipass_kernelILi256ELi4ELi64ELi32E21rocsparse_complex_numIdEEEv20rocsparse_direction_iiiiii21rocsparse_index_base_PKT3_PKiS9_S4_PS5_PiSB_.has_recursion, 0
	.set _ZN9rocsparseL44csr2gebsr_wavefront_per_row_multipass_kernelILi256ELi4ELi64ELi32E21rocsparse_complex_numIdEEEv20rocsparse_direction_iiiiii21rocsparse_index_base_PKT3_PKiS9_S4_PS5_PiSB_.has_indirect_call, 0
	.section	.AMDGPU.csdata,"",@progbits
; Kernel info:
; codeLenInByte = 2476
; TotalNumSgprs: 33
; NumVgprs: 62
; ScratchSize: 0
; MemoryBound: 0
; FloatMode: 240
; IeeeMode: 1
; LDSByteSize: 32776 bytes/workgroup (compile time only)
; SGPRBlocks: 0
; VGPRBlocks: 3
; NumSGPRsForWavesPerEU: 33
; NumVGPRsForWavesPerEU: 62
; NamedBarCnt: 0
; Occupancy: 16
; WaveLimiterHint : 0
; COMPUTE_PGM_RSRC2:SCRATCH_EN: 0
; COMPUTE_PGM_RSRC2:USER_SGPR: 2
; COMPUTE_PGM_RSRC2:TRAP_HANDLER: 0
; COMPUTE_PGM_RSRC2:TGID_X_EN: 1
; COMPUTE_PGM_RSRC2:TGID_Y_EN: 0
; COMPUTE_PGM_RSRC2:TGID_Z_EN: 0
; COMPUTE_PGM_RSRC2:TIDIG_COMP_CNT: 0
	.section	.text._ZN9rocsparseL44csr2gebsr_wavefront_per_row_multipass_kernelILi256ELi8ELi2ELi16E21rocsparse_complex_numIdEEEv20rocsparse_direction_iiiiii21rocsparse_index_base_PKT3_PKiS9_S4_PS5_PiSB_,"axG",@progbits,_ZN9rocsparseL44csr2gebsr_wavefront_per_row_multipass_kernelILi256ELi8ELi2ELi16E21rocsparse_complex_numIdEEEv20rocsparse_direction_iiiiii21rocsparse_index_base_PKT3_PKiS9_S4_PS5_PiSB_,comdat
	.globl	_ZN9rocsparseL44csr2gebsr_wavefront_per_row_multipass_kernelILi256ELi8ELi2ELi16E21rocsparse_complex_numIdEEEv20rocsparse_direction_iiiiii21rocsparse_index_base_PKT3_PKiS9_S4_PS5_PiSB_ ; -- Begin function _ZN9rocsparseL44csr2gebsr_wavefront_per_row_multipass_kernelILi256ELi8ELi2ELi16E21rocsparse_complex_numIdEEEv20rocsparse_direction_iiiiii21rocsparse_index_base_PKT3_PKiS9_S4_PS5_PiSB_
	.p2align	8
	.type	_ZN9rocsparseL44csr2gebsr_wavefront_per_row_multipass_kernelILi256ELi8ELi2ELi16E21rocsparse_complex_numIdEEEv20rocsparse_direction_iiiiii21rocsparse_index_base_PKT3_PKiS9_S4_PS5_PiSB_,@function
_ZN9rocsparseL44csr2gebsr_wavefront_per_row_multipass_kernelILi256ELi8ELi2ELi16E21rocsparse_complex_numIdEEEv20rocsparse_direction_iiiiii21rocsparse_index_base_PKT3_PKiS9_S4_PS5_PiSB_: ; @_ZN9rocsparseL44csr2gebsr_wavefront_per_row_multipass_kernelILi256ELi8ELi2ELi16E21rocsparse_complex_numIdEEEv20rocsparse_direction_iiiiii21rocsparse_index_base_PKT3_PKiS9_S4_PS5_PiSB_
; %bb.0:
	s_clause 0x1
	s_load_b128 s[4:7], s[0:1], 0xc
	s_load_b64 s[12:13], s[0:1], 0x0
	s_bfe_u32 s2, ttmp6, 0x4000c
	s_and_b32 s3, ttmp6, 15
	s_add_co_i32 s2, s2, 1
	s_getreg_b32 s8, hwreg(HW_REG_IB_STS2, 6, 4)
	s_mul_i32 s2, ttmp9, s2
	v_dual_lshrrev_b32 v16, 4, v0 :: v_dual_mov_b32 v4, 0
	s_add_co_i32 s3, s3, s2
	s_cmp_eq_u32 s8, 0
	v_bfe_u32 v1, v0, 1, 3
	s_cselect_b32 s2, ttmp9, s3
	s_clause 0x1
	s_load_b32 s18, s[0:1], 0x1c
	s_load_b64 s[8:9], s[0:1], 0x28
	v_lshl_or_b32 v2, s2, 4, v16
	v_mov_b32_e32 v10, 0
	s_wait_kmcnt 0x0
	s_delay_alu instid0(VALU_DEP_2) | instskip(SKIP_1) | instid1(VALU_DEP_2)
	v_mad_u32 v3, v2, s6, v1
	v_cmp_gt_i32_e32 vcc_lo, s6, v1
	v_cmp_gt_i32_e64 s2, s13, v3
	s_and_b32 s2, vcc_lo, s2
	s_delay_alu instid0(SALU_CYCLE_1)
	s_and_saveexec_b32 s3, s2
	s_cbranch_execz .LBB195_2
; %bb.1:
	global_load_b32 v5, v3, s[8:9] scale_offset
	s_wait_loadcnt 0x0
	v_subrev_nc_u32_e32 v10, s18, v5
.LBB195_2:
	s_or_b32 exec_lo, exec_lo, s3
	v_mov_b32_e32 v17, 0
	s_and_saveexec_b32 s3, s2
	s_cbranch_execz .LBB195_4
; %bb.3:
	global_load_b32 v3, v3, s[8:9] offset:4 scale_offset
	s_wait_loadcnt 0x0
	v_subrev_nc_u32_e32 v17, s18, v3
.LBB195_4:
	s_or_b32 exec_lo, exec_lo, s3
	s_load_b32 s19, s[0:1], 0x38
	s_mov_b32 s3, exec_lo
	v_cmpx_gt_i32_e64 s4, v2
	s_cbranch_execz .LBB195_6
; %bb.5:
	s_load_b64 s[8:9], s[0:1], 0x48
	s_wait_kmcnt 0x0
	global_load_b32 v2, v2, s[8:9] scale_offset
	s_wait_loadcnt 0x0
	v_subrev_nc_u32_e32 v4, s19, v2
.LBB195_6:
	s_or_b32 exec_lo, exec_lo, s3
	s_cmp_lt_i32 s5, 1
	s_cbranch_scc1 .LBB195_21
; %bb.7:
	s_load_b64 s[14:15], s[0:1], 0x40
	v_mbcnt_lo_u32_b32 v5, -1, 0
	v_dual_lshlrev_b32 v7, 5, v1 :: v_dual_bitop2_b32 v6, 1, v0 bitop3:0x40
	v_mul_lo_u32 v2, s7, v1
	s_clause 0x2
	s_load_b64 s[2:3], s[0:1], 0x50
	s_load_b64 s[8:9], s[0:1], 0x20
	s_load_b64 s[10:11], s[0:1], 0x30
	v_dual_mov_b32 v9, 0 :: v_dual_bitop2_b32 v3, 1, v5 bitop3:0x14
	v_mul_lo_u32 v8, s6, v6
	v_and_b32_e32 v0, 0xf0, v0
	v_mov_b32_e32 v26, 1
	s_wait_xcnt 0x0
	v_cmp_gt_i32_e64 s0, 32, v3
	s_mov_b32 s13, 0
	v_lshl_or_b32 v18, v0, 4, v7
	v_dual_cndmask_b32 v11, v5, v3, s0 :: v_dual_ashrrev_i32 v3, 31, v2
	v_cmp_gt_u32_e64 s0, s7, v6
	v_lshlrev_b32_e32 v0, 4, v6
	s_wait_kmcnt 0x0
	v_lshl_add_u64 v[12:13], v[8:9], 4, s[14:15]
	v_dual_mov_b32 v1, v9 :: v_dual_lshlrev_b32 v8, 4, v1
	v_lshl_add_u64 v[2:3], v[2:3], 4, s[14:15]
	s_and_b32 s1, vcc_lo, s0
	s_cmp_eq_u32 s12, 0
	v_lshlrev_b32_e32 v19, 2, v11
	s_cselect_b32 vcc_lo, -1, 0
	s_abs_i32 s4, s7
	v_dual_lshlrev_b32 v11, 2, v5 :: v_dual_bitop2_b32 v21, v18, v0 bitop3:0x54
	v_add_nc_u64_e32 v[12:13], v[12:13], v[8:9]
	v_add_nc_u64_e32 v[2:3], v[2:3], v[0:1]
	v_xor_b32_e32 v8, 2, v5
	v_xor_b32_e32 v7, 4, v5
	;; [unrolled: 1-line block ×3, first 2 shown]
	s_cvt_f32_u32 s0, s4
	s_mov_b32 s12, s6
	s_ashr_i32 s15, s7, 31
	v_dual_cndmask_b32 v13, v13, v3 :: v_dual_cndmask_b32 v12, v12, v2
	v_rcp_iflag_f32_e32 v1, s0
	v_cmp_gt_i32_e64 s0, 32, v0
	v_dual_mov_b32 v2, v9 :: v_dual_bitop2_b32 v20, 4, v11 bitop3:0x54
	v_mov_b32_e32 v3, v9
	s_mov_b32 s14, s7
	v_cndmask_b32_e64 v0, v5, v0, s0
	v_cmp_gt_i32_e64 s0, 32, v7
	v_readfirstlane_b32 s6, v1
	v_or_b32_e32 v25, 60, v11
	s_mul_u64 s[16:17], s[14:15], s[12:13]
	v_cndmask_b32_e64 v1, v5, v7, s0
	v_mov_b32_e32 v7, v9
	v_cmp_gt_i32_e64 s0, 32, v8
	v_dual_lshlrev_b32 v22, 2, v0 :: v_dual_mov_b32 v0, v9
	s_delay_alu instid0(VALU_DEP_4) | instskip(NEXT) | instid1(VALU_DEP_3)
	v_dual_lshlrev_b32 v23, 2, v1 :: v_dual_mov_b32 v1, v9
	v_cndmask_b32_e64 v5, v5, v8, s0
	s_mul_f32 s0, s6, 0x4f7ffffe
	s_sub_co_i32 s6, 0, s4
	s_delay_alu instid0(SALU_CYCLE_2) | instskip(NEXT) | instid1(VALU_DEP_1)
	s_cvt_u32_f32 s0, s0
	v_dual_mov_b32 v5, 0 :: v_dual_lshlrev_b32 v24, 2, v5
	s_delay_alu instid0(SALU_CYCLE_2) | instskip(NEXT) | instid1(SALU_CYCLE_1)
	s_mul_i32 s6, s6, s0
	s_mul_hi_u32 s6, s0, s6
	s_delay_alu instid0(SALU_CYCLE_1)
	s_add_co_i32 s12, s0, s6
	s_mov_b32 s6, s13
	s_branch .LBB195_10
.LBB195_8:                              ;   in Loop: Header=BB195_10 Depth=1
	s_wait_xcnt 0x0
	s_or_b32 exec_lo, exec_lo, s14
	v_mov_b32_e32 v8, 1
.LBB195_9:                              ;   in Loop: Header=BB195_10 Depth=1
	s_or_b32 exec_lo, exec_lo, s0
	ds_bpermute_b32 v5, v22, v27
	s_wait_storecnt_dscnt 0x0
	v_dual_add_nc_u32 v4, v8, v4 :: v_dual_min_i32 v5, v5, v27
	ds_bpermute_b32 v11, v23, v5
	s_wait_dscnt 0x0
	v_min_i32_e32 v5, v11, v5
	ds_bpermute_b32 v11, v24, v5
	s_wait_dscnt 0x0
	v_min_i32_e32 v5, v11, v5
	;; [unrolled: 3-line block ×3, first 2 shown]
	ds_bpermute_b32 v5, v25, v5
	s_wait_dscnt 0x0
	v_cmp_le_i32_e32 vcc_lo, s5, v5
	s_or_b32 s6, vcc_lo, s6
	s_delay_alu instid0(SALU_CYCLE_1)
	s_and_not1_b32 exec_lo, exec_lo, s6
	s_cbranch_execz .LBB195_21
.LBB195_10:                             ; =>This Loop Header: Depth=1
                                        ;     Child Loop BB195_13 Depth 2
	v_dual_mov_b32 v27, s5 :: v_dual_add_nc_u32 v28, v10, v6
	v_mov_b32_e32 v30, v17
	s_mov_b32 s14, exec_lo
	ds_store_b8 v16, v9 offset:4096
	ds_store_b128 v21, v[0:3]
	s_wait_dscnt 0x0
	v_cmpx_lt_i32_e64 v28, v17
	s_cbranch_execz .LBB195_18
; %bb.11:                               ;   in Loop: Header=BB195_10 Depth=1
	v_dual_ashrrev_i32 v11, 31, v10 :: v_dual_mov_b32 v27, s5
	v_mul_lo_u32 v29, v5, s7
	v_mov_b32_e32 v30, v17
	s_mov_b32 s20, 0
	s_delay_alu instid0(VALU_DEP_3) | instskip(NEXT) | instid1(VALU_DEP_1)
	v_add_nc_u64_e32 v[14:15], v[6:7], v[10:11]
	v_lshl_add_u64 v[10:11], v[14:15], 2, s[10:11]
	v_lshl_add_u64 v[14:15], v[14:15], 4, s[8:9]
	s_branch .LBB195_13
.LBB195_12:                             ;   in Loop: Header=BB195_13 Depth=2
	s_wait_xcnt 0x0
	s_or_b32 exec_lo, exec_lo, s0
	v_add_nc_u32_e32 v28, 2, v28
	s_xor_b32 s21, vcc_lo, -1
	v_add_nc_u64_e32 v[10:11], 8, v[10:11]
	v_add_nc_u64_e32 v[14:15], 32, v[14:15]
	s_delay_alu instid0(VALU_DEP_3) | instskip(SKIP_1) | instid1(SALU_CYCLE_1)
	v_cmp_ge_i32_e64 s0, v28, v17
	s_or_b32 s0, s21, s0
	s_and_b32 s0, exec_lo, s0
	s_delay_alu instid0(SALU_CYCLE_1) | instskip(NEXT) | instid1(SALU_CYCLE_1)
	s_or_b32 s20, s0, s20
	s_and_not1_b32 exec_lo, exec_lo, s20
	s_cbranch_execz .LBB195_17
.LBB195_13:                             ;   Parent Loop BB195_10 Depth=1
                                        ; =>  This Inner Loop Header: Depth=2
	global_load_b32 v8, v[10:11], off
	s_wait_loadcnt 0x0
	v_subrev_nc_u32_e32 v31, s18, v8
	s_delay_alu instid0(VALU_DEP_1) | instskip(NEXT) | instid1(VALU_DEP_1)
	v_sub_nc_u32_e32 v8, 0, v31
	v_max_i32_e32 v8, v31, v8
	s_delay_alu instid0(VALU_DEP_1) | instskip(NEXT) | instid1(VALU_DEP_1)
	v_mul_u64_e32 v[32:33], s[12:13], v[8:9]
	v_mul_lo_u32 v32, v33, s4
	s_delay_alu instid0(VALU_DEP_1) | instskip(NEXT) | instid1(VALU_DEP_1)
	v_dual_sub_nc_u32 v8, v8, v32 :: v_dual_add_nc_u32 v32, 1, v33
	v_cmp_le_u32_e32 vcc_lo, s4, v8
	s_delay_alu instid0(VALU_DEP_2) | instskip(SKIP_1) | instid1(VALU_DEP_1)
	v_cndmask_b32_e32 v32, v33, v32, vcc_lo
	v_subrev_nc_u32_e32 v34, s4, v8
	v_dual_cndmask_b32 v8, v8, v34 :: v_dual_ashrrev_i32 v33, 31, v31
	s_delay_alu instid0(VALU_DEP_3) | instskip(NEXT) | instid1(VALU_DEP_2)
	v_add_nc_u32_e32 v34, 1, v32
	v_cmp_le_u32_e32 vcc_lo, s4, v8
	s_delay_alu instid0(VALU_DEP_2) | instskip(NEXT) | instid1(VALU_DEP_1)
	v_dual_cndmask_b32 v8, v32, v34, vcc_lo :: v_dual_bitop2_b32 v33, s15, v33 bitop3:0x14
	v_xor_b32_e32 v8, v8, v33
	s_delay_alu instid0(VALU_DEP_1) | instskip(NEXT) | instid1(VALU_DEP_1)
	v_dual_sub_nc_u32 v32, v8, v33 :: v_dual_mov_b32 v8, v30
	v_cmp_ne_u32_e64 s0, v32, v5
	v_cmp_eq_u32_e32 vcc_lo, v32, v5
	s_wait_xcnt 0x0
	s_and_saveexec_b32 s21, s0
	s_delay_alu instid0(SALU_CYCLE_1)
	s_xor_b32 s0, exec_lo, s21
; %bb.14:                               ;   in Loop: Header=BB195_13 Depth=2
	v_min_i32_e32 v27, v32, v27
                                        ; implicit-def: $vgpr31
                                        ; implicit-def: $vgpr8
; %bb.15:                               ;   in Loop: Header=BB195_13 Depth=2
	s_or_saveexec_b32 s0, s0
	v_mov_b32_e32 v30, v28
	s_xor_b32 exec_lo, exec_lo, s0
	s_cbranch_execz .LBB195_12
; %bb.16:                               ;   in Loop: Header=BB195_13 Depth=2
	global_load_b128 v[32:35], v[14:15], off
	v_sub_nc_u32_e32 v30, v31, v29
	s_delay_alu instid0(VALU_DEP_1)
	v_lshl_add_u32 v31, v30, 4, v18
	v_mov_b32_e32 v30, v8
	ds_store_b8 v16, v26 offset:4096
	s_wait_loadcnt 0x0
	ds_store_2addr_b64 v31, v[32:33], v[34:35] offset1:1
	s_branch .LBB195_12
.LBB195_17:                             ;   in Loop: Header=BB195_10 Depth=1
	s_or_b32 exec_lo, exec_lo, s20
.LBB195_18:                             ;   in Loop: Header=BB195_10 Depth=1
	s_delay_alu instid0(SALU_CYCLE_1)
	s_or_b32 exec_lo, exec_lo, s14
	ds_bpermute_b32 v8, v19, v30
	s_wait_dscnt 0x0
	ds_load_u8 v11, v16 offset:4096
	v_min_i32_e32 v8, v8, v30
	ds_bpermute_b32 v10, v20, v8
	s_wait_dscnt 0x1
	v_and_b32_e32 v8, 1, v11
	s_delay_alu instid0(VALU_DEP_1)
	v_cmp_eq_u32_e32 vcc_lo, 1, v8
	v_mov_b32_e32 v8, 0
	s_and_saveexec_b32 s0, vcc_lo
	s_cbranch_execz .LBB195_9
; %bb.19:                               ;   in Loop: Header=BB195_10 Depth=1
	v_add_nc_u32_e32 v5, s19, v5
	global_store_b32 v4, v5, s[2:3] scale_offset
	s_wait_xcnt 0x0
	s_and_saveexec_b32 s14, s1
	s_cbranch_execz .LBB195_8
; %bb.20:                               ;   in Loop: Header=BB195_10 Depth=1
	v_ashrrev_i32_e32 v5, 31, v4
	ds_load_2addr_b64 v[28:31], v21 offset1:1
	v_mul_u64_e32 v[14:15], s[16:17], v[4:5]
	s_delay_alu instid0(VALU_DEP_1)
	v_lshl_add_u64 v[14:15], v[14:15], 4, v[12:13]
	s_wait_dscnt 0x0
	global_store_b128 v[14:15], v[28:31], off
	s_branch .LBB195_8
.LBB195_21:
	s_endpgm
	.section	.rodata,"a",@progbits
	.p2align	6, 0x0
	.amdhsa_kernel _ZN9rocsparseL44csr2gebsr_wavefront_per_row_multipass_kernelILi256ELi8ELi2ELi16E21rocsparse_complex_numIdEEEv20rocsparse_direction_iiiiii21rocsparse_index_base_PKT3_PKiS9_S4_PS5_PiSB_
		.amdhsa_group_segment_fixed_size 4112
		.amdhsa_private_segment_fixed_size 0
		.amdhsa_kernarg_size 88
		.amdhsa_user_sgpr_count 2
		.amdhsa_user_sgpr_dispatch_ptr 0
		.amdhsa_user_sgpr_queue_ptr 0
		.amdhsa_user_sgpr_kernarg_segment_ptr 1
		.amdhsa_user_sgpr_dispatch_id 0
		.amdhsa_user_sgpr_kernarg_preload_length 0
		.amdhsa_user_sgpr_kernarg_preload_offset 0
		.amdhsa_user_sgpr_private_segment_size 0
		.amdhsa_wavefront_size32 1
		.amdhsa_uses_dynamic_stack 0
		.amdhsa_enable_private_segment 0
		.amdhsa_system_sgpr_workgroup_id_x 1
		.amdhsa_system_sgpr_workgroup_id_y 0
		.amdhsa_system_sgpr_workgroup_id_z 0
		.amdhsa_system_sgpr_workgroup_info 0
		.amdhsa_system_vgpr_workitem_id 0
		.amdhsa_next_free_vgpr 36
		.amdhsa_next_free_sgpr 22
		.amdhsa_named_barrier_count 0
		.amdhsa_reserve_vcc 1
		.amdhsa_float_round_mode_32 0
		.amdhsa_float_round_mode_16_64 0
		.amdhsa_float_denorm_mode_32 3
		.amdhsa_float_denorm_mode_16_64 3
		.amdhsa_fp16_overflow 0
		.amdhsa_memory_ordered 1
		.amdhsa_forward_progress 1
		.amdhsa_inst_pref_size 11
		.amdhsa_round_robin_scheduling 0
		.amdhsa_exception_fp_ieee_invalid_op 0
		.amdhsa_exception_fp_denorm_src 0
		.amdhsa_exception_fp_ieee_div_zero 0
		.amdhsa_exception_fp_ieee_overflow 0
		.amdhsa_exception_fp_ieee_underflow 0
		.amdhsa_exception_fp_ieee_inexact 0
		.amdhsa_exception_int_div_zero 0
	.end_amdhsa_kernel
	.section	.text._ZN9rocsparseL44csr2gebsr_wavefront_per_row_multipass_kernelILi256ELi8ELi2ELi16E21rocsparse_complex_numIdEEEv20rocsparse_direction_iiiiii21rocsparse_index_base_PKT3_PKiS9_S4_PS5_PiSB_,"axG",@progbits,_ZN9rocsparseL44csr2gebsr_wavefront_per_row_multipass_kernelILi256ELi8ELi2ELi16E21rocsparse_complex_numIdEEEv20rocsparse_direction_iiiiii21rocsparse_index_base_PKT3_PKiS9_S4_PS5_PiSB_,comdat
.Lfunc_end195:
	.size	_ZN9rocsparseL44csr2gebsr_wavefront_per_row_multipass_kernelILi256ELi8ELi2ELi16E21rocsparse_complex_numIdEEEv20rocsparse_direction_iiiiii21rocsparse_index_base_PKT3_PKiS9_S4_PS5_PiSB_, .Lfunc_end195-_ZN9rocsparseL44csr2gebsr_wavefront_per_row_multipass_kernelILi256ELi8ELi2ELi16E21rocsparse_complex_numIdEEEv20rocsparse_direction_iiiiii21rocsparse_index_base_PKT3_PKiS9_S4_PS5_PiSB_
                                        ; -- End function
	.set _ZN9rocsparseL44csr2gebsr_wavefront_per_row_multipass_kernelILi256ELi8ELi2ELi16E21rocsparse_complex_numIdEEEv20rocsparse_direction_iiiiii21rocsparse_index_base_PKT3_PKiS9_S4_PS5_PiSB_.num_vgpr, 36
	.set _ZN9rocsparseL44csr2gebsr_wavefront_per_row_multipass_kernelILi256ELi8ELi2ELi16E21rocsparse_complex_numIdEEEv20rocsparse_direction_iiiiii21rocsparse_index_base_PKT3_PKiS9_S4_PS5_PiSB_.num_agpr, 0
	.set _ZN9rocsparseL44csr2gebsr_wavefront_per_row_multipass_kernelILi256ELi8ELi2ELi16E21rocsparse_complex_numIdEEEv20rocsparse_direction_iiiiii21rocsparse_index_base_PKT3_PKiS9_S4_PS5_PiSB_.numbered_sgpr, 22
	.set _ZN9rocsparseL44csr2gebsr_wavefront_per_row_multipass_kernelILi256ELi8ELi2ELi16E21rocsparse_complex_numIdEEEv20rocsparse_direction_iiiiii21rocsparse_index_base_PKT3_PKiS9_S4_PS5_PiSB_.num_named_barrier, 0
	.set _ZN9rocsparseL44csr2gebsr_wavefront_per_row_multipass_kernelILi256ELi8ELi2ELi16E21rocsparse_complex_numIdEEEv20rocsparse_direction_iiiiii21rocsparse_index_base_PKT3_PKiS9_S4_PS5_PiSB_.private_seg_size, 0
	.set _ZN9rocsparseL44csr2gebsr_wavefront_per_row_multipass_kernelILi256ELi8ELi2ELi16E21rocsparse_complex_numIdEEEv20rocsparse_direction_iiiiii21rocsparse_index_base_PKT3_PKiS9_S4_PS5_PiSB_.uses_vcc, 1
	.set _ZN9rocsparseL44csr2gebsr_wavefront_per_row_multipass_kernelILi256ELi8ELi2ELi16E21rocsparse_complex_numIdEEEv20rocsparse_direction_iiiiii21rocsparse_index_base_PKT3_PKiS9_S4_PS5_PiSB_.uses_flat_scratch, 0
	.set _ZN9rocsparseL44csr2gebsr_wavefront_per_row_multipass_kernelILi256ELi8ELi2ELi16E21rocsparse_complex_numIdEEEv20rocsparse_direction_iiiiii21rocsparse_index_base_PKT3_PKiS9_S4_PS5_PiSB_.has_dyn_sized_stack, 0
	.set _ZN9rocsparseL44csr2gebsr_wavefront_per_row_multipass_kernelILi256ELi8ELi2ELi16E21rocsparse_complex_numIdEEEv20rocsparse_direction_iiiiii21rocsparse_index_base_PKT3_PKiS9_S4_PS5_PiSB_.has_recursion, 0
	.set _ZN9rocsparseL44csr2gebsr_wavefront_per_row_multipass_kernelILi256ELi8ELi2ELi16E21rocsparse_complex_numIdEEEv20rocsparse_direction_iiiiii21rocsparse_index_base_PKT3_PKiS9_S4_PS5_PiSB_.has_indirect_call, 0
	.section	.AMDGPU.csdata,"",@progbits
; Kernel info:
; codeLenInByte = 1372
; TotalNumSgprs: 24
; NumVgprs: 36
; ScratchSize: 0
; MemoryBound: 0
; FloatMode: 240
; IeeeMode: 1
; LDSByteSize: 4112 bytes/workgroup (compile time only)
; SGPRBlocks: 0
; VGPRBlocks: 2
; NumSGPRsForWavesPerEU: 24
; NumVGPRsForWavesPerEU: 36
; NamedBarCnt: 0
; Occupancy: 16
; WaveLimiterHint : 0
; COMPUTE_PGM_RSRC2:SCRATCH_EN: 0
; COMPUTE_PGM_RSRC2:USER_SGPR: 2
; COMPUTE_PGM_RSRC2:TRAP_HANDLER: 0
; COMPUTE_PGM_RSRC2:TGID_X_EN: 1
; COMPUTE_PGM_RSRC2:TGID_Y_EN: 0
; COMPUTE_PGM_RSRC2:TGID_Z_EN: 0
; COMPUTE_PGM_RSRC2:TIDIG_COMP_CNT: 0
	.section	.text._ZN9rocsparseL44csr2gebsr_wavefront_per_row_multipass_kernelILi256ELi8ELi4ELi32E21rocsparse_complex_numIdEEEv20rocsparse_direction_iiiiii21rocsparse_index_base_PKT3_PKiS9_S4_PS5_PiSB_,"axG",@progbits,_ZN9rocsparseL44csr2gebsr_wavefront_per_row_multipass_kernelILi256ELi8ELi4ELi32E21rocsparse_complex_numIdEEEv20rocsparse_direction_iiiiii21rocsparse_index_base_PKT3_PKiS9_S4_PS5_PiSB_,comdat
	.globl	_ZN9rocsparseL44csr2gebsr_wavefront_per_row_multipass_kernelILi256ELi8ELi4ELi32E21rocsparse_complex_numIdEEEv20rocsparse_direction_iiiiii21rocsparse_index_base_PKT3_PKiS9_S4_PS5_PiSB_ ; -- Begin function _ZN9rocsparseL44csr2gebsr_wavefront_per_row_multipass_kernelILi256ELi8ELi4ELi32E21rocsparse_complex_numIdEEEv20rocsparse_direction_iiiiii21rocsparse_index_base_PKT3_PKiS9_S4_PS5_PiSB_
	.p2align	8
	.type	_ZN9rocsparseL44csr2gebsr_wavefront_per_row_multipass_kernelILi256ELi8ELi4ELi32E21rocsparse_complex_numIdEEEv20rocsparse_direction_iiiiii21rocsparse_index_base_PKT3_PKiS9_S4_PS5_PiSB_,@function
_ZN9rocsparseL44csr2gebsr_wavefront_per_row_multipass_kernelILi256ELi8ELi4ELi32E21rocsparse_complex_numIdEEEv20rocsparse_direction_iiiiii21rocsparse_index_base_PKT3_PKiS9_S4_PS5_PiSB_: ; @_ZN9rocsparseL44csr2gebsr_wavefront_per_row_multipass_kernelILi256ELi8ELi4ELi32E21rocsparse_complex_numIdEEEv20rocsparse_direction_iiiiii21rocsparse_index_base_PKT3_PKiS9_S4_PS5_PiSB_
; %bb.0:
	s_clause 0x1
	s_load_b128 s[4:7], s[0:1], 0xc
	s_load_b64 s[12:13], s[0:1], 0x0
	s_bfe_u32 s2, ttmp6, 0x4000c
	s_and_b32 s3, ttmp6, 15
	s_add_co_i32 s2, s2, 1
	s_getreg_b32 s8, hwreg(HW_REG_IB_STS2, 6, 4)
	s_mul_i32 s2, ttmp9, s2
	v_dual_lshrrev_b32 v16, 5, v0 :: v_dual_mov_b32 v4, 0
	s_add_co_i32 s3, s3, s2
	s_cmp_eq_u32 s8, 0
	v_bfe_u32 v1, v0, 2, 3
	s_cselect_b32 s2, ttmp9, s3
	s_clause 0x1
	s_load_b32 s18, s[0:1], 0x1c
	s_load_b64 s[8:9], s[0:1], 0x28
	v_lshl_or_b32 v2, s2, 3, v16
	v_mov_b32_e32 v10, 0
	s_wait_kmcnt 0x0
	s_delay_alu instid0(VALU_DEP_2) | instskip(SKIP_1) | instid1(VALU_DEP_2)
	v_mad_u32 v3, v2, s6, v1
	v_cmp_gt_i32_e32 vcc_lo, s6, v1
	v_cmp_gt_i32_e64 s2, s13, v3
	s_and_b32 s2, vcc_lo, s2
	s_delay_alu instid0(SALU_CYCLE_1)
	s_and_saveexec_b32 s3, s2
	s_cbranch_execz .LBB196_2
; %bb.1:
	global_load_b32 v5, v3, s[8:9] scale_offset
	s_wait_loadcnt 0x0
	v_subrev_nc_u32_e32 v10, s18, v5
.LBB196_2:
	s_or_b32 exec_lo, exec_lo, s3
	v_mov_b32_e32 v17, 0
	s_and_saveexec_b32 s3, s2
	s_cbranch_execz .LBB196_4
; %bb.3:
	global_load_b32 v3, v3, s[8:9] offset:4 scale_offset
	s_wait_loadcnt 0x0
	v_subrev_nc_u32_e32 v17, s18, v3
.LBB196_4:
	s_or_b32 exec_lo, exec_lo, s3
	s_load_b32 s19, s[0:1], 0x38
	s_mov_b32 s3, exec_lo
	v_cmpx_gt_i32_e64 s4, v2
	s_cbranch_execz .LBB196_6
; %bb.5:
	s_load_b64 s[8:9], s[0:1], 0x48
	s_wait_kmcnt 0x0
	global_load_b32 v2, v2, s[8:9] scale_offset
	s_wait_loadcnt 0x0
	v_subrev_nc_u32_e32 v4, s19, v2
.LBB196_6:
	s_or_b32 exec_lo, exec_lo, s3
	s_cmp_lt_i32 s5, 1
	s_cbranch_scc1 .LBB196_21
; %bb.7:
	v_mbcnt_lo_u32_b32 v5, -1, 0
	s_clause 0x3
	s_load_b64 s[2:3], s[0:1], 0x50
	s_load_b64 s[14:15], s[0:1], 0x40
	;; [unrolled: 1-line block ×4, first 2 shown]
	v_dual_lshlrev_b32 v7, 6, v1 :: v_dual_bitop2_b32 v6, 3, v0 bitop3:0x40
	v_mul_lo_u32 v2, s7, v1
	v_dual_mov_b32 v9, 0 :: v_dual_bitop2_b32 v3, 2, v5 bitop3:0x14
	s_delay_alu instid0(VALU_DEP_3)
	v_mul_lo_u32 v8, s6, v6
	v_and_b32_e32 v0, 0xe0, v0
	v_lshl_or_b32 v21, v5, 2, 12
	s_wait_xcnt 0x0
	v_cmp_gt_i32_e64 s0, 32, v3
	s_mov_b32 s13, 0
	v_xor_b32_e32 v11, 1, v5
	v_lshl_or_b32 v18, v0, 4, v7
	v_dual_lshlrev_b32 v0, 4, v6 :: v_dual_cndmask_b32 v3, v5, v3, s0
	v_mov_b32_e32 v27, 1
	s_delay_alu instid0(VALU_DEP_4) | instskip(SKIP_3) | instid1(VALU_DEP_3)
	v_cmp_gt_i32_e64 s0, 32, v11
	s_wait_kmcnt 0x0
	v_lshl_add_u64 v[12:13], v[8:9], 4, s[14:15]
	v_dual_lshlrev_b32 v19, 2, v3 :: v_dual_ashrrev_i32 v3, 31, v2
	v_cndmask_b32_e64 v7, v5, v11, s0
	v_cmp_gt_u32_e64 s0, s7, v6
	v_dual_mov_b32 v1, v9 :: v_dual_lshlrev_b32 v8, 4, v1
	s_delay_alu instid0(VALU_DEP_4) | instskip(NEXT) | instid1(VALU_DEP_4)
	v_lshl_add_u64 v[2:3], v[2:3], 4, s[14:15]
	v_dual_lshlrev_b32 v20, 2, v7 :: v_dual_bitop2_b32 v22, v18, v0 bitop3:0x54
	s_and_b32 s1, vcc_lo, s0
	s_cmp_eq_u32 s12, 0
	s_delay_alu instid0(VALU_DEP_2)
	v_add_nc_u64_e32 v[2:3], v[2:3], v[0:1]
	s_cselect_b32 vcc_lo, -1, 0
	s_abs_i32 s4, s7
	v_xor_b32_e32 v7, 8, v5
	v_xor_b32_e32 v0, 16, v5
	s_cvt_f32_u32 s0, s4
	v_add_nc_u64_e32 v[12:13], v[12:13], v[8:9]
	v_xor_b32_e32 v8, 4, v5
	s_mov_b32 s12, s6
	v_rcp_iflag_f32_e32 v1, s0
	v_cmp_gt_i32_e64 s0, 32, v0
	v_mov_b32_e32 v26, 0x7c
	s_ashr_i32 s15, s7, 31
	v_dual_cndmask_b32 v13, v13, v3 :: v_dual_cndmask_b32 v12, v12, v2
	v_cndmask_b32_e64 v0, v5, v0, s0
	v_cmp_gt_i32_e64 s0, 32, v7
	v_readfirstlane_b32 s6, v1
	v_mov_b32_e32 v3, v9
	s_mov_b32 s14, s7
	v_mov_b32_e32 v2, v9
	v_cndmask_b32_e64 v1, v5, v7, s0
	v_mov_b32_e32 v7, v9
	v_cmp_gt_i32_e64 s0, 32, v8
	s_mul_u64 s[16:17], s[14:15], s[12:13]
	v_dual_mov_b32 v1, v9 :: v_dual_lshlrev_b32 v24, 2, v1
	v_cndmask_b32_e64 v5, v5, v8, s0
	s_mul_f32 s0, s6, 0x4f7ffffe
	s_sub_co_i32 s6, 0, s4
	v_dual_mov_b32 v0, v9 :: v_dual_lshlrev_b32 v23, 2, v0
	s_delay_alu instid0(SALU_CYCLE_1) | instskip(SKIP_1) | instid1(SALU_CYCLE_2)
	s_cvt_u32_f32 s0, s0
	v_dual_lshlrev_b32 v25, 2, v5 :: v_dual_mov_b32 v5, 0
	s_mul_i32 s6, s6, s0
	s_delay_alu instid0(SALU_CYCLE_1) | instskip(NEXT) | instid1(SALU_CYCLE_1)
	s_mul_hi_u32 s6, s0, s6
	s_add_co_i32 s12, s0, s6
	s_mov_b32 s6, s13
	s_branch .LBB196_10
.LBB196_8:                              ;   in Loop: Header=BB196_10 Depth=1
	s_wait_xcnt 0x0
	s_or_b32 exec_lo, exec_lo, s14
	v_mov_b32_e32 v8, 1
.LBB196_9:                              ;   in Loop: Header=BB196_10 Depth=1
	s_or_b32 exec_lo, exec_lo, s0
	ds_bpermute_b32 v5, v23, v28
	s_wait_storecnt_dscnt 0x0
	v_add_nc_u32_e32 v4, v8, v4
	v_min_i32_e32 v5, v5, v28
	ds_bpermute_b32 v11, v24, v5
	s_wait_dscnt 0x0
	v_min_i32_e32 v5, v11, v5
	ds_bpermute_b32 v11, v25, v5
	s_wait_dscnt 0x0
	;; [unrolled: 3-line block ×5, first 2 shown]
	v_cmp_le_i32_e32 vcc_lo, s5, v5
	s_or_b32 s6, vcc_lo, s6
	s_delay_alu instid0(SALU_CYCLE_1)
	s_and_not1_b32 exec_lo, exec_lo, s6
	s_cbranch_execz .LBB196_21
.LBB196_10:                             ; =>This Loop Header: Depth=1
                                        ;     Child Loop BB196_13 Depth 2
	v_dual_mov_b32 v28, s5 :: v_dual_add_nc_u32 v29, v10, v6
	v_mov_b32_e32 v31, v17
	s_mov_b32 s14, exec_lo
	ds_store_b8 v16, v9 offset:4096
	ds_store_b128 v22, v[0:3]
	s_wait_dscnt 0x0
	v_cmpx_lt_i32_e64 v29, v17
	s_cbranch_execz .LBB196_18
; %bb.11:                               ;   in Loop: Header=BB196_10 Depth=1
	v_dual_mov_b32 v28, s5 :: v_dual_ashrrev_i32 v11, 31, v10
	v_mul_lo_u32 v30, v5, s7
	v_mov_b32_e32 v31, v17
	s_mov_b32 s20, 0
	s_delay_alu instid0(VALU_DEP_3) | instskip(NEXT) | instid1(VALU_DEP_1)
	v_add_nc_u64_e32 v[14:15], v[6:7], v[10:11]
	v_lshl_add_u64 v[10:11], v[14:15], 2, s[10:11]
	v_lshl_add_u64 v[14:15], v[14:15], 4, s[8:9]
	s_branch .LBB196_13
.LBB196_12:                             ;   in Loop: Header=BB196_13 Depth=2
	s_wait_xcnt 0x0
	s_or_b32 exec_lo, exec_lo, s0
	v_add_nc_u32_e32 v29, 4, v29
	s_xor_b32 s21, vcc_lo, -1
	v_add_nc_u64_e32 v[10:11], 16, v[10:11]
	v_add_nc_u64_e32 v[14:15], 64, v[14:15]
	s_delay_alu instid0(VALU_DEP_3) | instskip(SKIP_1) | instid1(SALU_CYCLE_1)
	v_cmp_ge_i32_e64 s0, v29, v17
	s_or_b32 s0, s21, s0
	s_and_b32 s0, exec_lo, s0
	s_delay_alu instid0(SALU_CYCLE_1) | instskip(NEXT) | instid1(SALU_CYCLE_1)
	s_or_b32 s20, s0, s20
	s_and_not1_b32 exec_lo, exec_lo, s20
	s_cbranch_execz .LBB196_17
.LBB196_13:                             ;   Parent Loop BB196_10 Depth=1
                                        ; =>  This Inner Loop Header: Depth=2
	global_load_b32 v8, v[10:11], off
	s_wait_loadcnt 0x0
	v_subrev_nc_u32_e32 v32, s18, v8
	s_delay_alu instid0(VALU_DEP_1) | instskip(NEXT) | instid1(VALU_DEP_1)
	v_sub_nc_u32_e32 v8, 0, v32
	v_max_i32_e32 v8, v32, v8
	s_delay_alu instid0(VALU_DEP_1) | instskip(NEXT) | instid1(VALU_DEP_1)
	v_mul_u64_e32 v[34:35], s[12:13], v[8:9]
	v_mul_lo_u32 v33, v35, s4
	s_delay_alu instid0(VALU_DEP_1) | instskip(NEXT) | instid1(VALU_DEP_1)
	v_dual_sub_nc_u32 v8, v8, v33 :: v_dual_add_nc_u32 v33, 1, v35
	v_cmp_le_u32_e32 vcc_lo, s4, v8
	s_delay_alu instid0(VALU_DEP_2) | instskip(SKIP_1) | instid1(VALU_DEP_1)
	v_dual_cndmask_b32 v33, v35, v33, vcc_lo :: v_dual_ashrrev_i32 v35, 31, v32
	v_subrev_nc_u32_e32 v34, s4, v8
	v_dual_cndmask_b32 v8, v8, v34, vcc_lo :: v_dual_add_nc_u32 v34, 1, v33
	s_delay_alu instid0(VALU_DEP_1) | instskip(NEXT) | instid1(VALU_DEP_2)
	v_cmp_le_u32_e32 vcc_lo, s4, v8
	v_dual_cndmask_b32 v8, v33, v34, vcc_lo :: v_dual_bitop2_b32 v35, s15, v35 bitop3:0x14
	s_delay_alu instid0(VALU_DEP_1) | instskip(NEXT) | instid1(VALU_DEP_1)
	v_xor_b32_e32 v8, v8, v35
	v_dual_mov_b32 v8, v31 :: v_dual_sub_nc_u32 v33, v8, v35
	s_delay_alu instid0(VALU_DEP_1) | instskip(SKIP_3) | instid1(SALU_CYCLE_1)
	v_cmp_ne_u32_e64 s0, v33, v5
	v_cmp_eq_u32_e32 vcc_lo, v33, v5
	s_wait_xcnt 0x0
	s_and_saveexec_b32 s21, s0
	s_xor_b32 s0, exec_lo, s21
; %bb.14:                               ;   in Loop: Header=BB196_13 Depth=2
	v_min_i32_e32 v28, v33, v28
                                        ; implicit-def: $vgpr32
                                        ; implicit-def: $vgpr8
; %bb.15:                               ;   in Loop: Header=BB196_13 Depth=2
	s_or_saveexec_b32 s0, s0
	v_mov_b32_e32 v31, v29
	s_xor_b32 exec_lo, exec_lo, s0
	s_cbranch_execz .LBB196_12
; %bb.16:                               ;   in Loop: Header=BB196_13 Depth=2
	global_load_b128 v[34:37], v[14:15], off
	v_sub_nc_u32_e32 v31, v32, v30
	s_delay_alu instid0(VALU_DEP_1)
	v_lshl_add_u32 v32, v31, 4, v18
	v_mov_b32_e32 v31, v8
	ds_store_b8 v16, v27 offset:4096
	s_wait_loadcnt 0x0
	ds_store_2addr_b64 v32, v[34:35], v[36:37] offset1:1
	s_branch .LBB196_12
.LBB196_17:                             ;   in Loop: Header=BB196_10 Depth=1
	s_or_b32 exec_lo, exec_lo, s20
.LBB196_18:                             ;   in Loop: Header=BB196_10 Depth=1
	s_delay_alu instid0(SALU_CYCLE_1)
	s_or_b32 exec_lo, exec_lo, s14
	ds_bpermute_b32 v8, v19, v31
	s_wait_dscnt 0x0
	ds_load_u8 v11, v16 offset:4096
	v_min_i32_e32 v8, v8, v31
	ds_bpermute_b32 v10, v20, v8
	s_wait_dscnt 0x0
	v_min_i32_e32 v8, v10, v8
	ds_bpermute_b32 v10, v21, v8
	v_and_b32_e32 v8, 1, v11
	s_delay_alu instid0(VALU_DEP_1)
	v_cmp_eq_u32_e32 vcc_lo, 1, v8
	v_mov_b32_e32 v8, 0
	s_and_saveexec_b32 s0, vcc_lo
	s_cbranch_execz .LBB196_9
; %bb.19:                               ;   in Loop: Header=BB196_10 Depth=1
	v_add_nc_u32_e32 v5, s19, v5
	global_store_b32 v4, v5, s[2:3] scale_offset
	s_wait_xcnt 0x0
	s_and_saveexec_b32 s14, s1
	s_cbranch_execz .LBB196_8
; %bb.20:                               ;   in Loop: Header=BB196_10 Depth=1
	v_ashrrev_i32_e32 v5, 31, v4
	ds_load_2addr_b64 v[30:33], v22 offset1:1
	v_mul_u64_e32 v[14:15], s[16:17], v[4:5]
	s_delay_alu instid0(VALU_DEP_1)
	v_lshl_add_u64 v[14:15], v[14:15], 4, v[12:13]
	s_wait_dscnt 0x0
	global_store_b128 v[14:15], v[30:33], off
	s_branch .LBB196_8
.LBB196_21:
	s_endpgm
	.section	.rodata,"a",@progbits
	.p2align	6, 0x0
	.amdhsa_kernel _ZN9rocsparseL44csr2gebsr_wavefront_per_row_multipass_kernelILi256ELi8ELi4ELi32E21rocsparse_complex_numIdEEEv20rocsparse_direction_iiiiii21rocsparse_index_base_PKT3_PKiS9_S4_PS5_PiSB_
		.amdhsa_group_segment_fixed_size 4104
		.amdhsa_private_segment_fixed_size 0
		.amdhsa_kernarg_size 88
		.amdhsa_user_sgpr_count 2
		.amdhsa_user_sgpr_dispatch_ptr 0
		.amdhsa_user_sgpr_queue_ptr 0
		.amdhsa_user_sgpr_kernarg_segment_ptr 1
		.amdhsa_user_sgpr_dispatch_id 0
		.amdhsa_user_sgpr_kernarg_preload_length 0
		.amdhsa_user_sgpr_kernarg_preload_offset 0
		.amdhsa_user_sgpr_private_segment_size 0
		.amdhsa_wavefront_size32 1
		.amdhsa_uses_dynamic_stack 0
		.amdhsa_enable_private_segment 0
		.amdhsa_system_sgpr_workgroup_id_x 1
		.amdhsa_system_sgpr_workgroup_id_y 0
		.amdhsa_system_sgpr_workgroup_id_z 0
		.amdhsa_system_sgpr_workgroup_info 0
		.amdhsa_system_vgpr_workitem_id 0
		.amdhsa_next_free_vgpr 38
		.amdhsa_next_free_sgpr 22
		.amdhsa_named_barrier_count 0
		.amdhsa_reserve_vcc 1
		.amdhsa_float_round_mode_32 0
		.amdhsa_float_round_mode_16_64 0
		.amdhsa_float_denorm_mode_32 3
		.amdhsa_float_denorm_mode_16_64 3
		.amdhsa_fp16_overflow 0
		.amdhsa_memory_ordered 1
		.amdhsa_forward_progress 1
		.amdhsa_inst_pref_size 12
		.amdhsa_round_robin_scheduling 0
		.amdhsa_exception_fp_ieee_invalid_op 0
		.amdhsa_exception_fp_denorm_src 0
		.amdhsa_exception_fp_ieee_div_zero 0
		.amdhsa_exception_fp_ieee_overflow 0
		.amdhsa_exception_fp_ieee_underflow 0
		.amdhsa_exception_fp_ieee_inexact 0
		.amdhsa_exception_int_div_zero 0
	.end_amdhsa_kernel
	.section	.text._ZN9rocsparseL44csr2gebsr_wavefront_per_row_multipass_kernelILi256ELi8ELi4ELi32E21rocsparse_complex_numIdEEEv20rocsparse_direction_iiiiii21rocsparse_index_base_PKT3_PKiS9_S4_PS5_PiSB_,"axG",@progbits,_ZN9rocsparseL44csr2gebsr_wavefront_per_row_multipass_kernelILi256ELi8ELi4ELi32E21rocsparse_complex_numIdEEEv20rocsparse_direction_iiiiii21rocsparse_index_base_PKT3_PKiS9_S4_PS5_PiSB_,comdat
.Lfunc_end196:
	.size	_ZN9rocsparseL44csr2gebsr_wavefront_per_row_multipass_kernelILi256ELi8ELi4ELi32E21rocsparse_complex_numIdEEEv20rocsparse_direction_iiiiii21rocsparse_index_base_PKT3_PKiS9_S4_PS5_PiSB_, .Lfunc_end196-_ZN9rocsparseL44csr2gebsr_wavefront_per_row_multipass_kernelILi256ELi8ELi4ELi32E21rocsparse_complex_numIdEEEv20rocsparse_direction_iiiiii21rocsparse_index_base_PKT3_PKiS9_S4_PS5_PiSB_
                                        ; -- End function
	.set _ZN9rocsparseL44csr2gebsr_wavefront_per_row_multipass_kernelILi256ELi8ELi4ELi32E21rocsparse_complex_numIdEEEv20rocsparse_direction_iiiiii21rocsparse_index_base_PKT3_PKiS9_S4_PS5_PiSB_.num_vgpr, 38
	.set _ZN9rocsparseL44csr2gebsr_wavefront_per_row_multipass_kernelILi256ELi8ELi4ELi32E21rocsparse_complex_numIdEEEv20rocsparse_direction_iiiiii21rocsparse_index_base_PKT3_PKiS9_S4_PS5_PiSB_.num_agpr, 0
	.set _ZN9rocsparseL44csr2gebsr_wavefront_per_row_multipass_kernelILi256ELi8ELi4ELi32E21rocsparse_complex_numIdEEEv20rocsparse_direction_iiiiii21rocsparse_index_base_PKT3_PKiS9_S4_PS5_PiSB_.numbered_sgpr, 22
	.set _ZN9rocsparseL44csr2gebsr_wavefront_per_row_multipass_kernelILi256ELi8ELi4ELi32E21rocsparse_complex_numIdEEEv20rocsparse_direction_iiiiii21rocsparse_index_base_PKT3_PKiS9_S4_PS5_PiSB_.num_named_barrier, 0
	.set _ZN9rocsparseL44csr2gebsr_wavefront_per_row_multipass_kernelILi256ELi8ELi4ELi32E21rocsparse_complex_numIdEEEv20rocsparse_direction_iiiiii21rocsparse_index_base_PKT3_PKiS9_S4_PS5_PiSB_.private_seg_size, 0
	.set _ZN9rocsparseL44csr2gebsr_wavefront_per_row_multipass_kernelILi256ELi8ELi4ELi32E21rocsparse_complex_numIdEEEv20rocsparse_direction_iiiiii21rocsparse_index_base_PKT3_PKiS9_S4_PS5_PiSB_.uses_vcc, 1
	.set _ZN9rocsparseL44csr2gebsr_wavefront_per_row_multipass_kernelILi256ELi8ELi4ELi32E21rocsparse_complex_numIdEEEv20rocsparse_direction_iiiiii21rocsparse_index_base_PKT3_PKiS9_S4_PS5_PiSB_.uses_flat_scratch, 0
	.set _ZN9rocsparseL44csr2gebsr_wavefront_per_row_multipass_kernelILi256ELi8ELi4ELi32E21rocsparse_complex_numIdEEEv20rocsparse_direction_iiiiii21rocsparse_index_base_PKT3_PKiS9_S4_PS5_PiSB_.has_dyn_sized_stack, 0
	.set _ZN9rocsparseL44csr2gebsr_wavefront_per_row_multipass_kernelILi256ELi8ELi4ELi32E21rocsparse_complex_numIdEEEv20rocsparse_direction_iiiiii21rocsparse_index_base_PKT3_PKiS9_S4_PS5_PiSB_.has_recursion, 0
	.set _ZN9rocsparseL44csr2gebsr_wavefront_per_row_multipass_kernelILi256ELi8ELi4ELi32E21rocsparse_complex_numIdEEEv20rocsparse_direction_iiiiii21rocsparse_index_base_PKT3_PKiS9_S4_PS5_PiSB_.has_indirect_call, 0
	.section	.AMDGPU.csdata,"",@progbits
; Kernel info:
; codeLenInByte = 1424
; TotalNumSgprs: 24
; NumVgprs: 38
; ScratchSize: 0
; MemoryBound: 0
; FloatMode: 240
; IeeeMode: 1
; LDSByteSize: 4104 bytes/workgroup (compile time only)
; SGPRBlocks: 0
; VGPRBlocks: 2
; NumSGPRsForWavesPerEU: 24
; NumVGPRsForWavesPerEU: 38
; NamedBarCnt: 0
; Occupancy: 16
; WaveLimiterHint : 0
; COMPUTE_PGM_RSRC2:SCRATCH_EN: 0
; COMPUTE_PGM_RSRC2:USER_SGPR: 2
; COMPUTE_PGM_RSRC2:TRAP_HANDLER: 0
; COMPUTE_PGM_RSRC2:TGID_X_EN: 1
; COMPUTE_PGM_RSRC2:TGID_Y_EN: 0
; COMPUTE_PGM_RSRC2:TGID_Z_EN: 0
; COMPUTE_PGM_RSRC2:TIDIG_COMP_CNT: 0
	.section	.text._ZN9rocsparseL44csr2gebsr_wavefront_per_row_multipass_kernelILi256ELi8ELi8ELi64E21rocsparse_complex_numIdEEEv20rocsparse_direction_iiiiii21rocsparse_index_base_PKT3_PKiS9_S4_PS5_PiSB_,"axG",@progbits,_ZN9rocsparseL44csr2gebsr_wavefront_per_row_multipass_kernelILi256ELi8ELi8ELi64E21rocsparse_complex_numIdEEEv20rocsparse_direction_iiiiii21rocsparse_index_base_PKT3_PKiS9_S4_PS5_PiSB_,comdat
	.globl	_ZN9rocsparseL44csr2gebsr_wavefront_per_row_multipass_kernelILi256ELi8ELi8ELi64E21rocsparse_complex_numIdEEEv20rocsparse_direction_iiiiii21rocsparse_index_base_PKT3_PKiS9_S4_PS5_PiSB_ ; -- Begin function _ZN9rocsparseL44csr2gebsr_wavefront_per_row_multipass_kernelILi256ELi8ELi8ELi64E21rocsparse_complex_numIdEEEv20rocsparse_direction_iiiiii21rocsparse_index_base_PKT3_PKiS9_S4_PS5_PiSB_
	.p2align	8
	.type	_ZN9rocsparseL44csr2gebsr_wavefront_per_row_multipass_kernelILi256ELi8ELi8ELi64E21rocsparse_complex_numIdEEEv20rocsparse_direction_iiiiii21rocsparse_index_base_PKT3_PKiS9_S4_PS5_PiSB_,@function
_ZN9rocsparseL44csr2gebsr_wavefront_per_row_multipass_kernelILi256ELi8ELi8ELi64E21rocsparse_complex_numIdEEEv20rocsparse_direction_iiiiii21rocsparse_index_base_PKT3_PKiS9_S4_PS5_PiSB_: ; @_ZN9rocsparseL44csr2gebsr_wavefront_per_row_multipass_kernelILi256ELi8ELi8ELi64E21rocsparse_complex_numIdEEEv20rocsparse_direction_iiiiii21rocsparse_index_base_PKT3_PKiS9_S4_PS5_PiSB_
; %bb.0:
	s_clause 0x1
	s_load_b128 s[4:7], s[0:1], 0xc
	s_load_b64 s[12:13], s[0:1], 0x0
	s_bfe_u32 s2, ttmp6, 0x4000c
	s_and_b32 s3, ttmp6, 15
	s_add_co_i32 s2, s2, 1
	s_getreg_b32 s8, hwreg(HW_REG_IB_STS2, 6, 4)
	s_mul_i32 s2, ttmp9, s2
	v_dual_lshrrev_b32 v16, 6, v0 :: v_dual_mov_b32 v4, 0
	s_add_co_i32 s3, s3, s2
	s_cmp_eq_u32 s8, 0
	v_bfe_u32 v1, v0, 3, 3
	s_cselect_b32 s2, ttmp9, s3
	s_clause 0x1
	s_load_b32 s18, s[0:1], 0x1c
	s_load_b64 s[8:9], s[0:1], 0x28
	v_lshl_or_b32 v2, s2, 2, v16
	v_mov_b32_e32 v10, 0
	s_wait_kmcnt 0x0
	s_delay_alu instid0(VALU_DEP_2) | instskip(SKIP_1) | instid1(VALU_DEP_2)
	v_mad_u32 v3, v2, s6, v1
	v_cmp_gt_i32_e32 vcc_lo, s6, v1
	v_cmp_gt_i32_e64 s2, s13, v3
	s_and_b32 s2, vcc_lo, s2
	s_delay_alu instid0(SALU_CYCLE_1)
	s_and_saveexec_b32 s3, s2
	s_cbranch_execz .LBB197_2
; %bb.1:
	global_load_b32 v5, v3, s[8:9] scale_offset
	s_wait_loadcnt 0x0
	v_subrev_nc_u32_e32 v10, s18, v5
.LBB197_2:
	s_or_b32 exec_lo, exec_lo, s3
	v_mov_b32_e32 v17, 0
	s_and_saveexec_b32 s3, s2
	s_cbranch_execz .LBB197_4
; %bb.3:
	global_load_b32 v3, v3, s[8:9] offset:4 scale_offset
	s_wait_loadcnt 0x0
	v_subrev_nc_u32_e32 v17, s18, v3
.LBB197_4:
	s_or_b32 exec_lo, exec_lo, s3
	s_load_b32 s19, s[0:1], 0x38
	s_mov_b32 s3, exec_lo
	v_cmpx_gt_i32_e64 s4, v2
	s_cbranch_execz .LBB197_6
; %bb.5:
	s_load_b64 s[8:9], s[0:1], 0x48
	s_wait_kmcnt 0x0
	global_load_b32 v2, v2, s[8:9] scale_offset
	s_wait_loadcnt 0x0
	v_subrev_nc_u32_e32 v4, s19, v2
.LBB197_6:
	s_or_b32 exec_lo, exec_lo, s3
	s_cmp_lt_i32 s5, 1
	s_cbranch_scc1 .LBB197_21
; %bb.7:
	v_mbcnt_lo_u32_b32 v5, -1, 0
	v_and_b32_e32 v2, 0xc0, v0
	v_dual_lshlrev_b32 v3, 7, v1 :: v_dual_bitop2_b32 v6, 7, v0 bitop3:0x40
	s_clause 0x3
	s_load_b64 s[2:3], s[0:1], 0x50
	s_load_b64 s[14:15], s[0:1], 0x40
	;; [unrolled: 1-line block ×4, first 2 shown]
	v_xor_b32_e32 v0, 2, v5
	v_xor_b32_e32 v7, 4, v5
	v_lshl_or_b32 v18, v2, 4, v3
	v_mul_lo_u32 v2, s7, v1
	v_mul_lo_u32 v8, s6, v6
	v_lshl_or_b32 v22, v5, 2, 28
	s_wait_xcnt 0x0
	v_cmp_gt_i32_e64 s0, 32, v7
	v_bfrev_b32_e32 v27, 0.5
	s_mov_b32 s13, 0
	v_dual_mov_b32 v9, 0 :: v_dual_mov_b32 v28, 1
	v_cndmask_b32_e64 v3, v5, v7, s0
	v_cmp_gt_i32_e64 s0, 32, v0
	s_delay_alu instid0(VALU_DEP_2) | instskip(NEXT) | instid1(VALU_DEP_2)
	v_dual_lshlrev_b32 v19, 2, v3 :: v_dual_bitop2_b32 v7, 1, v5 bitop3:0x14
	v_cndmask_b32_e64 v0, v5, v0, s0
	s_delay_alu instid0(VALU_DEP_2)
	v_cmp_gt_i32_e64 s0, 32, v7
	v_ashrrev_i32_e32 v3, 31, v2
	s_wait_kmcnt 0x0
	v_lshl_add_u64 v[12:13], v[8:9], 4, s[14:15]
	v_dual_lshlrev_b32 v8, 4, v1 :: v_dual_lshlrev_b32 v20, 2, v0
	v_cndmask_b32_e64 v7, v5, v7, s0
	v_cmp_gt_u32_e64 s0, s7, v6
	v_lshlrev_b32_e32 v0, 4, v6
	v_lshl_add_u64 v[2:3], v[2:3], 4, s[14:15]
	s_delay_alu instid0(VALU_DEP_4)
	v_dual_mov_b32 v1, v9 :: v_dual_lshlrev_b32 v21, 2, v7
	s_and_b32 s1, vcc_lo, s0
	s_cmp_eq_u32 s12, 0
	v_add_nc_u64_e32 v[12:13], v[12:13], v[8:9]
	s_cselect_b32 vcc_lo, -1, 0
	s_abs_i32 s4, s7
	v_add_nc_u64_e32 v[2:3], v[2:3], v[0:1]
	v_or_b32_e32 v23, v18, v0
	v_xor_b32_e32 v8, 8, v5
	v_xor_b32_e32 v7, 16, v5
	v_or_b32_e32 v0, 32, v5
	s_cvt_f32_u32 s0, s4
	s_mov_b32 s12, s6
	v_dual_cndmask_b32 v13, v13, v3 :: v_dual_cndmask_b32 v12, v12, v2
	s_delay_alu instid0(SALU_CYCLE_1)
	v_rcp_iflag_f32_e32 v1, s0
	v_cmp_gt_i32_e64 s0, 32, v0
	v_dual_mov_b32 v2, v9 :: v_dual_mov_b32 v3, v9
	s_ashr_i32 s15, s7, 31
	s_mov_b32 s14, s7
	v_cndmask_b32_e64 v0, v5, v0, s0
	v_cmp_gt_i32_e64 s0, 32, v7
	v_readfirstlane_b32 s6, v1
	s_mul_u64 s[16:17], s[14:15], s[12:13]
	v_cndmask_b32_e64 v1, v5, v7, s0
	v_mov_b32_e32 v7, v9
	v_cmp_gt_i32_e64 s0, 32, v8
	v_dual_lshlrev_b32 v24, 2, v0 :: v_dual_mov_b32 v0, v9
	s_delay_alu instid0(VALU_DEP_4) | instskip(NEXT) | instid1(VALU_DEP_3)
	v_dual_lshlrev_b32 v25, 2, v1 :: v_dual_mov_b32 v1, v9
	v_cndmask_b32_e64 v5, v5, v8, s0
	s_mul_f32 s0, s6, 0x4f7ffffe
	s_sub_co_i32 s6, 0, s4
	s_delay_alu instid0(SALU_CYCLE_2) | instskip(NEXT) | instid1(VALU_DEP_1)
	s_cvt_u32_f32 s0, s0
	v_dual_mov_b32 v5, 0 :: v_dual_lshlrev_b32 v26, 2, v5
	s_delay_alu instid0(SALU_CYCLE_2) | instskip(NEXT) | instid1(SALU_CYCLE_1)
	s_mul_i32 s6, s6, s0
	s_mul_hi_u32 s6, s0, s6
	s_delay_alu instid0(SALU_CYCLE_1)
	s_add_co_i32 s12, s0, s6
	s_mov_b32 s6, s13
	s_branch .LBB197_10
.LBB197_8:                              ;   in Loop: Header=BB197_10 Depth=1
	s_wait_xcnt 0x0
	s_or_b32 exec_lo, exec_lo, s14
	v_mov_b32_e32 v8, 1
.LBB197_9:                              ;   in Loop: Header=BB197_10 Depth=1
	s_or_b32 exec_lo, exec_lo, s0
	ds_bpermute_b32 v5, v24, v29
	s_wait_storecnt_dscnt 0x0
	v_dual_add_nc_u32 v4, v8, v4 :: v_dual_min_i32 v5, v5, v29
	ds_bpermute_b32 v11, v25, v5
	s_wait_dscnt 0x0
	v_min_i32_e32 v5, v11, v5
	ds_bpermute_b32 v11, v26, v5
	s_wait_dscnt 0x0
	v_min_i32_e32 v5, v11, v5
	;; [unrolled: 3-line block ×5, first 2 shown]
	ds_bpermute_b32 v5, v27, v5
	s_wait_dscnt 0x0
	v_cmp_le_i32_e32 vcc_lo, s5, v5
	s_or_b32 s6, vcc_lo, s6
	s_delay_alu instid0(SALU_CYCLE_1)
	s_and_not1_b32 exec_lo, exec_lo, s6
	s_cbranch_execz .LBB197_21
.LBB197_10:                             ; =>This Loop Header: Depth=1
                                        ;     Child Loop BB197_13 Depth 2
	v_dual_mov_b32 v29, s5 :: v_dual_add_nc_u32 v30, v10, v6
	v_mov_b32_e32 v32, v17
	s_mov_b32 s14, exec_lo
	ds_store_b8 v16, v9 offset:4096
	ds_store_b128 v23, v[0:3]
	s_wait_dscnt 0x0
	v_cmpx_lt_i32_e64 v30, v17
	s_cbranch_execz .LBB197_18
; %bb.11:                               ;   in Loop: Header=BB197_10 Depth=1
	v_dual_ashrrev_i32 v11, 31, v10 :: v_dual_mov_b32 v29, s5
	v_mul_lo_u32 v31, v5, s7
	v_mov_b32_e32 v32, v17
	s_mov_b32 s20, 0
	s_delay_alu instid0(VALU_DEP_3) | instskip(NEXT) | instid1(VALU_DEP_1)
	v_add_nc_u64_e32 v[14:15], v[6:7], v[10:11]
	v_lshl_add_u64 v[10:11], v[14:15], 2, s[10:11]
	v_lshl_add_u64 v[14:15], v[14:15], 4, s[8:9]
	s_branch .LBB197_13
.LBB197_12:                             ;   in Loop: Header=BB197_13 Depth=2
	s_wait_xcnt 0x0
	s_or_b32 exec_lo, exec_lo, s0
	v_add_nc_u32_e32 v30, 8, v30
	s_xor_b32 s21, vcc_lo, -1
	v_add_nc_u64_e32 v[10:11], 32, v[10:11]
	v_add_nc_u64_e32 v[14:15], 0x80, v[14:15]
	s_delay_alu instid0(VALU_DEP_3) | instskip(SKIP_1) | instid1(SALU_CYCLE_1)
	v_cmp_ge_i32_e64 s0, v30, v17
	s_or_b32 s0, s21, s0
	s_and_b32 s0, exec_lo, s0
	s_delay_alu instid0(SALU_CYCLE_1) | instskip(NEXT) | instid1(SALU_CYCLE_1)
	s_or_b32 s20, s0, s20
	s_and_not1_b32 exec_lo, exec_lo, s20
	s_cbranch_execz .LBB197_17
.LBB197_13:                             ;   Parent Loop BB197_10 Depth=1
                                        ; =>  This Inner Loop Header: Depth=2
	global_load_b32 v8, v[10:11], off
	s_wait_loadcnt 0x0
	v_subrev_nc_u32_e32 v33, s18, v8
	s_delay_alu instid0(VALU_DEP_1) | instskip(NEXT) | instid1(VALU_DEP_1)
	v_sub_nc_u32_e32 v8, 0, v33
	v_max_i32_e32 v8, v33, v8
	s_delay_alu instid0(VALU_DEP_1) | instskip(NEXT) | instid1(VALU_DEP_1)
	v_mul_u64_e32 v[34:35], s[12:13], v[8:9]
	v_mul_lo_u32 v34, v35, s4
	s_delay_alu instid0(VALU_DEP_1) | instskip(NEXT) | instid1(VALU_DEP_1)
	v_dual_sub_nc_u32 v8, v8, v34 :: v_dual_add_nc_u32 v34, 1, v35
	v_cmp_le_u32_e32 vcc_lo, s4, v8
	s_delay_alu instid0(VALU_DEP_2) | instskip(SKIP_1) | instid1(VALU_DEP_1)
	v_dual_cndmask_b32 v34, v35, v34 :: v_dual_ashrrev_i32 v35, 31, v33
	v_subrev_nc_u32_e32 v36, s4, v8
	v_dual_cndmask_b32 v8, v8, v36, vcc_lo :: v_dual_add_nc_u32 v36, 1, v34
	s_delay_alu instid0(VALU_DEP_1) | instskip(NEXT) | instid1(VALU_DEP_2)
	v_cmp_le_u32_e32 vcc_lo, s4, v8
	v_dual_cndmask_b32 v8, v34, v36, vcc_lo :: v_dual_bitop2_b32 v35, s15, v35 bitop3:0x14
	s_delay_alu instid0(VALU_DEP_1) | instskip(NEXT) | instid1(VALU_DEP_1)
	v_xor_b32_e32 v8, v8, v35
	v_sub_nc_u32_e32 v34, v8, v35
	v_mov_b32_e32 v8, v32
	s_delay_alu instid0(VALU_DEP_2) | instskip(SKIP_3) | instid1(SALU_CYCLE_1)
	v_cmp_ne_u32_e64 s0, v34, v5
	v_cmp_eq_u32_e32 vcc_lo, v34, v5
	s_wait_xcnt 0x0
	s_and_saveexec_b32 s21, s0
	s_xor_b32 s0, exec_lo, s21
; %bb.14:                               ;   in Loop: Header=BB197_13 Depth=2
	v_min_i32_e32 v29, v34, v29
                                        ; implicit-def: $vgpr33
                                        ; implicit-def: $vgpr8
; %bb.15:                               ;   in Loop: Header=BB197_13 Depth=2
	s_or_saveexec_b32 s0, s0
	v_mov_b32_e32 v32, v30
	s_xor_b32 exec_lo, exec_lo, s0
	s_cbranch_execz .LBB197_12
; %bb.16:                               ;   in Loop: Header=BB197_13 Depth=2
	global_load_b128 v[34:37], v[14:15], off
	v_sub_nc_u32_e32 v32, v33, v31
	s_delay_alu instid0(VALU_DEP_1)
	v_lshl_add_u32 v33, v32, 4, v18
	v_mov_b32_e32 v32, v8
	ds_store_b8 v16, v28 offset:4096
	s_wait_loadcnt 0x0
	ds_store_2addr_b64 v33, v[34:35], v[36:37] offset1:1
	s_branch .LBB197_12
.LBB197_17:                             ;   in Loop: Header=BB197_10 Depth=1
	s_or_b32 exec_lo, exec_lo, s20
.LBB197_18:                             ;   in Loop: Header=BB197_10 Depth=1
	s_delay_alu instid0(SALU_CYCLE_1)
	s_or_b32 exec_lo, exec_lo, s14
	ds_bpermute_b32 v8, v19, v32
	s_wait_dscnt 0x0
	ds_load_u8 v11, v16 offset:4096
	v_min_i32_e32 v8, v8, v32
	ds_bpermute_b32 v10, v20, v8
	s_wait_dscnt 0x0
	v_min_i32_e32 v8, v10, v8
	ds_bpermute_b32 v10, v21, v8
	s_wait_dscnt 0x0
	v_min_i32_e32 v8, v10, v8
	ds_bpermute_b32 v10, v22, v8
	v_and_b32_e32 v8, 1, v11
	s_delay_alu instid0(VALU_DEP_1)
	v_cmp_eq_u32_e32 vcc_lo, 1, v8
	v_mov_b32_e32 v8, 0
	s_and_saveexec_b32 s0, vcc_lo
	s_cbranch_execz .LBB197_9
; %bb.19:                               ;   in Loop: Header=BB197_10 Depth=1
	v_add_nc_u32_e32 v5, s19, v5
	global_store_b32 v4, v5, s[2:3] scale_offset
	s_wait_xcnt 0x0
	s_and_saveexec_b32 s14, s1
	s_cbranch_execz .LBB197_8
; %bb.20:                               ;   in Loop: Header=BB197_10 Depth=1
	v_ashrrev_i32_e32 v5, 31, v4
	ds_load_2addr_b64 v[30:33], v23 offset1:1
	v_mul_u64_e32 v[14:15], s[16:17], v[4:5]
	s_delay_alu instid0(VALU_DEP_1)
	v_lshl_add_u64 v[14:15], v[14:15], 4, v[12:13]
	s_wait_dscnt 0x0
	global_store_b128 v[14:15], v[30:33], off
	s_branch .LBB197_8
.LBB197_21:
	s_endpgm
	.section	.rodata,"a",@progbits
	.p2align	6, 0x0
	.amdhsa_kernel _ZN9rocsparseL44csr2gebsr_wavefront_per_row_multipass_kernelILi256ELi8ELi8ELi64E21rocsparse_complex_numIdEEEv20rocsparse_direction_iiiiii21rocsparse_index_base_PKT3_PKiS9_S4_PS5_PiSB_
		.amdhsa_group_segment_fixed_size 4104
		.amdhsa_private_segment_fixed_size 0
		.amdhsa_kernarg_size 88
		.amdhsa_user_sgpr_count 2
		.amdhsa_user_sgpr_dispatch_ptr 0
		.amdhsa_user_sgpr_queue_ptr 0
		.amdhsa_user_sgpr_kernarg_segment_ptr 1
		.amdhsa_user_sgpr_dispatch_id 0
		.amdhsa_user_sgpr_kernarg_preload_length 0
		.amdhsa_user_sgpr_kernarg_preload_offset 0
		.amdhsa_user_sgpr_private_segment_size 0
		.amdhsa_wavefront_size32 1
		.amdhsa_uses_dynamic_stack 0
		.amdhsa_enable_private_segment 0
		.amdhsa_system_sgpr_workgroup_id_x 1
		.amdhsa_system_sgpr_workgroup_id_y 0
		.amdhsa_system_sgpr_workgroup_id_z 0
		.amdhsa_system_sgpr_workgroup_info 0
		.amdhsa_system_vgpr_workitem_id 0
		.amdhsa_next_free_vgpr 38
		.amdhsa_next_free_sgpr 22
		.amdhsa_named_barrier_count 0
		.amdhsa_reserve_vcc 1
		.amdhsa_float_round_mode_32 0
		.amdhsa_float_round_mode_16_64 0
		.amdhsa_float_denorm_mode_32 3
		.amdhsa_float_denorm_mode_16_64 3
		.amdhsa_fp16_overflow 0
		.amdhsa_memory_ordered 1
		.amdhsa_forward_progress 1
		.amdhsa_inst_pref_size 12
		.amdhsa_round_robin_scheduling 0
		.amdhsa_exception_fp_ieee_invalid_op 0
		.amdhsa_exception_fp_denorm_src 0
		.amdhsa_exception_fp_ieee_div_zero 0
		.amdhsa_exception_fp_ieee_overflow 0
		.amdhsa_exception_fp_ieee_underflow 0
		.amdhsa_exception_fp_ieee_inexact 0
		.amdhsa_exception_int_div_zero 0
	.end_amdhsa_kernel
	.section	.text._ZN9rocsparseL44csr2gebsr_wavefront_per_row_multipass_kernelILi256ELi8ELi8ELi64E21rocsparse_complex_numIdEEEv20rocsparse_direction_iiiiii21rocsparse_index_base_PKT3_PKiS9_S4_PS5_PiSB_,"axG",@progbits,_ZN9rocsparseL44csr2gebsr_wavefront_per_row_multipass_kernelILi256ELi8ELi8ELi64E21rocsparse_complex_numIdEEEv20rocsparse_direction_iiiiii21rocsparse_index_base_PKT3_PKiS9_S4_PS5_PiSB_,comdat
.Lfunc_end197:
	.size	_ZN9rocsparseL44csr2gebsr_wavefront_per_row_multipass_kernelILi256ELi8ELi8ELi64E21rocsparse_complex_numIdEEEv20rocsparse_direction_iiiiii21rocsparse_index_base_PKT3_PKiS9_S4_PS5_PiSB_, .Lfunc_end197-_ZN9rocsparseL44csr2gebsr_wavefront_per_row_multipass_kernelILi256ELi8ELi8ELi64E21rocsparse_complex_numIdEEEv20rocsparse_direction_iiiiii21rocsparse_index_base_PKT3_PKiS9_S4_PS5_PiSB_
                                        ; -- End function
	.set _ZN9rocsparseL44csr2gebsr_wavefront_per_row_multipass_kernelILi256ELi8ELi8ELi64E21rocsparse_complex_numIdEEEv20rocsparse_direction_iiiiii21rocsparse_index_base_PKT3_PKiS9_S4_PS5_PiSB_.num_vgpr, 38
	.set _ZN9rocsparseL44csr2gebsr_wavefront_per_row_multipass_kernelILi256ELi8ELi8ELi64E21rocsparse_complex_numIdEEEv20rocsparse_direction_iiiiii21rocsparse_index_base_PKT3_PKiS9_S4_PS5_PiSB_.num_agpr, 0
	.set _ZN9rocsparseL44csr2gebsr_wavefront_per_row_multipass_kernelILi256ELi8ELi8ELi64E21rocsparse_complex_numIdEEEv20rocsparse_direction_iiiiii21rocsparse_index_base_PKT3_PKiS9_S4_PS5_PiSB_.numbered_sgpr, 22
	.set _ZN9rocsparseL44csr2gebsr_wavefront_per_row_multipass_kernelILi256ELi8ELi8ELi64E21rocsparse_complex_numIdEEEv20rocsparse_direction_iiiiii21rocsparse_index_base_PKT3_PKiS9_S4_PS5_PiSB_.num_named_barrier, 0
	.set _ZN9rocsparseL44csr2gebsr_wavefront_per_row_multipass_kernelILi256ELi8ELi8ELi64E21rocsparse_complex_numIdEEEv20rocsparse_direction_iiiiii21rocsparse_index_base_PKT3_PKiS9_S4_PS5_PiSB_.private_seg_size, 0
	.set _ZN9rocsparseL44csr2gebsr_wavefront_per_row_multipass_kernelILi256ELi8ELi8ELi64E21rocsparse_complex_numIdEEEv20rocsparse_direction_iiiiii21rocsparse_index_base_PKT3_PKiS9_S4_PS5_PiSB_.uses_vcc, 1
	.set _ZN9rocsparseL44csr2gebsr_wavefront_per_row_multipass_kernelILi256ELi8ELi8ELi64E21rocsparse_complex_numIdEEEv20rocsparse_direction_iiiiii21rocsparse_index_base_PKT3_PKiS9_S4_PS5_PiSB_.uses_flat_scratch, 0
	.set _ZN9rocsparseL44csr2gebsr_wavefront_per_row_multipass_kernelILi256ELi8ELi8ELi64E21rocsparse_complex_numIdEEEv20rocsparse_direction_iiiiii21rocsparse_index_base_PKT3_PKiS9_S4_PS5_PiSB_.has_dyn_sized_stack, 0
	.set _ZN9rocsparseL44csr2gebsr_wavefront_per_row_multipass_kernelILi256ELi8ELi8ELi64E21rocsparse_complex_numIdEEEv20rocsparse_direction_iiiiii21rocsparse_index_base_PKT3_PKiS9_S4_PS5_PiSB_.has_recursion, 0
	.set _ZN9rocsparseL44csr2gebsr_wavefront_per_row_multipass_kernelILi256ELi8ELi8ELi64E21rocsparse_complex_numIdEEEv20rocsparse_direction_iiiiii21rocsparse_index_base_PKT3_PKiS9_S4_PS5_PiSB_.has_indirect_call, 0
	.section	.AMDGPU.csdata,"",@progbits
; Kernel info:
; codeLenInByte = 1496
; TotalNumSgprs: 24
; NumVgprs: 38
; ScratchSize: 0
; MemoryBound: 0
; FloatMode: 240
; IeeeMode: 1
; LDSByteSize: 4104 bytes/workgroup (compile time only)
; SGPRBlocks: 0
; VGPRBlocks: 2
; NumSGPRsForWavesPerEU: 24
; NumVGPRsForWavesPerEU: 38
; NamedBarCnt: 0
; Occupancy: 16
; WaveLimiterHint : 0
; COMPUTE_PGM_RSRC2:SCRATCH_EN: 0
; COMPUTE_PGM_RSRC2:USER_SGPR: 2
; COMPUTE_PGM_RSRC2:TRAP_HANDLER: 0
; COMPUTE_PGM_RSRC2:TGID_X_EN: 1
; COMPUTE_PGM_RSRC2:TGID_Y_EN: 0
; COMPUTE_PGM_RSRC2:TGID_Z_EN: 0
; COMPUTE_PGM_RSRC2:TIDIG_COMP_CNT: 0
	.section	.text._ZN9rocsparseL44csr2gebsr_wavefront_per_row_multipass_kernelILi256ELi8ELi8ELi32E21rocsparse_complex_numIdEEEv20rocsparse_direction_iiiiii21rocsparse_index_base_PKT3_PKiS9_S4_PS5_PiSB_,"axG",@progbits,_ZN9rocsparseL44csr2gebsr_wavefront_per_row_multipass_kernelILi256ELi8ELi8ELi32E21rocsparse_complex_numIdEEEv20rocsparse_direction_iiiiii21rocsparse_index_base_PKT3_PKiS9_S4_PS5_PiSB_,comdat
	.globl	_ZN9rocsparseL44csr2gebsr_wavefront_per_row_multipass_kernelILi256ELi8ELi8ELi32E21rocsparse_complex_numIdEEEv20rocsparse_direction_iiiiii21rocsparse_index_base_PKT3_PKiS9_S4_PS5_PiSB_ ; -- Begin function _ZN9rocsparseL44csr2gebsr_wavefront_per_row_multipass_kernelILi256ELi8ELi8ELi32E21rocsparse_complex_numIdEEEv20rocsparse_direction_iiiiii21rocsparse_index_base_PKT3_PKiS9_S4_PS5_PiSB_
	.p2align	8
	.type	_ZN9rocsparseL44csr2gebsr_wavefront_per_row_multipass_kernelILi256ELi8ELi8ELi32E21rocsparse_complex_numIdEEEv20rocsparse_direction_iiiiii21rocsparse_index_base_PKT3_PKiS9_S4_PS5_PiSB_,@function
_ZN9rocsparseL44csr2gebsr_wavefront_per_row_multipass_kernelILi256ELi8ELi8ELi32E21rocsparse_complex_numIdEEEv20rocsparse_direction_iiiiii21rocsparse_index_base_PKT3_PKiS9_S4_PS5_PiSB_: ; @_ZN9rocsparseL44csr2gebsr_wavefront_per_row_multipass_kernelILi256ELi8ELi8ELi32E21rocsparse_complex_numIdEEEv20rocsparse_direction_iiiiii21rocsparse_index_base_PKT3_PKiS9_S4_PS5_PiSB_
; %bb.0:
	s_clause 0x1
	s_load_b128 s[4:7], s[0:1], 0xc
	s_load_b64 s[14:15], s[0:1], 0x0
	s_bfe_u32 s2, ttmp6, 0x4000c
	s_and_b32 s3, ttmp6, 15
	s_add_co_i32 s2, s2, 1
	s_getreg_b32 s8, hwreg(HW_REG_IB_STS2, 6, 4)
	s_mul_i32 s2, ttmp9, s2
	v_dual_lshrrev_b32 v22, 5, v0 :: v_dual_mov_b32 v4, 0
	s_add_co_i32 s3, s3, s2
	s_cmp_eq_u32 s8, 0
	v_bfe_u32 v1, v0, 2, 3
	s_cselect_b32 s2, ttmp9, s3
	s_clause 0x1
	s_load_b32 s18, s[0:1], 0x1c
	s_load_b64 s[8:9], s[0:1], 0x28
	v_lshl_or_b32 v2, s2, 3, v22
	v_mov_b32_e32 v20, 0
	s_wait_kmcnt 0x0
	s_delay_alu instid0(VALU_DEP_2) | instskip(SKIP_1) | instid1(VALU_DEP_2)
	v_mad_u32 v3, v2, s6, v1
	v_cmp_gt_i32_e32 vcc_lo, s6, v1
	v_cmp_gt_i32_e64 s2, s15, v3
	s_and_b32 s2, vcc_lo, s2
	s_delay_alu instid0(SALU_CYCLE_1)
	s_and_saveexec_b32 s3, s2
	s_cbranch_execz .LBB198_2
; %bb.1:
	global_load_b32 v5, v3, s[8:9] scale_offset
	s_wait_loadcnt 0x0
	v_subrev_nc_u32_e32 v20, s18, v5
.LBB198_2:
	s_or_b32 exec_lo, exec_lo, s3
	v_mov_b32_e32 v23, 0
	s_and_saveexec_b32 s3, s2
	s_cbranch_execz .LBB198_4
; %bb.3:
	global_load_b32 v3, v3, s[8:9] offset:4 scale_offset
	s_wait_loadcnt 0x0
	v_subrev_nc_u32_e32 v23, s18, v3
.LBB198_4:
	s_or_b32 exec_lo, exec_lo, s3
	s_load_b32 s19, s[0:1], 0x38
	s_mov_b32 s3, exec_lo
	v_cmpx_gt_i32_e64 s4, v2
	s_cbranch_execz .LBB198_6
; %bb.5:
	s_load_b64 s[8:9], s[0:1], 0x48
	s_wait_kmcnt 0x0
	global_load_b32 v2, v2, s[8:9] scale_offset
	s_wait_loadcnt 0x0
	v_subrev_nc_u32_e32 v4, s19, v2
.LBB198_6:
	s_or_b32 exec_lo, exec_lo, s3
	s_cmp_lt_i32 s5, 1
	s_cbranch_scc1 .LBB198_28
; %bb.7:
	v_mbcnt_lo_u32_b32 v5, -1, 0
	s_clause 0x3
	s_load_b64 s[8:9], s[0:1], 0x50
	s_load_b64 s[20:21], s[0:1], 0x40
	;; [unrolled: 1-line block ×4, first 2 shown]
	v_dual_lshlrev_b32 v6, 7, v1 :: v_dual_bitop2_b32 v24, 3, v0 bitop3:0x40
	v_mul_lo_u32 v0, s7, v1
	v_xor_b32_e32 v3, 1, v5
	v_xor_b32_e32 v2, 2, v5
	s_delay_alu instid0(VALU_DEP_4)
	v_lshl_or_b32 v25, v22, 10, v6
	v_dual_mov_b32 v7, 0 :: v_dual_bitop2_b32 v10, 8, v5 bitop3:0x14
	s_cmp_eq_u32 s14, 0
	s_wait_xcnt 0x0
	v_cmp_gt_i32_e64 s0, 32, v2
	s_mov_b32 s3, 0
	s_mov_b32 s2, s6
	v_lshl_or_b32 v28, v5, 2, 12
	v_dual_mov_b32 v36, 1 :: v_dual_mov_b32 v38, 0
	v_cndmask_b32_e64 v2, v5, v2, s0
	v_cmp_gt_i32_e64 s0, 32, v3
	v_dual_lshlrev_b32 v6, 4, v1 :: v_dual_ashrrev_i32 v1, 31, v0
	v_dual_mov_b32 v15, v7 :: v_dual_bitop2_b32 v35, -4, v24 bitop3:0x54
	s_delay_alu instid0(VALU_DEP_3)
	v_dual_cndmask_b32 v3, v5, v3, s0 :: v_dual_lshlrev_b32 v26, 2, v2
	v_lshlrev_b32_e32 v2, 4, v24
	s_wait_kmcnt 0x0
	v_add_nc_u64_e32 v[8:9], s[20:21], v[6:7]
	v_xor_b32_e32 v6, 16, v5
	s_cselect_b32 s0, -1, 0
	s_cmp_lg_u32 s14, 0
	s_mov_b32 s14, s7
	s_cselect_b32 s4, -1, 0
	s_ashr_i32 s15, s7, 31
	v_cmp_gt_i32_e64 s1, 32, v6
	s_mul_u64 s[16:17], s[14:15], s[2:3]
	s_abs_i32 s14, s7
	v_lshlrev_b32_e32 v27, 2, v3
	s_cvt_f32_u32 s2, s14
	v_dual_cndmask_b32 v6, v5, v6, s1 :: v_dual_bitop2_b32 v12, 4, v5 bitop3:0x14
	v_cmp_gt_i32_e64 s1, 32, v10
	s_delay_alu instid0(SALU_CYCLE_1) | instskip(SKIP_2) | instid1(VALU_DEP_3)
	v_rcp_iflag_f32_e32 v14, s2
	v_dual_mov_b32 v3, v7 :: v_dual_bitop2_b32 v29, v25, v2 bitop3:0x54
	v_lshl_add_u64 v[0:1], v[0:1], 4, s[20:21]
	v_cndmask_b32_e64 v13, v5, v10, s1
	v_lshlrev_b32_e32 v30, 2, v6
	v_cmp_gt_i32_e64 s1, 32, v12
	s_delay_alu instid0(TRANS32_DEP_1) | instskip(SKIP_2) | instid1(VALU_DEP_4)
	v_readfirstlane_b32 s2, v14
	v_add_nc_u64_e32 v[10:11], v[0:1], v[2:3]
	v_dual_lshlrev_b32 v31, 2, v13 :: v_dual_mov_b32 v13, v7
	v_cndmask_b32_e64 v0, v5, v12, s1
	v_mul_lo_u32 v12, v24, s6
	s_mul_f32 s20, s2, 0x4f7ffffe
	v_cmp_gt_u32_e64 s1, s7, v24
	s_delay_alu instid0(VALU_DEP_3) | instskip(SKIP_4) | instid1(VALU_DEP_3)
	v_dual_mov_b32 v33, 0x7c :: v_dual_lshlrev_b32 v32, 2, v0
	v_or_b32_e32 v0, 4, v24
	s_cvt_u32_f32 s21, s20
	v_dual_mov_b32 v1, v7 :: v_dual_bitop2_b32 v34, 64, v29 bitop3:0x54
	v_mov_b32_e32 v2, v7
	v_cmp_gt_u32_e64 s2, s7, v0
	v_lshl_add_u32 v14, s6, 2, v12
	s_sub_co_i32 s6, 0, s14
	v_mov_b32_e32 v0, v7
	s_mul_i32 s20, s6, s21
	s_and_b32 s6, s1, vcc_lo
	s_mul_hi_u32 s1, s21, s20
	s_and_b32 s20, vcc_lo, s2
	s_add_co_i32 s2, s21, s1
	s_mov_b32 s21, s3
	s_branch .LBB198_10
.LBB198_8:                              ;   in Loop: Header=BB198_10 Depth=1
	s_wait_xcnt 0x0
	s_or_b32 exec_lo, exec_lo, s22
	v_mov_b32_e32 v5, 1
.LBB198_9:                              ;   in Loop: Header=BB198_10 Depth=1
	s_or_b32 exec_lo, exec_lo, s1
	ds_bpermute_b32 v6, v30, v37
	s_wait_storecnt_dscnt 0x0
	v_dual_add_nc_u32 v4, v5, v4 :: v_dual_min_i32 v6, v6, v37
	ds_bpermute_b32 v16, v31, v6
	s_wait_dscnt 0x0
	v_min_i32_e32 v6, v16, v6
	ds_bpermute_b32 v16, v32, v6
	s_wait_dscnt 0x0
	v_min_i32_e32 v6, v16, v6
	;; [unrolled: 3-line block ×4, first 2 shown]
	ds_bpermute_b32 v38, v33, v6
	s_wait_dscnt 0x0
	v_cmp_le_i32_e32 vcc_lo, s5, v38
	s_or_b32 s21, vcc_lo, s21
	s_delay_alu instid0(SALU_CYCLE_1)
	s_and_not1_b32 exec_lo, exec_lo, s21
	s_cbranch_execz .LBB198_28
.LBB198_10:                             ; =>This Loop Header: Depth=1
                                        ;     Child Loop BB198_11 Depth 2
                                        ;     Child Loop BB198_15 Depth 2
	v_dual_mov_b32 v5, v29 :: v_dual_mov_b32 v6, v35
	s_mov_b32 s1, 0
	ds_store_b8 v22, v7 offset:8192
.LBB198_11:                             ;   Parent Loop BB198_10 Depth=1
                                        ; =>  This Inner Loop Header: Depth=2
	v_add_co_u32 v6, s22, v6, 4
	s_xor_b32 s22, s22, -1
	ds_store_b128 v5, v[0:3]
	v_add_nc_u32_e32 v5, 64, v5
	s_and_b32 s22, exec_lo, s22
	s_delay_alu instid0(SALU_CYCLE_1) | instskip(NEXT) | instid1(SALU_CYCLE_1)
	s_or_b32 s1, s22, s1
	s_and_not1_b32 exec_lo, exec_lo, s1
	s_cbranch_execnz .LBB198_11
; %bb.12:                               ;   in Loop: Header=BB198_10 Depth=1
	s_or_b32 exec_lo, exec_lo, s1
	v_dual_mov_b32 v37, s5 :: v_dual_add_nc_u32 v16, v20, v24
	v_mov_b32_e32 v17, v23
	s_mov_b32 s22, exec_lo
	s_wait_dscnt 0x0
	s_delay_alu instid0(VALU_DEP_2)
	v_cmpx_lt_i32_e64 v16, v23
	s_cbranch_execz .LBB198_20
; %bb.13:                               ;   in Loop: Header=BB198_10 Depth=1
	v_mul_lo_u32 v5, v38, s7
	v_dual_ashrrev_i32 v17, 31, v16 :: v_dual_mov_b32 v37, s5
	s_mov_b32 s23, 0
	s_delay_alu instid0(VALU_DEP_1)
	v_lshl_add_u64 v[18:19], v[16:17], 2, s[12:13]
	v_lshl_add_u64 v[20:21], v[16:17], 4, s[10:11]
	v_mov_b32_e32 v17, v23
	s_branch .LBB198_15
.LBB198_14:                             ;   in Loop: Header=BB198_15 Depth=2
	s_wait_xcnt 0x0
	s_or_b32 exec_lo, exec_lo, s1
	v_add_nc_u32_e32 v16, 4, v16
	s_xor_b32 s24, vcc_lo, -1
	v_add_nc_u64_e32 v[18:19], 16, v[18:19]
	v_add_nc_u64_e32 v[20:21], 64, v[20:21]
	s_delay_alu instid0(VALU_DEP_3) | instskip(SKIP_1) | instid1(SALU_CYCLE_1)
	v_cmp_ge_i32_e64 s1, v16, v23
	s_or_b32 s1, s24, s1
	s_and_b32 s1, exec_lo, s1
	s_delay_alu instid0(SALU_CYCLE_1) | instskip(NEXT) | instid1(SALU_CYCLE_1)
	s_or_b32 s23, s1, s23
	s_and_not1_b32 exec_lo, exec_lo, s23
	s_cbranch_execz .LBB198_19
.LBB198_15:                             ;   Parent Loop BB198_10 Depth=1
                                        ; =>  This Inner Loop Header: Depth=2
	global_load_b32 v6, v[18:19], off
	s_wait_loadcnt 0x0
	v_subrev_nc_u32_e32 v39, s18, v6
	s_delay_alu instid0(VALU_DEP_1) | instskip(NEXT) | instid1(VALU_DEP_1)
	v_sub_nc_u32_e32 v6, 0, v39
	v_max_i32_e32 v6, v39, v6
	s_delay_alu instid0(VALU_DEP_1) | instskip(NEXT) | instid1(VALU_DEP_1)
	v_mul_u64_e32 v[40:41], s[2:3], v[6:7]
	v_mul_lo_u32 v40, v41, s14
	s_delay_alu instid0(VALU_DEP_1) | instskip(NEXT) | instid1(VALU_DEP_1)
	v_dual_sub_nc_u32 v6, v6, v40 :: v_dual_add_nc_u32 v40, 1, v41
	v_cmp_le_u32_e32 vcc_lo, s14, v6
	s_delay_alu instid0(VALU_DEP_2) | instskip(SKIP_1) | instid1(VALU_DEP_1)
	v_dual_cndmask_b32 v40, v41, v40 :: v_dual_ashrrev_i32 v41, 31, v39
	v_subrev_nc_u32_e32 v42, s14, v6
	v_dual_cndmask_b32 v6, v6, v42, vcc_lo :: v_dual_add_nc_u32 v42, 1, v40
	s_delay_alu instid0(VALU_DEP_1) | instskip(NEXT) | instid1(VALU_DEP_2)
	v_cmp_le_u32_e32 vcc_lo, s14, v6
	v_dual_cndmask_b32 v6, v40, v42, vcc_lo :: v_dual_bitop2_b32 v41, s15, v41 bitop3:0x14
	s_delay_alu instid0(VALU_DEP_1) | instskip(NEXT) | instid1(VALU_DEP_1)
	v_xor_b32_e32 v6, v6, v41
	v_dual_sub_nc_u32 v40, v6, v41 :: v_dual_mov_b32 v6, v17
	s_delay_alu instid0(VALU_DEP_1) | instskip(SKIP_3) | instid1(SALU_CYCLE_1)
	v_cmp_ne_u32_e64 s1, v40, v38
	v_cmp_eq_u32_e32 vcc_lo, v40, v38
	s_wait_xcnt 0x0
	s_and_saveexec_b32 s24, s1
	s_xor_b32 s1, exec_lo, s24
; %bb.16:                               ;   in Loop: Header=BB198_15 Depth=2
	v_min_i32_e32 v37, v40, v37
                                        ; implicit-def: $vgpr39
                                        ; implicit-def: $vgpr6
; %bb.17:                               ;   in Loop: Header=BB198_15 Depth=2
	s_or_saveexec_b32 s1, s1
	v_mov_b32_e32 v17, v16
	s_xor_b32 exec_lo, exec_lo, s1
	s_cbranch_execz .LBB198_14
; %bb.18:                               ;   in Loop: Header=BB198_15 Depth=2
	global_load_b128 v[40:43], v[20:21], off
	v_sub_nc_u32_e32 v17, v39, v5
	s_delay_alu instid0(VALU_DEP_1)
	v_lshl_add_u32 v39, v17, 4, v25
	v_mov_b32_e32 v17, v6
	ds_store_b8 v22, v36 offset:8192
	s_wait_loadcnt 0x0
	ds_store_2addr_b64 v39, v[40:41], v[42:43] offset1:1
	s_branch .LBB198_14
.LBB198_19:                             ;   in Loop: Header=BB198_10 Depth=1
	s_or_b32 exec_lo, exec_lo, s23
.LBB198_20:                             ;   in Loop: Header=BB198_10 Depth=1
	s_delay_alu instid0(SALU_CYCLE_1)
	s_or_b32 exec_lo, exec_lo, s22
	ds_bpermute_b32 v5, v26, v17
	s_wait_dscnt 0x0
	ds_load_u8 v16, v22 offset:8192
	v_min_i32_e32 v5, v5, v17
	ds_bpermute_b32 v6, v27, v5
	s_wait_dscnt 0x0
	v_min_i32_e32 v5, v6, v5
	ds_bpermute_b32 v20, v28, v5
	v_and_b32_e32 v5, 1, v16
	s_delay_alu instid0(VALU_DEP_1)
	v_cmp_eq_u32_e32 vcc_lo, 1, v5
	v_mov_b32_e32 v5, 0
	s_and_saveexec_b32 s1, vcc_lo
	s_cbranch_execz .LBB198_9
; %bb.21:                               ;   in Loop: Header=BB198_10 Depth=1
	v_ashrrev_i32_e32 v5, 31, v4
	s_delay_alu instid0(VALU_DEP_1) | instskip(SKIP_3) | instid1(VALU_DEP_1)
	v_mul_u64_e32 v[16:17], s[16:17], v[4:5]
	v_add_nc_u32_e32 v5, s19, v38
	global_store_b32 v4, v5, s[8:9] scale_offset
	v_lshlrev_b64_e32 v[16:17], 4, v[16:17]
	v_add_nc_u64_e32 v[18:19], v[8:9], v[16:17]
	v_add_nc_u64_e32 v[16:17], v[10:11], v[16:17]
	s_wait_xcnt 0x0
	s_and_saveexec_b32 s22, s6
	s_cbranch_execz .LBB198_23
; %bb.22:                               ;   in Loop: Header=BB198_10 Depth=1
	ds_load_2addr_b64 v[38:41], v29 offset1:1
	v_lshl_add_u64 v[42:43], v[12:13], 4, v[18:19]
	s_delay_alu instid0(VALU_DEP_1)
	v_dual_cndmask_b32 v43, v43, v17, s0 :: v_dual_cndmask_b32 v42, v42, v16, s0
	s_wait_dscnt 0x0
	global_store_b128 v[42:43], v[38:41], off
.LBB198_23:                             ;   in Loop: Header=BB198_10 Depth=1
	s_wait_xcnt 0x0
	s_or_b32 exec_lo, exec_lo, s22
	s_and_saveexec_b32 s22, s20
	s_cbranch_execz .LBB198_8
; %bb.24:                               ;   in Loop: Header=BB198_10 Depth=1
	s_and_not1_b32 vcc_lo, exec_lo, s4
	s_mov_b32 s23, -1
	s_cbranch_vccnz .LBB198_26
; %bb.25:                               ;   in Loop: Header=BB198_10 Depth=1
	ds_load_2addr_b64 v[38:41], v34 offset1:1
	v_lshl_add_u64 v[18:19], v[14:15], 4, v[18:19]
	s_mov_b32 s23, 0
	s_wait_dscnt 0x0
	global_store_b128 v[18:19], v[38:41], off
.LBB198_26:                             ;   in Loop: Header=BB198_10 Depth=1
	s_and_not1_b32 vcc_lo, exec_lo, s23
	s_cbranch_vccnz .LBB198_8
; %bb.27:                               ;   in Loop: Header=BB198_10 Depth=1
	s_wait_xcnt 0x0
	ds_load_2addr_b64 v[38:41], v34 offset1:1
	s_wait_dscnt 0x0
	global_store_b128 v[16:17], v[38:41], off offset:64
	s_branch .LBB198_8
.LBB198_28:
	s_endpgm
	.section	.rodata,"a",@progbits
	.p2align	6, 0x0
	.amdhsa_kernel _ZN9rocsparseL44csr2gebsr_wavefront_per_row_multipass_kernelILi256ELi8ELi8ELi32E21rocsparse_complex_numIdEEEv20rocsparse_direction_iiiiii21rocsparse_index_base_PKT3_PKiS9_S4_PS5_PiSB_
		.amdhsa_group_segment_fixed_size 8200
		.amdhsa_private_segment_fixed_size 0
		.amdhsa_kernarg_size 88
		.amdhsa_user_sgpr_count 2
		.amdhsa_user_sgpr_dispatch_ptr 0
		.amdhsa_user_sgpr_queue_ptr 0
		.amdhsa_user_sgpr_kernarg_segment_ptr 1
		.amdhsa_user_sgpr_dispatch_id 0
		.amdhsa_user_sgpr_kernarg_preload_length 0
		.amdhsa_user_sgpr_kernarg_preload_offset 0
		.amdhsa_user_sgpr_private_segment_size 0
		.amdhsa_wavefront_size32 1
		.amdhsa_uses_dynamic_stack 0
		.amdhsa_enable_private_segment 0
		.amdhsa_system_sgpr_workgroup_id_x 1
		.amdhsa_system_sgpr_workgroup_id_y 0
		.amdhsa_system_sgpr_workgroup_id_z 0
		.amdhsa_system_sgpr_workgroup_info 0
		.amdhsa_system_vgpr_workitem_id 0
		.amdhsa_next_free_vgpr 44
		.amdhsa_next_free_sgpr 25
		.amdhsa_named_barrier_count 0
		.amdhsa_reserve_vcc 1
		.amdhsa_float_round_mode_32 0
		.amdhsa_float_round_mode_16_64 0
		.amdhsa_float_denorm_mode_32 3
		.amdhsa_float_denorm_mode_16_64 3
		.amdhsa_fp16_overflow 0
		.amdhsa_memory_ordered 1
		.amdhsa_forward_progress 1
		.amdhsa_inst_pref_size 13
		.amdhsa_round_robin_scheduling 0
		.amdhsa_exception_fp_ieee_invalid_op 0
		.amdhsa_exception_fp_denorm_src 0
		.amdhsa_exception_fp_ieee_div_zero 0
		.amdhsa_exception_fp_ieee_overflow 0
		.amdhsa_exception_fp_ieee_underflow 0
		.amdhsa_exception_fp_ieee_inexact 0
		.amdhsa_exception_int_div_zero 0
	.end_amdhsa_kernel
	.section	.text._ZN9rocsparseL44csr2gebsr_wavefront_per_row_multipass_kernelILi256ELi8ELi8ELi32E21rocsparse_complex_numIdEEEv20rocsparse_direction_iiiiii21rocsparse_index_base_PKT3_PKiS9_S4_PS5_PiSB_,"axG",@progbits,_ZN9rocsparseL44csr2gebsr_wavefront_per_row_multipass_kernelILi256ELi8ELi8ELi32E21rocsparse_complex_numIdEEEv20rocsparse_direction_iiiiii21rocsparse_index_base_PKT3_PKiS9_S4_PS5_PiSB_,comdat
.Lfunc_end198:
	.size	_ZN9rocsparseL44csr2gebsr_wavefront_per_row_multipass_kernelILi256ELi8ELi8ELi32E21rocsparse_complex_numIdEEEv20rocsparse_direction_iiiiii21rocsparse_index_base_PKT3_PKiS9_S4_PS5_PiSB_, .Lfunc_end198-_ZN9rocsparseL44csr2gebsr_wavefront_per_row_multipass_kernelILi256ELi8ELi8ELi32E21rocsparse_complex_numIdEEEv20rocsparse_direction_iiiiii21rocsparse_index_base_PKT3_PKiS9_S4_PS5_PiSB_
                                        ; -- End function
	.set _ZN9rocsparseL44csr2gebsr_wavefront_per_row_multipass_kernelILi256ELi8ELi8ELi32E21rocsparse_complex_numIdEEEv20rocsparse_direction_iiiiii21rocsparse_index_base_PKT3_PKiS9_S4_PS5_PiSB_.num_vgpr, 44
	.set _ZN9rocsparseL44csr2gebsr_wavefront_per_row_multipass_kernelILi256ELi8ELi8ELi32E21rocsparse_complex_numIdEEEv20rocsparse_direction_iiiiii21rocsparse_index_base_PKT3_PKiS9_S4_PS5_PiSB_.num_agpr, 0
	.set _ZN9rocsparseL44csr2gebsr_wavefront_per_row_multipass_kernelILi256ELi8ELi8ELi32E21rocsparse_complex_numIdEEEv20rocsparse_direction_iiiiii21rocsparse_index_base_PKT3_PKiS9_S4_PS5_PiSB_.numbered_sgpr, 25
	.set _ZN9rocsparseL44csr2gebsr_wavefront_per_row_multipass_kernelILi256ELi8ELi8ELi32E21rocsparse_complex_numIdEEEv20rocsparse_direction_iiiiii21rocsparse_index_base_PKT3_PKiS9_S4_PS5_PiSB_.num_named_barrier, 0
	.set _ZN9rocsparseL44csr2gebsr_wavefront_per_row_multipass_kernelILi256ELi8ELi8ELi32E21rocsparse_complex_numIdEEEv20rocsparse_direction_iiiiii21rocsparse_index_base_PKT3_PKiS9_S4_PS5_PiSB_.private_seg_size, 0
	.set _ZN9rocsparseL44csr2gebsr_wavefront_per_row_multipass_kernelILi256ELi8ELi8ELi32E21rocsparse_complex_numIdEEEv20rocsparse_direction_iiiiii21rocsparse_index_base_PKT3_PKiS9_S4_PS5_PiSB_.uses_vcc, 1
	.set _ZN9rocsparseL44csr2gebsr_wavefront_per_row_multipass_kernelILi256ELi8ELi8ELi32E21rocsparse_complex_numIdEEEv20rocsparse_direction_iiiiii21rocsparse_index_base_PKT3_PKiS9_S4_PS5_PiSB_.uses_flat_scratch, 0
	.set _ZN9rocsparseL44csr2gebsr_wavefront_per_row_multipass_kernelILi256ELi8ELi8ELi32E21rocsparse_complex_numIdEEEv20rocsparse_direction_iiiiii21rocsparse_index_base_PKT3_PKiS9_S4_PS5_PiSB_.has_dyn_sized_stack, 0
	.set _ZN9rocsparseL44csr2gebsr_wavefront_per_row_multipass_kernelILi256ELi8ELi8ELi32E21rocsparse_complex_numIdEEEv20rocsparse_direction_iiiiii21rocsparse_index_base_PKT3_PKiS9_S4_PS5_PiSB_.has_recursion, 0
	.set _ZN9rocsparseL44csr2gebsr_wavefront_per_row_multipass_kernelILi256ELi8ELi8ELi32E21rocsparse_complex_numIdEEEv20rocsparse_direction_iiiiii21rocsparse_index_base_PKT3_PKiS9_S4_PS5_PiSB_.has_indirect_call, 0
	.section	.AMDGPU.csdata,"",@progbits
; Kernel info:
; codeLenInByte = 1636
; TotalNumSgprs: 27
; NumVgprs: 44
; ScratchSize: 0
; MemoryBound: 0
; FloatMode: 240
; IeeeMode: 1
; LDSByteSize: 8200 bytes/workgroup (compile time only)
; SGPRBlocks: 0
; VGPRBlocks: 2
; NumSGPRsForWavesPerEU: 27
; NumVGPRsForWavesPerEU: 44
; NamedBarCnt: 0
; Occupancy: 16
; WaveLimiterHint : 0
; COMPUTE_PGM_RSRC2:SCRATCH_EN: 0
; COMPUTE_PGM_RSRC2:USER_SGPR: 2
; COMPUTE_PGM_RSRC2:TRAP_HANDLER: 0
; COMPUTE_PGM_RSRC2:TGID_X_EN: 1
; COMPUTE_PGM_RSRC2:TGID_Y_EN: 0
; COMPUTE_PGM_RSRC2:TGID_Z_EN: 0
; COMPUTE_PGM_RSRC2:TIDIG_COMP_CNT: 0
	.section	.text._ZN9rocsparseL44csr2gebsr_wavefront_per_row_multipass_kernelILi256ELi8ELi16ELi64E21rocsparse_complex_numIdEEEv20rocsparse_direction_iiiiii21rocsparse_index_base_PKT3_PKiS9_S4_PS5_PiSB_,"axG",@progbits,_ZN9rocsparseL44csr2gebsr_wavefront_per_row_multipass_kernelILi256ELi8ELi16ELi64E21rocsparse_complex_numIdEEEv20rocsparse_direction_iiiiii21rocsparse_index_base_PKT3_PKiS9_S4_PS5_PiSB_,comdat
	.globl	_ZN9rocsparseL44csr2gebsr_wavefront_per_row_multipass_kernelILi256ELi8ELi16ELi64E21rocsparse_complex_numIdEEEv20rocsparse_direction_iiiiii21rocsparse_index_base_PKT3_PKiS9_S4_PS5_PiSB_ ; -- Begin function _ZN9rocsparseL44csr2gebsr_wavefront_per_row_multipass_kernelILi256ELi8ELi16ELi64E21rocsparse_complex_numIdEEEv20rocsparse_direction_iiiiii21rocsparse_index_base_PKT3_PKiS9_S4_PS5_PiSB_
	.p2align	8
	.type	_ZN9rocsparseL44csr2gebsr_wavefront_per_row_multipass_kernelILi256ELi8ELi16ELi64E21rocsparse_complex_numIdEEEv20rocsparse_direction_iiiiii21rocsparse_index_base_PKT3_PKiS9_S4_PS5_PiSB_,@function
_ZN9rocsparseL44csr2gebsr_wavefront_per_row_multipass_kernelILi256ELi8ELi16ELi64E21rocsparse_complex_numIdEEEv20rocsparse_direction_iiiiii21rocsparse_index_base_PKT3_PKiS9_S4_PS5_PiSB_: ; @_ZN9rocsparseL44csr2gebsr_wavefront_per_row_multipass_kernelILi256ELi8ELi16ELi64E21rocsparse_complex_numIdEEEv20rocsparse_direction_iiiiii21rocsparse_index_base_PKT3_PKiS9_S4_PS5_PiSB_
; %bb.0:
	s_clause 0x1
	s_load_b128 s[4:7], s[0:1], 0xc
	s_load_b64 s[14:15], s[0:1], 0x0
	s_bfe_u32 s2, ttmp6, 0x4000c
	s_and_b32 s3, ttmp6, 15
	s_add_co_i32 s2, s2, 1
	s_getreg_b32 s8, hwreg(HW_REG_IB_STS2, 6, 4)
	s_mul_i32 s2, ttmp9, s2
	v_dual_lshrrev_b32 v22, 6, v0 :: v_dual_mov_b32 v4, 0
	s_add_co_i32 s3, s3, s2
	s_cmp_eq_u32 s8, 0
	v_bfe_u32 v1, v0, 3, 3
	s_cselect_b32 s2, ttmp9, s3
	s_clause 0x1
	s_load_b32 s18, s[0:1], 0x1c
	s_load_b64 s[8:9], s[0:1], 0x28
	v_lshl_or_b32 v2, s2, 2, v22
	v_mov_b32_e32 v20, 0
	s_wait_kmcnt 0x0
	s_delay_alu instid0(VALU_DEP_2) | instskip(SKIP_1) | instid1(VALU_DEP_2)
	v_mad_u32 v3, v2, s6, v1
	v_cmp_gt_i32_e32 vcc_lo, s6, v1
	v_cmp_gt_i32_e64 s2, s15, v3
	s_and_b32 s2, vcc_lo, s2
	s_delay_alu instid0(SALU_CYCLE_1)
	s_and_saveexec_b32 s3, s2
	s_cbranch_execz .LBB199_2
; %bb.1:
	global_load_b32 v5, v3, s[8:9] scale_offset
	s_wait_loadcnt 0x0
	v_subrev_nc_u32_e32 v20, s18, v5
.LBB199_2:
	s_or_b32 exec_lo, exec_lo, s3
	v_mov_b32_e32 v23, 0
	s_and_saveexec_b32 s3, s2
	s_cbranch_execz .LBB199_4
; %bb.3:
	global_load_b32 v3, v3, s[8:9] offset:4 scale_offset
	s_wait_loadcnt 0x0
	v_subrev_nc_u32_e32 v23, s18, v3
.LBB199_4:
	s_or_b32 exec_lo, exec_lo, s3
	s_load_b32 s19, s[0:1], 0x38
	s_mov_b32 s3, exec_lo
	v_cmpx_gt_i32_e64 s4, v2
	s_cbranch_execz .LBB199_6
; %bb.5:
	s_load_b64 s[8:9], s[0:1], 0x48
	s_wait_kmcnt 0x0
	global_load_b32 v2, v2, s[8:9] scale_offset
	s_wait_loadcnt 0x0
	v_subrev_nc_u32_e32 v4, s19, v2
.LBB199_6:
	s_or_b32 exec_lo, exec_lo, s3
	s_cmp_lt_i32 s5, 1
	s_cbranch_scc1 .LBB199_28
; %bb.7:
	v_mbcnt_lo_u32_b32 v5, -1, 0
	v_dual_lshlrev_b32 v3, 8, v1 :: v_dual_bitop2_b32 v24, 7, v0 bitop3:0x40
	s_clause 0x3
	s_load_b64 s[8:9], s[0:1], 0x50
	s_load_b64 s[20:21], s[0:1], 0x40
	;; [unrolled: 1-line block ×4, first 2 shown]
	s_cmp_eq_u32 s14, 0
	v_xor_b32_e32 v0, 2, v5
	v_xor_b32_e32 v2, 4, v5
	v_lshl_or_b32 v25, v22, 11, v3
	s_mov_b32 s3, 0
	s_mov_b32 s2, s6
	v_lshl_or_b32 v29, v5, 2, 28
	s_wait_xcnt 0x0
	v_cmp_gt_i32_e64 s0, 32, v2
	v_bfrev_b32_e32 v34, 0.5
	v_dual_mov_b32 v39, 0 :: v_dual_mov_b32 v7, 0
	s_delay_alu instid0(VALU_DEP_3) | instskip(SKIP_2) | instid1(VALU_DEP_4)
	v_dual_cndmask_b32 v2, v5, v2, s0 :: v_dual_bitop2_b32 v36, -8, v24 bitop3:0x54
	v_xor_b32_e32 v6, 1, v5
	v_cmp_gt_i32_e64 s0, 32, v0
	v_dual_mov_b32 v3, v7 :: v_dual_mov_b32 v15, v7
	s_delay_alu instid0(VALU_DEP_4) | instskip(NEXT) | instid1(VALU_DEP_3)
	v_dual_lshlrev_b32 v26, 2, v2 :: v_dual_lshlrev_b32 v2, 4, v24
	v_cndmask_b32_e64 v0, v5, v0, s0
	v_cmp_gt_i32_e64 s0, 32, v6
	s_delay_alu instid0(VALU_DEP_3) | instskip(NEXT) | instid1(VALU_DEP_2)
	v_dual_mov_b32 v37, 1 :: v_dual_bitop2_b32 v30, v25, v2 bitop3:0x54
	v_dual_lshlrev_b32 v27, 2, v0 :: v_dual_cndmask_b32 v6, v5, v6, s0
	v_mul_lo_u32 v0, s7, v1
	s_cselect_b32 s0, -1, 0
	s_cmp_lg_u32 s14, 0
	s_mov_b32 s14, s7
	v_dual_lshlrev_b32 v28, 2, v6 :: v_dual_lshlrev_b32 v6, 4, v1
	s_cselect_b32 s4, -1, 0
	s_ashr_i32 s15, s7, 31
	v_or_b32_e32 v35, 0x80, v30
	s_mul_u64 s[16:17], s[14:15], s[2:3]
	s_wait_kmcnt 0x0
	v_add_nc_u64_e32 v[8:9], s[20:21], v[6:7]
	v_or_b32_e32 v6, 32, v5
	s_abs_i32 s14, s7
	v_ashrrev_i32_e32 v1, 31, v0
	s_cvt_f32_u32 s2, s14
	s_delay_alu instid0(VALU_DEP_2) | instskip(SKIP_1) | instid1(SALU_CYCLE_1)
	v_cmp_gt_i32_e64 s1, 32, v6
	v_xor_b32_e32 v10, 16, v5
	v_rcp_iflag_f32_e32 v14, s2
	v_lshl_add_u64 v[0:1], v[0:1], 4, s[20:21]
	s_delay_alu instid0(VALU_DEP_3) | instskip(NEXT) | instid1(VALU_DEP_3)
	v_cndmask_b32_e64 v6, v5, v6, s1
	v_cmp_gt_i32_e64 s1, 32, v10
	v_xor_b32_e32 v12, 8, v5
	s_delay_alu instid0(TRANS32_DEP_1) | instskip(NEXT) | instid1(VALU_DEP_4)
	v_readfirstlane_b32 s2, v14
	v_lshlrev_b32_e32 v31, 2, v6
	s_delay_alu instid0(VALU_DEP_4) | instskip(NEXT) | instid1(VALU_DEP_4)
	v_cndmask_b32_e64 v13, v5, v10, s1
	v_cmp_gt_i32_e64 s1, 32, v12
	v_add_nc_u64_e32 v[10:11], v[0:1], v[2:3]
	s_mul_f32 s20, s2, 0x4f7ffffe
	v_dual_mov_b32 v2, v7 :: v_dual_mov_b32 v1, v7
	v_cndmask_b32_e64 v0, v5, v12, s1
	v_mul_lo_u32 v12, v24, s6
	v_lshlrev_b32_e32 v32, 2, v13
	s_cvt_u32_f32 s21, s20
	v_cmp_gt_u32_e64 s1, s7, v24
	v_lshlrev_b32_e32 v33, 2, v0
	v_dual_mov_b32 v13, v7 :: v_dual_bitop2_b32 v0, 8, v24 bitop3:0x54
	s_delay_alu instid0(VALU_DEP_1)
	v_cmp_gt_u32_e64 s2, s7, v0
	v_lshl_add_u32 v14, s6, 3, v12
	s_sub_co_i32 s6, 0, s14
	v_mov_b32_e32 v0, v7
	s_mul_i32 s20, s6, s21
	s_and_b32 s6, s1, vcc_lo
	s_mul_hi_u32 s1, s21, s20
	s_and_b32 s20, vcc_lo, s2
	s_add_co_i32 s2, s21, s1
	s_mov_b32 s21, s3
	s_branch .LBB199_10
.LBB199_8:                              ;   in Loop: Header=BB199_10 Depth=1
	s_wait_xcnt 0x0
	s_or_b32 exec_lo, exec_lo, s22
	v_mov_b32_e32 v5, 1
.LBB199_9:                              ;   in Loop: Header=BB199_10 Depth=1
	s_or_b32 exec_lo, exec_lo, s1
	ds_bpermute_b32 v6, v31, v38
	s_wait_storecnt_dscnt 0x0
	v_dual_add_nc_u32 v4, v5, v4 :: v_dual_min_i32 v6, v6, v38
	ds_bpermute_b32 v16, v32, v6
	s_wait_dscnt 0x0
	v_min_i32_e32 v6, v16, v6
	ds_bpermute_b32 v16, v33, v6
	s_wait_dscnt 0x0
	v_min_i32_e32 v6, v16, v6
	;; [unrolled: 3-line block ×5, first 2 shown]
	ds_bpermute_b32 v39, v34, v6
	s_wait_dscnt 0x0
	v_cmp_le_i32_e32 vcc_lo, s5, v39
	s_or_b32 s21, vcc_lo, s21
	s_delay_alu instid0(SALU_CYCLE_1)
	s_and_not1_b32 exec_lo, exec_lo, s21
	s_cbranch_execz .LBB199_28
.LBB199_10:                             ; =>This Loop Header: Depth=1
                                        ;     Child Loop BB199_11 Depth 2
                                        ;     Child Loop BB199_15 Depth 2
	v_dual_mov_b32 v5, v30 :: v_dual_mov_b32 v6, v36
	s_mov_b32 s1, 0
	ds_store_b8 v22, v7 offset:8192
.LBB199_11:                             ;   Parent Loop BB199_10 Depth=1
                                        ; =>  This Inner Loop Header: Depth=2
	v_add_co_u32 v6, s22, v6, 8
	s_xor_b32 s22, s22, -1
	ds_store_b128 v5, v[0:3]
	v_add_nc_u32_e32 v5, 0x80, v5
	s_and_b32 s22, exec_lo, s22
	s_delay_alu instid0(SALU_CYCLE_1) | instskip(NEXT) | instid1(SALU_CYCLE_1)
	s_or_b32 s1, s22, s1
	s_and_not1_b32 exec_lo, exec_lo, s1
	s_cbranch_execnz .LBB199_11
; %bb.12:                               ;   in Loop: Header=BB199_10 Depth=1
	s_or_b32 exec_lo, exec_lo, s1
	v_dual_add_nc_u32 v16, v20, v24 :: v_dual_mov_b32 v38, s5
	v_mov_b32_e32 v17, v23
	s_mov_b32 s22, exec_lo
	s_wait_dscnt 0x0
	s_delay_alu instid0(VALU_DEP_2)
	v_cmpx_lt_i32_e64 v16, v23
	s_cbranch_execz .LBB199_20
; %bb.13:                               ;   in Loop: Header=BB199_10 Depth=1
	v_mul_lo_u32 v5, v39, s7
	v_dual_mov_b32 v38, s5 :: v_dual_ashrrev_i32 v17, 31, v16
	s_mov_b32 s23, 0
	s_delay_alu instid0(VALU_DEP_1)
	v_lshl_add_u64 v[18:19], v[16:17], 2, s[12:13]
	v_lshl_add_u64 v[20:21], v[16:17], 4, s[10:11]
	v_mov_b32_e32 v17, v23
	s_branch .LBB199_15
.LBB199_14:                             ;   in Loop: Header=BB199_15 Depth=2
	s_wait_xcnt 0x0
	s_or_b32 exec_lo, exec_lo, s1
	v_add_nc_u32_e32 v16, 8, v16
	s_xor_b32 s24, vcc_lo, -1
	v_add_nc_u64_e32 v[18:19], 32, v[18:19]
	v_add_nc_u64_e32 v[20:21], 0x80, v[20:21]
	s_delay_alu instid0(VALU_DEP_3) | instskip(SKIP_1) | instid1(SALU_CYCLE_1)
	v_cmp_ge_i32_e64 s1, v16, v23
	s_or_b32 s1, s24, s1
	s_and_b32 s1, exec_lo, s1
	s_delay_alu instid0(SALU_CYCLE_1) | instskip(NEXT) | instid1(SALU_CYCLE_1)
	s_or_b32 s23, s1, s23
	s_and_not1_b32 exec_lo, exec_lo, s23
	s_cbranch_execz .LBB199_19
.LBB199_15:                             ;   Parent Loop BB199_10 Depth=1
                                        ; =>  This Inner Loop Header: Depth=2
	global_load_b32 v6, v[18:19], off
	s_wait_loadcnt 0x0
	v_subrev_nc_u32_e32 v40, s18, v6
	s_delay_alu instid0(VALU_DEP_1) | instskip(NEXT) | instid1(VALU_DEP_1)
	v_sub_nc_u32_e32 v6, 0, v40
	v_max_i32_e32 v6, v40, v6
	s_delay_alu instid0(VALU_DEP_1) | instskip(NEXT) | instid1(VALU_DEP_1)
	v_mul_u64_e32 v[42:43], s[2:3], v[6:7]
	v_mul_lo_u32 v41, v43, s14
	s_delay_alu instid0(VALU_DEP_1) | instskip(NEXT) | instid1(VALU_DEP_1)
	v_dual_sub_nc_u32 v6, v6, v41 :: v_dual_add_nc_u32 v41, 1, v43
	v_cmp_le_u32_e32 vcc_lo, s14, v6
	s_delay_alu instid0(VALU_DEP_2) | instskip(SKIP_1) | instid1(VALU_DEP_1)
	v_dual_cndmask_b32 v41, v43, v41, vcc_lo :: v_dual_ashrrev_i32 v43, 31, v40
	v_subrev_nc_u32_e32 v42, s14, v6
	v_dual_cndmask_b32 v6, v6, v42, vcc_lo :: v_dual_add_nc_u32 v42, 1, v41
	s_delay_alu instid0(VALU_DEP_1) | instskip(NEXT) | instid1(VALU_DEP_2)
	v_cmp_le_u32_e32 vcc_lo, s14, v6
	v_dual_cndmask_b32 v6, v41, v42, vcc_lo :: v_dual_bitop2_b32 v43, s15, v43 bitop3:0x14
	s_delay_alu instid0(VALU_DEP_1) | instskip(NEXT) | instid1(VALU_DEP_1)
	v_xor_b32_e32 v6, v6, v43
	v_dual_mov_b32 v6, v17 :: v_dual_sub_nc_u32 v41, v6, v43
	s_delay_alu instid0(VALU_DEP_1) | instskip(SKIP_3) | instid1(SALU_CYCLE_1)
	v_cmp_ne_u32_e64 s1, v41, v39
	v_cmp_eq_u32_e32 vcc_lo, v41, v39
	s_wait_xcnt 0x0
	s_and_saveexec_b32 s24, s1
	s_xor_b32 s1, exec_lo, s24
; %bb.16:                               ;   in Loop: Header=BB199_15 Depth=2
	v_min_i32_e32 v38, v41, v38
                                        ; implicit-def: $vgpr40
                                        ; implicit-def: $vgpr6
; %bb.17:                               ;   in Loop: Header=BB199_15 Depth=2
	s_or_saveexec_b32 s1, s1
	v_mov_b32_e32 v17, v16
	s_xor_b32 exec_lo, exec_lo, s1
	s_cbranch_execz .LBB199_14
; %bb.18:                               ;   in Loop: Header=BB199_15 Depth=2
	global_load_b128 v[42:45], v[20:21], off
	v_sub_nc_u32_e32 v17, v40, v5
	s_delay_alu instid0(VALU_DEP_1)
	v_lshl_add_u32 v40, v17, 4, v25
	v_mov_b32_e32 v17, v6
	ds_store_b8 v22, v37 offset:8192
	s_wait_loadcnt 0x0
	ds_store_2addr_b64 v40, v[42:43], v[44:45] offset1:1
	s_branch .LBB199_14
.LBB199_19:                             ;   in Loop: Header=BB199_10 Depth=1
	s_or_b32 exec_lo, exec_lo, s23
.LBB199_20:                             ;   in Loop: Header=BB199_10 Depth=1
	s_delay_alu instid0(SALU_CYCLE_1)
	s_or_b32 exec_lo, exec_lo, s22
	ds_bpermute_b32 v5, v26, v17
	s_wait_dscnt 0x0
	ds_load_u8 v16, v22 offset:8192
	v_min_i32_e32 v5, v5, v17
	ds_bpermute_b32 v6, v27, v5
	s_wait_dscnt 0x0
	v_min_i32_e32 v5, v6, v5
	ds_bpermute_b32 v6, v28, v5
	s_wait_dscnt 0x0
	v_min_i32_e32 v5, v6, v5
	ds_bpermute_b32 v20, v29, v5
	v_and_b32_e32 v5, 1, v16
	s_delay_alu instid0(VALU_DEP_1)
	v_cmp_eq_u32_e32 vcc_lo, 1, v5
	v_mov_b32_e32 v5, 0
	s_and_saveexec_b32 s1, vcc_lo
	s_cbranch_execz .LBB199_9
; %bb.21:                               ;   in Loop: Header=BB199_10 Depth=1
	v_ashrrev_i32_e32 v5, 31, v4
	s_delay_alu instid0(VALU_DEP_1) | instskip(SKIP_3) | instid1(VALU_DEP_1)
	v_mul_u64_e32 v[16:17], s[16:17], v[4:5]
	v_add_nc_u32_e32 v5, s19, v39
	global_store_b32 v4, v5, s[8:9] scale_offset
	v_lshlrev_b64_e32 v[16:17], 4, v[16:17]
	v_add_nc_u64_e32 v[18:19], v[8:9], v[16:17]
	v_add_nc_u64_e32 v[16:17], v[10:11], v[16:17]
	s_wait_xcnt 0x0
	s_and_saveexec_b32 s22, s6
	s_cbranch_execz .LBB199_23
; %bb.22:                               ;   in Loop: Header=BB199_10 Depth=1
	ds_load_2addr_b64 v[40:43], v30 offset1:1
	v_lshl_add_u64 v[44:45], v[12:13], 4, v[18:19]
	s_delay_alu instid0(VALU_DEP_1)
	v_dual_cndmask_b32 v45, v45, v17, s0 :: v_dual_cndmask_b32 v44, v44, v16, s0
	s_wait_dscnt 0x0
	global_store_b128 v[44:45], v[40:43], off
.LBB199_23:                             ;   in Loop: Header=BB199_10 Depth=1
	s_wait_xcnt 0x0
	s_or_b32 exec_lo, exec_lo, s22
	s_and_saveexec_b32 s22, s20
	s_cbranch_execz .LBB199_8
; %bb.24:                               ;   in Loop: Header=BB199_10 Depth=1
	s_and_not1_b32 vcc_lo, exec_lo, s4
	s_mov_b32 s23, -1
	s_cbranch_vccnz .LBB199_26
; %bb.25:                               ;   in Loop: Header=BB199_10 Depth=1
	ds_load_2addr_b64 v[40:43], v35 offset1:1
	v_lshl_add_u64 v[18:19], v[14:15], 4, v[18:19]
	s_mov_b32 s23, 0
	s_wait_dscnt 0x0
	global_store_b128 v[18:19], v[40:43], off
.LBB199_26:                             ;   in Loop: Header=BB199_10 Depth=1
	s_and_not1_b32 vcc_lo, exec_lo, s23
	s_cbranch_vccnz .LBB199_8
; %bb.27:                               ;   in Loop: Header=BB199_10 Depth=1
	s_wait_xcnt 0x0
	ds_load_2addr_b64 v[40:43], v35 offset1:1
	s_wait_dscnt 0x0
	global_store_b128 v[16:17], v[40:43], off offset:128
	s_branch .LBB199_8
.LBB199_28:
	s_endpgm
	.section	.rodata,"a",@progbits
	.p2align	6, 0x0
	.amdhsa_kernel _ZN9rocsparseL44csr2gebsr_wavefront_per_row_multipass_kernelILi256ELi8ELi16ELi64E21rocsparse_complex_numIdEEEv20rocsparse_direction_iiiiii21rocsparse_index_base_PKT3_PKiS9_S4_PS5_PiSB_
		.amdhsa_group_segment_fixed_size 8200
		.amdhsa_private_segment_fixed_size 0
		.amdhsa_kernarg_size 88
		.amdhsa_user_sgpr_count 2
		.amdhsa_user_sgpr_dispatch_ptr 0
		.amdhsa_user_sgpr_queue_ptr 0
		.amdhsa_user_sgpr_kernarg_segment_ptr 1
		.amdhsa_user_sgpr_dispatch_id 0
		.amdhsa_user_sgpr_kernarg_preload_length 0
		.amdhsa_user_sgpr_kernarg_preload_offset 0
		.amdhsa_user_sgpr_private_segment_size 0
		.amdhsa_wavefront_size32 1
		.amdhsa_uses_dynamic_stack 0
		.amdhsa_enable_private_segment 0
		.amdhsa_system_sgpr_workgroup_id_x 1
		.amdhsa_system_sgpr_workgroup_id_y 0
		.amdhsa_system_sgpr_workgroup_id_z 0
		.amdhsa_system_sgpr_workgroup_info 0
		.amdhsa_system_vgpr_workitem_id 0
		.amdhsa_next_free_vgpr 46
		.amdhsa_next_free_sgpr 25
		.amdhsa_named_barrier_count 0
		.amdhsa_reserve_vcc 1
		.amdhsa_float_round_mode_32 0
		.amdhsa_float_round_mode_16_64 0
		.amdhsa_float_denorm_mode_32 3
		.amdhsa_float_denorm_mode_16_64 3
		.amdhsa_fp16_overflow 0
		.amdhsa_memory_ordered 1
		.amdhsa_forward_progress 1
		.amdhsa_inst_pref_size 14
		.amdhsa_round_robin_scheduling 0
		.amdhsa_exception_fp_ieee_invalid_op 0
		.amdhsa_exception_fp_denorm_src 0
		.amdhsa_exception_fp_ieee_div_zero 0
		.amdhsa_exception_fp_ieee_overflow 0
		.amdhsa_exception_fp_ieee_underflow 0
		.amdhsa_exception_fp_ieee_inexact 0
		.amdhsa_exception_int_div_zero 0
	.end_amdhsa_kernel
	.section	.text._ZN9rocsparseL44csr2gebsr_wavefront_per_row_multipass_kernelILi256ELi8ELi16ELi64E21rocsparse_complex_numIdEEEv20rocsparse_direction_iiiiii21rocsparse_index_base_PKT3_PKiS9_S4_PS5_PiSB_,"axG",@progbits,_ZN9rocsparseL44csr2gebsr_wavefront_per_row_multipass_kernelILi256ELi8ELi16ELi64E21rocsparse_complex_numIdEEEv20rocsparse_direction_iiiiii21rocsparse_index_base_PKT3_PKiS9_S4_PS5_PiSB_,comdat
.Lfunc_end199:
	.size	_ZN9rocsparseL44csr2gebsr_wavefront_per_row_multipass_kernelILi256ELi8ELi16ELi64E21rocsparse_complex_numIdEEEv20rocsparse_direction_iiiiii21rocsparse_index_base_PKT3_PKiS9_S4_PS5_PiSB_, .Lfunc_end199-_ZN9rocsparseL44csr2gebsr_wavefront_per_row_multipass_kernelILi256ELi8ELi16ELi64E21rocsparse_complex_numIdEEEv20rocsparse_direction_iiiiii21rocsparse_index_base_PKT3_PKiS9_S4_PS5_PiSB_
                                        ; -- End function
	.set _ZN9rocsparseL44csr2gebsr_wavefront_per_row_multipass_kernelILi256ELi8ELi16ELi64E21rocsparse_complex_numIdEEEv20rocsparse_direction_iiiiii21rocsparse_index_base_PKT3_PKiS9_S4_PS5_PiSB_.num_vgpr, 46
	.set _ZN9rocsparseL44csr2gebsr_wavefront_per_row_multipass_kernelILi256ELi8ELi16ELi64E21rocsparse_complex_numIdEEEv20rocsparse_direction_iiiiii21rocsparse_index_base_PKT3_PKiS9_S4_PS5_PiSB_.num_agpr, 0
	.set _ZN9rocsparseL44csr2gebsr_wavefront_per_row_multipass_kernelILi256ELi8ELi16ELi64E21rocsparse_complex_numIdEEEv20rocsparse_direction_iiiiii21rocsparse_index_base_PKT3_PKiS9_S4_PS5_PiSB_.numbered_sgpr, 25
	.set _ZN9rocsparseL44csr2gebsr_wavefront_per_row_multipass_kernelILi256ELi8ELi16ELi64E21rocsparse_complex_numIdEEEv20rocsparse_direction_iiiiii21rocsparse_index_base_PKT3_PKiS9_S4_PS5_PiSB_.num_named_barrier, 0
	.set _ZN9rocsparseL44csr2gebsr_wavefront_per_row_multipass_kernelILi256ELi8ELi16ELi64E21rocsparse_complex_numIdEEEv20rocsparse_direction_iiiiii21rocsparse_index_base_PKT3_PKiS9_S4_PS5_PiSB_.private_seg_size, 0
	.set _ZN9rocsparseL44csr2gebsr_wavefront_per_row_multipass_kernelILi256ELi8ELi16ELi64E21rocsparse_complex_numIdEEEv20rocsparse_direction_iiiiii21rocsparse_index_base_PKT3_PKiS9_S4_PS5_PiSB_.uses_vcc, 1
	.set _ZN9rocsparseL44csr2gebsr_wavefront_per_row_multipass_kernelILi256ELi8ELi16ELi64E21rocsparse_complex_numIdEEEv20rocsparse_direction_iiiiii21rocsparse_index_base_PKT3_PKiS9_S4_PS5_PiSB_.uses_flat_scratch, 0
	.set _ZN9rocsparseL44csr2gebsr_wavefront_per_row_multipass_kernelILi256ELi8ELi16ELi64E21rocsparse_complex_numIdEEEv20rocsparse_direction_iiiiii21rocsparse_index_base_PKT3_PKiS9_S4_PS5_PiSB_.has_dyn_sized_stack, 0
	.set _ZN9rocsparseL44csr2gebsr_wavefront_per_row_multipass_kernelILi256ELi8ELi16ELi64E21rocsparse_complex_numIdEEEv20rocsparse_direction_iiiiii21rocsparse_index_base_PKT3_PKiS9_S4_PS5_PiSB_.has_recursion, 0
	.set _ZN9rocsparseL44csr2gebsr_wavefront_per_row_multipass_kernelILi256ELi8ELi16ELi64E21rocsparse_complex_numIdEEEv20rocsparse_direction_iiiiii21rocsparse_index_base_PKT3_PKiS9_S4_PS5_PiSB_.has_indirect_call, 0
	.section	.AMDGPU.csdata,"",@progbits
; Kernel info:
; codeLenInByte = 1708
; TotalNumSgprs: 27
; NumVgprs: 46
; ScratchSize: 0
; MemoryBound: 0
; FloatMode: 240
; IeeeMode: 1
; LDSByteSize: 8200 bytes/workgroup (compile time only)
; SGPRBlocks: 0
; VGPRBlocks: 2
; NumSGPRsForWavesPerEU: 27
; NumVGPRsForWavesPerEU: 46
; NamedBarCnt: 0
; Occupancy: 16
; WaveLimiterHint : 0
; COMPUTE_PGM_RSRC2:SCRATCH_EN: 0
; COMPUTE_PGM_RSRC2:USER_SGPR: 2
; COMPUTE_PGM_RSRC2:TRAP_HANDLER: 0
; COMPUTE_PGM_RSRC2:TGID_X_EN: 1
; COMPUTE_PGM_RSRC2:TGID_Y_EN: 0
; COMPUTE_PGM_RSRC2:TGID_Z_EN: 0
; COMPUTE_PGM_RSRC2:TIDIG_COMP_CNT: 0
	.section	.text._ZN9rocsparseL44csr2gebsr_wavefront_per_row_multipass_kernelILi256ELi8ELi16ELi32E21rocsparse_complex_numIdEEEv20rocsparse_direction_iiiiii21rocsparse_index_base_PKT3_PKiS9_S4_PS5_PiSB_,"axG",@progbits,_ZN9rocsparseL44csr2gebsr_wavefront_per_row_multipass_kernelILi256ELi8ELi16ELi32E21rocsparse_complex_numIdEEEv20rocsparse_direction_iiiiii21rocsparse_index_base_PKT3_PKiS9_S4_PS5_PiSB_,comdat
	.globl	_ZN9rocsparseL44csr2gebsr_wavefront_per_row_multipass_kernelILi256ELi8ELi16ELi32E21rocsparse_complex_numIdEEEv20rocsparse_direction_iiiiii21rocsparse_index_base_PKT3_PKiS9_S4_PS5_PiSB_ ; -- Begin function _ZN9rocsparseL44csr2gebsr_wavefront_per_row_multipass_kernelILi256ELi8ELi16ELi32E21rocsparse_complex_numIdEEEv20rocsparse_direction_iiiiii21rocsparse_index_base_PKT3_PKiS9_S4_PS5_PiSB_
	.p2align	8
	.type	_ZN9rocsparseL44csr2gebsr_wavefront_per_row_multipass_kernelILi256ELi8ELi16ELi32E21rocsparse_complex_numIdEEEv20rocsparse_direction_iiiiii21rocsparse_index_base_PKT3_PKiS9_S4_PS5_PiSB_,@function
_ZN9rocsparseL44csr2gebsr_wavefront_per_row_multipass_kernelILi256ELi8ELi16ELi32E21rocsparse_complex_numIdEEEv20rocsparse_direction_iiiiii21rocsparse_index_base_PKT3_PKiS9_S4_PS5_PiSB_: ; @_ZN9rocsparseL44csr2gebsr_wavefront_per_row_multipass_kernelILi256ELi8ELi16ELi32E21rocsparse_complex_numIdEEEv20rocsparse_direction_iiiiii21rocsparse_index_base_PKT3_PKiS9_S4_PS5_PiSB_
; %bb.0:
	s_clause 0x1
	s_load_b128 s[4:7], s[0:1], 0xc
	s_load_b64 s[14:15], s[0:1], 0x0
	s_bfe_u32 s2, ttmp6, 0x4000c
	s_and_b32 s3, ttmp6, 15
	s_add_co_i32 s2, s2, 1
	s_getreg_b32 s8, hwreg(HW_REG_IB_STS2, 6, 4)
	s_mul_i32 s2, ttmp9, s2
	v_dual_lshrrev_b32 v26, 5, v0 :: v_dual_mov_b32 v4, 0
	s_add_co_i32 s3, s3, s2
	s_cmp_eq_u32 s8, 0
	v_bfe_u32 v1, v0, 2, 3
	s_cselect_b32 s2, ttmp9, s3
	s_clause 0x1
	s_load_b32 s20, s[0:1], 0x1c
	s_load_b64 s[8:9], s[0:1], 0x28
	v_lshl_or_b32 v2, s2, 3, v26
	v_mov_b32_e32 v24, 0
	s_wait_kmcnt 0x0
	s_delay_alu instid0(VALU_DEP_2) | instskip(SKIP_1) | instid1(VALU_DEP_2)
	v_mad_u32 v3, v2, s6, v1
	v_cmp_gt_i32_e32 vcc_lo, s6, v1
	v_cmp_gt_i32_e64 s2, s15, v3
	s_and_b32 s2, vcc_lo, s2
	s_delay_alu instid0(SALU_CYCLE_1)
	s_and_saveexec_b32 s3, s2
	s_cbranch_execz .LBB200_2
; %bb.1:
	global_load_b32 v5, v3, s[8:9] scale_offset
	s_wait_loadcnt 0x0
	v_subrev_nc_u32_e32 v24, s20, v5
.LBB200_2:
	s_or_b32 exec_lo, exec_lo, s3
	v_mov_b32_e32 v27, 0
	s_and_saveexec_b32 s3, s2
	s_cbranch_execz .LBB200_4
; %bb.3:
	global_load_b32 v3, v3, s[8:9] offset:4 scale_offset
	s_wait_loadcnt 0x0
	v_subrev_nc_u32_e32 v27, s20, v3
.LBB200_4:
	s_or_b32 exec_lo, exec_lo, s3
	s_load_b32 s21, s[0:1], 0x38
	s_mov_b32 s3, exec_lo
	v_cmpx_gt_i32_e64 s4, v2
	s_cbranch_execz .LBB200_6
; %bb.5:
	s_load_b64 s[8:9], s[0:1], 0x48
	s_wait_kmcnt 0x0
	global_load_b32 v2, v2, s[8:9] scale_offset
	s_wait_loadcnt 0x0
	v_subrev_nc_u32_e32 v4, s21, v2
.LBB200_6:
	s_or_b32 exec_lo, exec_lo, s3
	s_cmp_lt_i32 s5, 1
	s_cbranch_scc1 .LBB200_38
; %bb.7:
	v_mbcnt_lo_u32_b32 v5, -1, 0
	s_clause 0x3
	s_load_b64 s[8:9], s[0:1], 0x50
	s_load_b64 s[2:3], s[0:1], 0x40
	;; [unrolled: 1-line block ×4, first 2 shown]
	v_dual_lshlrev_b32 v6, 8, v1 :: v_dual_bitop2_b32 v28, 3, v0 bitop3:0x40
	s_cmp_eq_u32 s14, 0
	v_xor_b32_e32 v3, 1, v5
	v_xor_b32_e32 v2, 2, v5
	;; [unrolled: 1-line block ×4, first 2 shown]
	v_lshl_or_b32 v29, v26, 11, v6
	s_mov_b32 s15, 0
	s_wait_xcnt 0x0
	v_cmp_gt_i32_e64 s0, 32, v2
	s_mov_b32 s16, s7
	v_cmp_gt_i32_e64 s1, 32, v8
	v_xor_b32_e32 v9, 8, v5
	v_lshl_or_b32 v32, v5, 2, 12
	v_cndmask_b32_e64 v2, v5, v2, s0
	v_cmp_gt_i32_e64 s0, 32, v3
	v_cndmask_b32_e64 v12, v5, v8, s1
	v_cmp_gt_i32_e64 s1, 32, v9
	v_dual_mov_b32 v42, 1 :: v_dual_mov_b32 v44, 0
	s_delay_alu instid0(VALU_DEP_4) | instskip(SKIP_3) | instid1(VALU_DEP_3)
	v_dual_cndmask_b32 v3, v5, v3, s0 :: v_dual_lshlrev_b32 v30, 2, v2
	v_mul_lo_u32 v2, s7, v1
	v_lshlrev_b32_e32 v0, 4, v28
	s_cselect_b32 s0, -1, 0
	v_lshlrev_b32_e32 v31, 2, v3
	s_cmp_lg_u32 s14, 0
	s_mov_b32 s14, s6
	s_cselect_b32 s22, -1, 0
	v_dual_mov_b32 v7, 0 :: v_dual_lshlrev_b32 v6, 4, v1
	s_ashr_i32 s17, s7, 31
	s_delay_alu instid0(VALU_DEP_4)
	v_dual_cndmask_b32 v13, v5, v9, s1 :: v_dual_ashrrev_i32 v3, 31, v2
	v_or_b32_e32 v33, v29, v0
	s_mul_u64 s[18:19], s[16:17], s[14:15]
	s_abs_i32 s16, s7
	v_mov_b32_e32 v1, v7
	s_wait_kmcnt 0x0
	v_lshl_add_u64 v[2:3], v[2:3], 4, s[2:3]
	v_lshlrev_b32_e32 v34, 2, v12
	v_cmp_gt_i32_e64 s1, 32, v10
	v_add_nc_u64_e32 v[8:9], s[2:3], v[6:7]
	s_cvt_f32_u32 s3, s16
	v_mul_lo_u32 v12, v28, s6
	s_lshl_b32 s6, s6, 2
	v_cndmask_b32_e64 v5, v5, v10, s1
	v_add_nc_u64_e32 v[10:11], v[2:3], v[0:1]
	v_rcp_iflag_f32_e32 v1, s3
	v_or_b32_e32 v0, 4, v28
	v_or_b32_e32 v38, 64, v33
	v_cmp_gt_u32_e64 s1, s7, v28
	v_dual_mov_b32 v15, v7 :: v_dual_lshlrev_b32 v35, 2, v13
	v_mov_b32_e32 v13, v7
	s_delay_alu instid0(TRANS32_DEP_1)
	v_readfirstlane_b32 s14, v1
	v_cmp_gt_u32_e64 s2, s7, v0
	v_or_b32_e32 v0, 8, v28
	v_dual_add_nc_u32 v14, s6, v12 :: v_dual_lshlrev_b32 v36, 2, v5
	v_mov_b32_e32 v37, 0x7c
	s_mul_f32 s14, s14, 0x4f7ffffe
	s_delay_alu instid0(VALU_DEP_3) | instskip(NEXT) | instid1(VALU_DEP_3)
	v_cmp_gt_u32_e64 s3, s7, v0
	v_dual_add_nc_u32 v16, s6, v14 :: v_dual_bitop2_b32 v0, 12, v28 bitop3:0x54
	s_delay_alu instid0(SALU_CYCLE_1) | instskip(SKIP_2) | instid1(VALU_DEP_3)
	s_cvt_u32_f32 s14, s14
	v_mov_b32_e32 v17, v7
	v_or_b32_e32 v39, 0x80, v33
	v_cmp_gt_u32_e64 s4, s7, v0
	v_add_nc_u32_e32 v18, s6, v16
	s_and_b32 s6, s1, vcc_lo
	s_sub_co_i32 s1, 0, s16
	v_or_b32_e32 v40, 0xc0, v33
	s_mul_i32 s1, s1, s14
	v_dual_mov_b32 v19, v7 :: v_dual_bitop2_b32 v41, -4, v28 bitop3:0x54
	v_dual_mov_b32 v0, v7 :: v_dual_mov_b32 v1, v7
	v_dual_mov_b32 v2, v7 :: v_dual_mov_b32 v3, v7
	s_mul_hi_u32 s1, s14, s1
	s_and_b32 s2, vcc_lo, s2
	s_and_b32 s3, vcc_lo, s3
	;; [unrolled: 1-line block ×3, first 2 shown]
	s_add_co_i32 s14, s14, s1
	s_mov_b32 s23, s15
	s_branch .LBB200_10
.LBB200_8:                              ;   in Loop: Header=BB200_10 Depth=1
	s_wait_xcnt 0x0
	s_or_b32 exec_lo, exec_lo, s24
	v_mov_b32_e32 v5, 1
.LBB200_9:                              ;   in Loop: Header=BB200_10 Depth=1
	s_or_b32 exec_lo, exec_lo, s1
	ds_bpermute_b32 v6, v34, v43
	s_wait_storecnt_dscnt 0x0
	v_dual_add_nc_u32 v4, v5, v4 :: v_dual_min_i32 v6, v6, v43
	ds_bpermute_b32 v20, v35, v6
	s_wait_dscnt 0x0
	v_min_i32_e32 v6, v20, v6
	ds_bpermute_b32 v20, v36, v6
	s_wait_dscnt 0x0
	v_min_i32_e32 v6, v20, v6
	;; [unrolled: 3-line block ×4, first 2 shown]
	ds_bpermute_b32 v44, v37, v6
	s_wait_dscnt 0x0
	v_cmp_le_i32_e32 vcc_lo, s5, v44
	s_or_b32 s23, vcc_lo, s23
	s_delay_alu instid0(SALU_CYCLE_1)
	s_and_not1_b32 exec_lo, exec_lo, s23
	s_cbranch_execz .LBB200_38
.LBB200_10:                             ; =>This Loop Header: Depth=1
                                        ;     Child Loop BB200_11 Depth 2
                                        ;     Child Loop BB200_15 Depth 2
	v_dual_mov_b32 v5, v33 :: v_dual_mov_b32 v6, v41
	s_mov_b32 s1, 0
	ds_store_b8 v26, v7 offset:16384
.LBB200_11:                             ;   Parent Loop BB200_10 Depth=1
                                        ; =>  This Inner Loop Header: Depth=2
	v_add_nc_u32_e32 v6, 4, v6
	ds_store_b128 v5, v[0:3]
	v_add_nc_u32_e32 v5, 64, v5
	v_cmp_lt_u32_e32 vcc_lo, 11, v6
	s_or_b32 s1, vcc_lo, s1
	s_delay_alu instid0(SALU_CYCLE_1)
	s_and_not1_b32 exec_lo, exec_lo, s1
	s_cbranch_execnz .LBB200_11
; %bb.12:                               ;   in Loop: Header=BB200_10 Depth=1
	s_or_b32 exec_lo, exec_lo, s1
	v_dual_mov_b32 v43, s5 :: v_dual_add_nc_u32 v20, v24, v28
	v_mov_b32_e32 v21, v27
	s_mov_b32 s24, exec_lo
	s_wait_dscnt 0x0
	s_delay_alu instid0(VALU_DEP_2)
	v_cmpx_lt_i32_e64 v20, v27
	s_cbranch_execz .LBB200_20
; %bb.13:                               ;   in Loop: Header=BB200_10 Depth=1
	v_mul_lo_u32 v5, v44, s7
	v_dual_ashrrev_i32 v21, 31, v20 :: v_dual_mov_b32 v43, s5
	s_mov_b32 s25, 0
	s_delay_alu instid0(VALU_DEP_1)
	v_lshl_add_u64 v[22:23], v[20:21], 2, s[12:13]
	v_lshl_add_u64 v[24:25], v[20:21], 4, s[10:11]
	v_mov_b32_e32 v21, v27
	s_branch .LBB200_15
.LBB200_14:                             ;   in Loop: Header=BB200_15 Depth=2
	s_wait_xcnt 0x0
	s_or_b32 exec_lo, exec_lo, s1
	v_add_nc_u32_e32 v20, 4, v20
	s_xor_b32 s26, vcc_lo, -1
	v_add_nc_u64_e32 v[22:23], 16, v[22:23]
	v_add_nc_u64_e32 v[24:25], 64, v[24:25]
	s_delay_alu instid0(VALU_DEP_3) | instskip(SKIP_1) | instid1(SALU_CYCLE_1)
	v_cmp_ge_i32_e64 s1, v20, v27
	s_or_b32 s1, s26, s1
	s_and_b32 s1, exec_lo, s1
	s_delay_alu instid0(SALU_CYCLE_1) | instskip(NEXT) | instid1(SALU_CYCLE_1)
	s_or_b32 s25, s1, s25
	s_and_not1_b32 exec_lo, exec_lo, s25
	s_cbranch_execz .LBB200_19
.LBB200_15:                             ;   Parent Loop BB200_10 Depth=1
                                        ; =>  This Inner Loop Header: Depth=2
	global_load_b32 v6, v[22:23], off
	s_wait_loadcnt 0x0
	v_subrev_nc_u32_e32 v45, s20, v6
	s_delay_alu instid0(VALU_DEP_1) | instskip(NEXT) | instid1(VALU_DEP_1)
	v_sub_nc_u32_e32 v6, 0, v45
	v_max_i32_e32 v6, v45, v6
	s_delay_alu instid0(VALU_DEP_1) | instskip(NEXT) | instid1(VALU_DEP_1)
	v_mul_u64_e32 v[46:47], s[14:15], v[6:7]
	v_mul_lo_u32 v46, v47, s16
	s_delay_alu instid0(VALU_DEP_1) | instskip(NEXT) | instid1(VALU_DEP_1)
	v_dual_sub_nc_u32 v6, v6, v46 :: v_dual_add_nc_u32 v46, 1, v47
	v_cmp_le_u32_e32 vcc_lo, s16, v6
	s_delay_alu instid0(VALU_DEP_2) | instskip(SKIP_1) | instid1(VALU_DEP_1)
	v_cndmask_b32_e32 v46, v47, v46, vcc_lo
	v_subrev_nc_u32_e32 v48, s16, v6
	v_dual_cndmask_b32 v6, v6, v48 :: v_dual_ashrrev_i32 v47, 31, v45
	s_delay_alu instid0(VALU_DEP_3) | instskip(NEXT) | instid1(VALU_DEP_2)
	v_add_nc_u32_e32 v48, 1, v46
	v_cmp_le_u32_e32 vcc_lo, s16, v6
	s_delay_alu instid0(VALU_DEP_2) | instskip(NEXT) | instid1(VALU_DEP_1)
	v_dual_cndmask_b32 v6, v46, v48, vcc_lo :: v_dual_bitop2_b32 v47, s17, v47 bitop3:0x14
	v_xor_b32_e32 v6, v6, v47
	s_delay_alu instid0(VALU_DEP_1) | instskip(NEXT) | instid1(VALU_DEP_1)
	v_dual_sub_nc_u32 v46, v6, v47 :: v_dual_mov_b32 v6, v21
	v_cmp_ne_u32_e64 s1, v46, v44
	v_cmp_eq_u32_e32 vcc_lo, v46, v44
	s_wait_xcnt 0x0
	s_and_saveexec_b32 s26, s1
	s_delay_alu instid0(SALU_CYCLE_1)
	s_xor_b32 s1, exec_lo, s26
; %bb.16:                               ;   in Loop: Header=BB200_15 Depth=2
	v_min_i32_e32 v43, v46, v43
                                        ; implicit-def: $vgpr45
                                        ; implicit-def: $vgpr6
; %bb.17:                               ;   in Loop: Header=BB200_15 Depth=2
	s_or_saveexec_b32 s1, s1
	v_mov_b32_e32 v21, v20
	s_xor_b32 exec_lo, exec_lo, s1
	s_cbranch_execz .LBB200_14
; %bb.18:                               ;   in Loop: Header=BB200_15 Depth=2
	global_load_b128 v[46:49], v[24:25], off
	v_sub_nc_u32_e32 v21, v45, v5
	s_delay_alu instid0(VALU_DEP_1)
	v_lshl_add_u32 v45, v21, 4, v29
	v_mov_b32_e32 v21, v6
	ds_store_b8 v26, v42 offset:16384
	s_wait_loadcnt 0x0
	ds_store_2addr_b64 v45, v[46:47], v[48:49] offset1:1
	s_branch .LBB200_14
.LBB200_19:                             ;   in Loop: Header=BB200_10 Depth=1
	s_or_b32 exec_lo, exec_lo, s25
.LBB200_20:                             ;   in Loop: Header=BB200_10 Depth=1
	s_delay_alu instid0(SALU_CYCLE_1)
	s_or_b32 exec_lo, exec_lo, s24
	ds_bpermute_b32 v5, v30, v21
	s_wait_dscnt 0x0
	ds_load_u8 v20, v26 offset:16384
	v_min_i32_e32 v5, v5, v21
	ds_bpermute_b32 v6, v31, v5
	s_wait_dscnt 0x0
	v_min_i32_e32 v5, v6, v5
	ds_bpermute_b32 v24, v32, v5
	v_and_b32_e32 v5, 1, v20
	s_delay_alu instid0(VALU_DEP_1)
	v_cmp_eq_u32_e32 vcc_lo, 1, v5
	v_mov_b32_e32 v5, 0
	s_and_saveexec_b32 s1, vcc_lo
	s_cbranch_execz .LBB200_9
; %bb.21:                               ;   in Loop: Header=BB200_10 Depth=1
	v_ashrrev_i32_e32 v5, 31, v4
	s_delay_alu instid0(VALU_DEP_1) | instskip(SKIP_3) | instid1(VALU_DEP_1)
	v_mul_u64_e32 v[20:21], s[18:19], v[4:5]
	v_add_nc_u32_e32 v5, s21, v44
	global_store_b32 v4, v5, s[8:9] scale_offset
	v_lshlrev_b64_e32 v[20:21], 4, v[20:21]
	v_add_nc_u64_e32 v[22:23], v[8:9], v[20:21]
	v_add_nc_u64_e32 v[20:21], v[10:11], v[20:21]
	s_wait_xcnt 0x0
	s_and_saveexec_b32 s24, s6
	s_cbranch_execz .LBB200_23
; %bb.22:                               ;   in Loop: Header=BB200_10 Depth=1
	ds_load_2addr_b64 v[44:47], v33 offset1:1
	v_lshl_add_u64 v[48:49], v[12:13], 4, v[22:23]
	s_delay_alu instid0(VALU_DEP_1)
	v_dual_cndmask_b32 v49, v49, v21, s0 :: v_dual_cndmask_b32 v48, v48, v20, s0
	s_wait_dscnt 0x0
	global_store_b128 v[48:49], v[44:47], off
.LBB200_23:                             ;   in Loop: Header=BB200_10 Depth=1
	s_wait_xcnt 0x0
	s_or_b32 exec_lo, exec_lo, s24
	s_and_saveexec_b32 s24, s2
	s_cbranch_execz .LBB200_28
; %bb.24:                               ;   in Loop: Header=BB200_10 Depth=1
	s_and_not1_b32 vcc_lo, exec_lo, s22
	s_mov_b32 s25, -1
	s_cbranch_vccnz .LBB200_26
; %bb.25:                               ;   in Loop: Header=BB200_10 Depth=1
	ds_load_2addr_b64 v[44:47], v38 offset1:1
	v_lshl_add_u64 v[48:49], v[14:15], 4, v[22:23]
	s_mov_b32 s25, 0
	s_wait_dscnt 0x0
	global_store_b128 v[48:49], v[44:47], off
.LBB200_26:                             ;   in Loop: Header=BB200_10 Depth=1
	s_and_not1_b32 vcc_lo, exec_lo, s25
	s_cbranch_vccnz .LBB200_28
; %bb.27:                               ;   in Loop: Header=BB200_10 Depth=1
	s_wait_xcnt 0x0
	ds_load_2addr_b64 v[44:47], v38 offset1:1
	s_wait_dscnt 0x0
	global_store_b128 v[20:21], v[44:47], off offset:64
.LBB200_28:                             ;   in Loop: Header=BB200_10 Depth=1
	s_wait_xcnt 0x0
	s_or_b32 exec_lo, exec_lo, s24
	s_and_saveexec_b32 s24, s3
	s_cbranch_execz .LBB200_33
; %bb.29:                               ;   in Loop: Header=BB200_10 Depth=1
	s_and_not1_b32 vcc_lo, exec_lo, s22
	s_mov_b32 s25, -1
	s_cbranch_vccnz .LBB200_31
; %bb.30:                               ;   in Loop: Header=BB200_10 Depth=1
	ds_load_2addr_b64 v[44:47], v39 offset1:1
	v_lshl_add_u64 v[48:49], v[16:17], 4, v[22:23]
	s_mov_b32 s25, 0
	s_wait_dscnt 0x0
	global_store_b128 v[48:49], v[44:47], off
.LBB200_31:                             ;   in Loop: Header=BB200_10 Depth=1
	s_and_not1_b32 vcc_lo, exec_lo, s25
	s_cbranch_vccnz .LBB200_33
; %bb.32:                               ;   in Loop: Header=BB200_10 Depth=1
	s_wait_xcnt 0x0
	ds_load_2addr_b64 v[44:47], v39 offset1:1
	s_wait_dscnt 0x0
	global_store_b128 v[20:21], v[44:47], off offset:128
.LBB200_33:                             ;   in Loop: Header=BB200_10 Depth=1
	s_wait_xcnt 0x0
	s_or_b32 exec_lo, exec_lo, s24
	s_and_saveexec_b32 s24, s4
	s_cbranch_execz .LBB200_8
; %bb.34:                               ;   in Loop: Header=BB200_10 Depth=1
	s_and_not1_b32 vcc_lo, exec_lo, s22
	s_mov_b32 s25, -1
	s_cbranch_vccnz .LBB200_36
; %bb.35:                               ;   in Loop: Header=BB200_10 Depth=1
	ds_load_2addr_b64 v[44:47], v40 offset1:1
	v_lshl_add_u64 v[22:23], v[18:19], 4, v[22:23]
	s_mov_b32 s25, 0
	s_wait_dscnt 0x0
	global_store_b128 v[22:23], v[44:47], off
.LBB200_36:                             ;   in Loop: Header=BB200_10 Depth=1
	s_and_not1_b32 vcc_lo, exec_lo, s25
	s_cbranch_vccnz .LBB200_8
; %bb.37:                               ;   in Loop: Header=BB200_10 Depth=1
	s_wait_xcnt 0x0
	ds_load_2addr_b64 v[44:47], v40 offset1:1
	s_wait_dscnt 0x0
	global_store_b128 v[20:21], v[44:47], off offset:192
	s_branch .LBB200_8
.LBB200_38:
	s_endpgm
	.section	.rodata,"a",@progbits
	.p2align	6, 0x0
	.amdhsa_kernel _ZN9rocsparseL44csr2gebsr_wavefront_per_row_multipass_kernelILi256ELi8ELi16ELi32E21rocsparse_complex_numIdEEEv20rocsparse_direction_iiiiii21rocsparse_index_base_PKT3_PKiS9_S4_PS5_PiSB_
		.amdhsa_group_segment_fixed_size 16392
		.amdhsa_private_segment_fixed_size 0
		.amdhsa_kernarg_size 88
		.amdhsa_user_sgpr_count 2
		.amdhsa_user_sgpr_dispatch_ptr 0
		.amdhsa_user_sgpr_queue_ptr 0
		.amdhsa_user_sgpr_kernarg_segment_ptr 1
		.amdhsa_user_sgpr_dispatch_id 0
		.amdhsa_user_sgpr_kernarg_preload_length 0
		.amdhsa_user_sgpr_kernarg_preload_offset 0
		.amdhsa_user_sgpr_private_segment_size 0
		.amdhsa_wavefront_size32 1
		.amdhsa_uses_dynamic_stack 0
		.amdhsa_enable_private_segment 0
		.amdhsa_system_sgpr_workgroup_id_x 1
		.amdhsa_system_sgpr_workgroup_id_y 0
		.amdhsa_system_sgpr_workgroup_id_z 0
		.amdhsa_system_sgpr_workgroup_info 0
		.amdhsa_system_vgpr_workitem_id 0
		.amdhsa_next_free_vgpr 50
		.amdhsa_next_free_sgpr 27
		.amdhsa_named_barrier_count 0
		.amdhsa_reserve_vcc 1
		.amdhsa_float_round_mode_32 0
		.amdhsa_float_round_mode_16_64 0
		.amdhsa_float_denorm_mode_32 3
		.amdhsa_float_denorm_mode_16_64 3
		.amdhsa_fp16_overflow 0
		.amdhsa_memory_ordered 1
		.amdhsa_forward_progress 1
		.amdhsa_inst_pref_size 15
		.amdhsa_round_robin_scheduling 0
		.amdhsa_exception_fp_ieee_invalid_op 0
		.amdhsa_exception_fp_denorm_src 0
		.amdhsa_exception_fp_ieee_div_zero 0
		.amdhsa_exception_fp_ieee_overflow 0
		.amdhsa_exception_fp_ieee_underflow 0
		.amdhsa_exception_fp_ieee_inexact 0
		.amdhsa_exception_int_div_zero 0
	.end_amdhsa_kernel
	.section	.text._ZN9rocsparseL44csr2gebsr_wavefront_per_row_multipass_kernelILi256ELi8ELi16ELi32E21rocsparse_complex_numIdEEEv20rocsparse_direction_iiiiii21rocsparse_index_base_PKT3_PKiS9_S4_PS5_PiSB_,"axG",@progbits,_ZN9rocsparseL44csr2gebsr_wavefront_per_row_multipass_kernelILi256ELi8ELi16ELi32E21rocsparse_complex_numIdEEEv20rocsparse_direction_iiiiii21rocsparse_index_base_PKT3_PKiS9_S4_PS5_PiSB_,comdat
.Lfunc_end200:
	.size	_ZN9rocsparseL44csr2gebsr_wavefront_per_row_multipass_kernelILi256ELi8ELi16ELi32E21rocsparse_complex_numIdEEEv20rocsparse_direction_iiiiii21rocsparse_index_base_PKT3_PKiS9_S4_PS5_PiSB_, .Lfunc_end200-_ZN9rocsparseL44csr2gebsr_wavefront_per_row_multipass_kernelILi256ELi8ELi16ELi32E21rocsparse_complex_numIdEEEv20rocsparse_direction_iiiiii21rocsparse_index_base_PKT3_PKiS9_S4_PS5_PiSB_
                                        ; -- End function
	.set _ZN9rocsparseL44csr2gebsr_wavefront_per_row_multipass_kernelILi256ELi8ELi16ELi32E21rocsparse_complex_numIdEEEv20rocsparse_direction_iiiiii21rocsparse_index_base_PKT3_PKiS9_S4_PS5_PiSB_.num_vgpr, 50
	.set _ZN9rocsparseL44csr2gebsr_wavefront_per_row_multipass_kernelILi256ELi8ELi16ELi32E21rocsparse_complex_numIdEEEv20rocsparse_direction_iiiiii21rocsparse_index_base_PKT3_PKiS9_S4_PS5_PiSB_.num_agpr, 0
	.set _ZN9rocsparseL44csr2gebsr_wavefront_per_row_multipass_kernelILi256ELi8ELi16ELi32E21rocsparse_complex_numIdEEEv20rocsparse_direction_iiiiii21rocsparse_index_base_PKT3_PKiS9_S4_PS5_PiSB_.numbered_sgpr, 27
	.set _ZN9rocsparseL44csr2gebsr_wavefront_per_row_multipass_kernelILi256ELi8ELi16ELi32E21rocsparse_complex_numIdEEEv20rocsparse_direction_iiiiii21rocsparse_index_base_PKT3_PKiS9_S4_PS5_PiSB_.num_named_barrier, 0
	.set _ZN9rocsparseL44csr2gebsr_wavefront_per_row_multipass_kernelILi256ELi8ELi16ELi32E21rocsparse_complex_numIdEEEv20rocsparse_direction_iiiiii21rocsparse_index_base_PKT3_PKiS9_S4_PS5_PiSB_.private_seg_size, 0
	.set _ZN9rocsparseL44csr2gebsr_wavefront_per_row_multipass_kernelILi256ELi8ELi16ELi32E21rocsparse_complex_numIdEEEv20rocsparse_direction_iiiiii21rocsparse_index_base_PKT3_PKiS9_S4_PS5_PiSB_.uses_vcc, 1
	.set _ZN9rocsparseL44csr2gebsr_wavefront_per_row_multipass_kernelILi256ELi8ELi16ELi32E21rocsparse_complex_numIdEEEv20rocsparse_direction_iiiiii21rocsparse_index_base_PKT3_PKiS9_S4_PS5_PiSB_.uses_flat_scratch, 0
	.set _ZN9rocsparseL44csr2gebsr_wavefront_per_row_multipass_kernelILi256ELi8ELi16ELi32E21rocsparse_complex_numIdEEEv20rocsparse_direction_iiiiii21rocsparse_index_base_PKT3_PKiS9_S4_PS5_PiSB_.has_dyn_sized_stack, 0
	.set _ZN9rocsparseL44csr2gebsr_wavefront_per_row_multipass_kernelILi256ELi8ELi16ELi32E21rocsparse_complex_numIdEEEv20rocsparse_direction_iiiiii21rocsparse_index_base_PKT3_PKiS9_S4_PS5_PiSB_.has_recursion, 0
	.set _ZN9rocsparseL44csr2gebsr_wavefront_per_row_multipass_kernelILi256ELi8ELi16ELi32E21rocsparse_complex_numIdEEEv20rocsparse_direction_iiiiii21rocsparse_index_base_PKT3_PKiS9_S4_PS5_PiSB_.has_indirect_call, 0
	.section	.AMDGPU.csdata,"",@progbits
; Kernel info:
; codeLenInByte = 1888
; TotalNumSgprs: 29
; NumVgprs: 50
; ScratchSize: 0
; MemoryBound: 0
; FloatMode: 240
; IeeeMode: 1
; LDSByteSize: 16392 bytes/workgroup (compile time only)
; SGPRBlocks: 0
; VGPRBlocks: 3
; NumSGPRsForWavesPerEU: 29
; NumVGPRsForWavesPerEU: 50
; NamedBarCnt: 0
; Occupancy: 16
; WaveLimiterHint : 0
; COMPUTE_PGM_RSRC2:SCRATCH_EN: 0
; COMPUTE_PGM_RSRC2:USER_SGPR: 2
; COMPUTE_PGM_RSRC2:TRAP_HANDLER: 0
; COMPUTE_PGM_RSRC2:TGID_X_EN: 1
; COMPUTE_PGM_RSRC2:TGID_Y_EN: 0
; COMPUTE_PGM_RSRC2:TGID_Z_EN: 0
; COMPUTE_PGM_RSRC2:TIDIG_COMP_CNT: 0
	.section	.text._ZN9rocsparseL44csr2gebsr_wavefront_per_row_multipass_kernelILi256ELi8ELi32ELi64E21rocsparse_complex_numIdEEEv20rocsparse_direction_iiiiii21rocsparse_index_base_PKT3_PKiS9_S4_PS5_PiSB_,"axG",@progbits,_ZN9rocsparseL44csr2gebsr_wavefront_per_row_multipass_kernelILi256ELi8ELi32ELi64E21rocsparse_complex_numIdEEEv20rocsparse_direction_iiiiii21rocsparse_index_base_PKT3_PKiS9_S4_PS5_PiSB_,comdat
	.globl	_ZN9rocsparseL44csr2gebsr_wavefront_per_row_multipass_kernelILi256ELi8ELi32ELi64E21rocsparse_complex_numIdEEEv20rocsparse_direction_iiiiii21rocsparse_index_base_PKT3_PKiS9_S4_PS5_PiSB_ ; -- Begin function _ZN9rocsparseL44csr2gebsr_wavefront_per_row_multipass_kernelILi256ELi8ELi32ELi64E21rocsparse_complex_numIdEEEv20rocsparse_direction_iiiiii21rocsparse_index_base_PKT3_PKiS9_S4_PS5_PiSB_
	.p2align	8
	.type	_ZN9rocsparseL44csr2gebsr_wavefront_per_row_multipass_kernelILi256ELi8ELi32ELi64E21rocsparse_complex_numIdEEEv20rocsparse_direction_iiiiii21rocsparse_index_base_PKT3_PKiS9_S4_PS5_PiSB_,@function
_ZN9rocsparseL44csr2gebsr_wavefront_per_row_multipass_kernelILi256ELi8ELi32ELi64E21rocsparse_complex_numIdEEEv20rocsparse_direction_iiiiii21rocsparse_index_base_PKT3_PKiS9_S4_PS5_PiSB_: ; @_ZN9rocsparseL44csr2gebsr_wavefront_per_row_multipass_kernelILi256ELi8ELi32ELi64E21rocsparse_complex_numIdEEEv20rocsparse_direction_iiiiii21rocsparse_index_base_PKT3_PKiS9_S4_PS5_PiSB_
; %bb.0:
	s_clause 0x1
	s_load_b128 s[4:7], s[0:1], 0xc
	s_load_b64 s[14:15], s[0:1], 0x0
	s_bfe_u32 s2, ttmp6, 0x4000c
	s_and_b32 s3, ttmp6, 15
	s_add_co_i32 s2, s2, 1
	s_getreg_b32 s8, hwreg(HW_REG_IB_STS2, 6, 4)
	s_mul_i32 s2, ttmp9, s2
	v_dual_lshrrev_b32 v26, 6, v0 :: v_dual_mov_b32 v4, 0
	s_add_co_i32 s3, s3, s2
	s_cmp_eq_u32 s8, 0
	v_bfe_u32 v1, v0, 3, 3
	s_cselect_b32 s2, ttmp9, s3
	s_clause 0x1
	s_load_b32 s20, s[0:1], 0x1c
	s_load_b64 s[8:9], s[0:1], 0x28
	v_lshl_or_b32 v2, s2, 2, v26
	v_mov_b32_e32 v24, 0
	s_wait_kmcnt 0x0
	s_delay_alu instid0(VALU_DEP_2) | instskip(SKIP_1) | instid1(VALU_DEP_2)
	v_mad_u32 v3, v2, s6, v1
	v_cmp_gt_i32_e32 vcc_lo, s6, v1
	v_cmp_gt_i32_e64 s2, s15, v3
	s_and_b32 s2, vcc_lo, s2
	s_delay_alu instid0(SALU_CYCLE_1)
	s_and_saveexec_b32 s3, s2
	s_cbranch_execz .LBB201_2
; %bb.1:
	global_load_b32 v5, v3, s[8:9] scale_offset
	s_wait_loadcnt 0x0
	v_subrev_nc_u32_e32 v24, s20, v5
.LBB201_2:
	s_or_b32 exec_lo, exec_lo, s3
	v_mov_b32_e32 v27, 0
	s_and_saveexec_b32 s3, s2
	s_cbranch_execz .LBB201_4
; %bb.3:
	global_load_b32 v3, v3, s[8:9] offset:4 scale_offset
	s_wait_loadcnt 0x0
	v_subrev_nc_u32_e32 v27, s20, v3
.LBB201_4:
	s_or_b32 exec_lo, exec_lo, s3
	s_load_b32 s21, s[0:1], 0x38
	s_mov_b32 s3, exec_lo
	v_cmpx_gt_i32_e64 s4, v2
	s_cbranch_execz .LBB201_6
; %bb.5:
	s_load_b64 s[8:9], s[0:1], 0x48
	s_wait_kmcnt 0x0
	global_load_b32 v2, v2, s[8:9] scale_offset
	s_wait_loadcnt 0x0
	v_subrev_nc_u32_e32 v4, s21, v2
.LBB201_6:
	s_or_b32 exec_lo, exec_lo, s3
	s_cmp_lt_i32 s5, 1
	s_cbranch_scc1 .LBB201_38
; %bb.7:
	v_mbcnt_lo_u32_b32 v5, -1, 0
	v_dual_lshlrev_b32 v3, 9, v1 :: v_dual_bitop2_b32 v28, 7, v0 bitop3:0x40
	s_clause 0x3
	s_load_b64 s[8:9], s[0:1], 0x50
	s_load_b64 s[2:3], s[0:1], 0x40
	;; [unrolled: 1-line block ×4, first 2 shown]
	v_dual_mov_b32 v7, 0 :: v_dual_bitop2_b32 v0, 2, v5 bitop3:0x14
	v_xor_b32_e32 v2, 4, v5
	v_or_b32_e32 v8, 32, v5
	v_lshl_or_b32 v29, v26, 12, v3
	s_cmp_eq_u32 s14, 0
	s_mov_b32 s15, 0
	s_wait_xcnt 0x0
	v_cmp_gt_i32_e64 s0, 32, v2
	s_mov_b32 s16, s7
	v_lshl_or_b32 v33, v5, 2, 28
	v_bfrev_b32_e32 v38, 0.5
	v_dual_mov_b32 v45, 0 :: v_dual_cndmask_b32 v2, v5, v2, s0
	v_xor_b32_e32 v6, 1, v5
	v_cmp_gt_i32_e64 s0, 32, v0
	s_mov_b32 s23, s15
	v_dual_mov_b32 v43, 1 :: v_dual_lshlrev_b32 v30, 2, v2
	v_mul_lo_u32 v2, s7, v1
	v_cndmask_b32_e64 v0, v5, v0, s0
	v_cmp_gt_i32_e64 s0, 32, v6
	s_delay_alu instid0(VALU_DEP_1)
	v_dual_lshlrev_b32 v31, 2, v0 :: v_dual_cndmask_b32 v6, v5, v6, s0
	v_lshlrev_b32_e32 v0, 4, v28
	s_cselect_b32 s0, -1, 0
	s_cmp_lg_u32 s14, 0
	v_ashrrev_i32_e32 v3, 31, v2
	v_dual_lshlrev_b32 v32, 2, v6 :: v_dual_lshlrev_b32 v6, 4, v1
	v_mov_b32_e32 v1, v7
	v_cmp_gt_i32_e64 s1, 32, v8
	v_xor_b32_e32 v9, 16, v5
	v_or_b32_e32 v34, v29, v0
	s_cselect_b32 s22, -1, 0
	s_mov_b32 s14, s6
	v_dual_cndmask_b32 v12, v5, v8, s1 :: v_dual_bitop2_b32 v10, 8, v5 bitop3:0x14
	v_cmp_gt_i32_e64 s1, 32, v9
	s_ashr_i32 s17, s7, 31
	s_wait_kmcnt 0x0
	v_lshl_add_u64 v[2:3], v[2:3], 4, s[2:3]
	s_mul_u64 s[18:19], s[16:17], s[14:15]
	s_abs_i32 s16, s7
	v_dual_lshlrev_b32 v35, 2, v12 :: v_dual_cndmask_b32 v13, v5, v9, s1
	v_cmp_gt_i32_e64 s1, 32, v10
	v_add_nc_u64_e32 v[8:9], s[2:3], v[6:7]
	s_cvt_f32_u32 s3, s16
	v_mul_lo_u32 v12, v28, s6
	s_lshl_b32 s6, s6, 3
	v_cndmask_b32_e64 v5, v5, v10, s1
	v_add_nc_u64_e32 v[10:11], v[2:3], v[0:1]
	v_rcp_iflag_f32_e32 v1, s3
	v_dual_lshlrev_b32 v36, 2, v13 :: v_dual_bitop2_b32 v0, 8, v28 bitop3:0x54
	v_cmp_gt_u32_e64 s1, s7, v28
	v_dual_mov_b32 v15, v7 :: v_dual_mov_b32 v17, v7
	v_dual_lshlrev_b32 v37, 2, v5 :: v_dual_mov_b32 v13, v7
	s_delay_alu instid0(TRANS32_DEP_1)
	v_readfirstlane_b32 s14, v1
	v_cmp_gt_u32_e64 s2, s7, v0
	v_or_b32_e32 v0, 16, v28
	v_add_nc_u32_e32 v14, s6, v12
	v_or_b32_e32 v39, 0x80, v34
	s_mul_f32 s14, s14, 0x4f7ffffe
	v_or_b32_e32 v40, 0x100, v34
	v_cmp_gt_u32_e64 s3, s7, v0
	v_dual_add_nc_u32 v16, s6, v14 :: v_dual_bitop2_b32 v0, 24, v28 bitop3:0x54
	s_cvt_u32_f32 s14, s14
	v_or_b32_e32 v41, 0x180, v34
	v_mov_b32_e32 v19, v7
	s_delay_alu instid0(VALU_DEP_3)
	v_cmp_gt_u32_e64 s4, s7, v0
	v_add_nc_u32_e32 v18, s6, v16
	s_and_b32 s6, s1, vcc_lo
	s_sub_co_i32 s1, 0, s16
	v_dual_mov_b32 v0, v7 :: v_dual_bitop2_b32 v42, -8, v28 bitop3:0x54
	s_mul_i32 s1, s1, s14
	v_dual_mov_b32 v1, v7 :: v_dual_mov_b32 v2, v7
	v_mov_b32_e32 v3, v7
	s_mul_hi_u32 s1, s14, s1
	s_and_b32 s2, vcc_lo, s2
	s_and_b32 s3, vcc_lo, s3
	;; [unrolled: 1-line block ×3, first 2 shown]
	s_add_co_i32 s14, s14, s1
	s_branch .LBB201_10
.LBB201_8:                              ;   in Loop: Header=BB201_10 Depth=1
	s_wait_xcnt 0x0
	s_or_b32 exec_lo, exec_lo, s24
	v_mov_b32_e32 v5, 1
.LBB201_9:                              ;   in Loop: Header=BB201_10 Depth=1
	s_or_b32 exec_lo, exec_lo, s1
	ds_bpermute_b32 v6, v35, v44
	s_wait_storecnt_dscnt 0x0
	v_add_nc_u32_e32 v4, v5, v4
	v_min_i32_e32 v6, v6, v44
	ds_bpermute_b32 v20, v36, v6
	s_wait_dscnt 0x0
	v_min_i32_e32 v6, v20, v6
	ds_bpermute_b32 v20, v37, v6
	s_wait_dscnt 0x0
	v_min_i32_e32 v6, v20, v6
	ds_bpermute_b32 v20, v30, v6
	s_wait_dscnt 0x0
	v_min_i32_e32 v6, v20, v6
	ds_bpermute_b32 v20, v31, v6
	s_wait_dscnt 0x0
	v_min_i32_e32 v6, v20, v6
	ds_bpermute_b32 v20, v32, v6
	s_wait_dscnt 0x0
	v_min_i32_e32 v6, v20, v6
	ds_bpermute_b32 v45, v38, v6
	s_wait_dscnt 0x0
	v_cmp_le_i32_e32 vcc_lo, s5, v45
	s_or_b32 s23, vcc_lo, s23
	s_delay_alu instid0(SALU_CYCLE_1)
	s_and_not1_b32 exec_lo, exec_lo, s23
	s_cbranch_execz .LBB201_38
.LBB201_10:                             ; =>This Loop Header: Depth=1
                                        ;     Child Loop BB201_11 Depth 2
                                        ;     Child Loop BB201_15 Depth 2
	v_dual_mov_b32 v5, v34 :: v_dual_mov_b32 v6, v42
	s_mov_b32 s1, 0
	ds_store_b8 v26, v7 offset:16384
.LBB201_11:                             ;   Parent Loop BB201_10 Depth=1
                                        ; =>  This Inner Loop Header: Depth=2
	v_add_nc_u32_e32 v6, 8, v6
	ds_store_b128 v5, v[0:3]
	v_add_nc_u32_e32 v5, 0x80, v5
	v_cmp_lt_u32_e32 vcc_lo, 23, v6
	s_or_b32 s1, vcc_lo, s1
	s_delay_alu instid0(SALU_CYCLE_1)
	s_and_not1_b32 exec_lo, exec_lo, s1
	s_cbranch_execnz .LBB201_11
; %bb.12:                               ;   in Loop: Header=BB201_10 Depth=1
	s_or_b32 exec_lo, exec_lo, s1
	v_dual_add_nc_u32 v20, v24, v28 :: v_dual_mov_b32 v44, s5
	v_mov_b32_e32 v21, v27
	s_mov_b32 s24, exec_lo
	s_wait_dscnt 0x0
	s_delay_alu instid0(VALU_DEP_2)
	v_cmpx_lt_i32_e64 v20, v27
	s_cbranch_execz .LBB201_20
; %bb.13:                               ;   in Loop: Header=BB201_10 Depth=1
	v_mul_lo_u32 v5, v45, s7
	v_dual_mov_b32 v44, s5 :: v_dual_ashrrev_i32 v21, 31, v20
	s_mov_b32 s25, 0
	s_delay_alu instid0(VALU_DEP_1)
	v_lshl_add_u64 v[22:23], v[20:21], 2, s[12:13]
	v_lshl_add_u64 v[24:25], v[20:21], 4, s[10:11]
	v_mov_b32_e32 v21, v27
	s_branch .LBB201_15
.LBB201_14:                             ;   in Loop: Header=BB201_15 Depth=2
	s_wait_xcnt 0x0
	s_or_b32 exec_lo, exec_lo, s1
	v_add_nc_u32_e32 v20, 8, v20
	s_xor_b32 s26, vcc_lo, -1
	v_add_nc_u64_e32 v[22:23], 32, v[22:23]
	v_add_nc_u64_e32 v[24:25], 0x80, v[24:25]
	s_delay_alu instid0(VALU_DEP_3) | instskip(SKIP_1) | instid1(SALU_CYCLE_1)
	v_cmp_ge_i32_e64 s1, v20, v27
	s_or_b32 s1, s26, s1
	s_and_b32 s1, exec_lo, s1
	s_delay_alu instid0(SALU_CYCLE_1) | instskip(NEXT) | instid1(SALU_CYCLE_1)
	s_or_b32 s25, s1, s25
	s_and_not1_b32 exec_lo, exec_lo, s25
	s_cbranch_execz .LBB201_19
.LBB201_15:                             ;   Parent Loop BB201_10 Depth=1
                                        ; =>  This Inner Loop Header: Depth=2
	global_load_b32 v6, v[22:23], off
	s_wait_loadcnt 0x0
	v_subrev_nc_u32_e32 v46, s20, v6
	s_delay_alu instid0(VALU_DEP_1) | instskip(NEXT) | instid1(VALU_DEP_1)
	v_sub_nc_u32_e32 v6, 0, v46
	v_max_i32_e32 v6, v46, v6
	s_delay_alu instid0(VALU_DEP_1) | instskip(NEXT) | instid1(VALU_DEP_1)
	v_mul_u64_e32 v[48:49], s[14:15], v[6:7]
	v_mul_lo_u32 v47, v49, s16
	s_delay_alu instid0(VALU_DEP_1) | instskip(NEXT) | instid1(VALU_DEP_1)
	v_dual_sub_nc_u32 v6, v6, v47 :: v_dual_add_nc_u32 v47, 1, v49
	v_cmp_le_u32_e32 vcc_lo, s16, v6
	s_delay_alu instid0(VALU_DEP_2) | instskip(SKIP_1) | instid1(VALU_DEP_1)
	v_dual_cndmask_b32 v47, v49, v47, vcc_lo :: v_dual_ashrrev_i32 v49, 31, v46
	v_subrev_nc_u32_e32 v48, s16, v6
	v_dual_cndmask_b32 v6, v6, v48, vcc_lo :: v_dual_add_nc_u32 v48, 1, v47
	s_delay_alu instid0(VALU_DEP_1) | instskip(NEXT) | instid1(VALU_DEP_2)
	v_cmp_le_u32_e32 vcc_lo, s16, v6
	v_dual_cndmask_b32 v6, v47, v48, vcc_lo :: v_dual_bitop2_b32 v49, s17, v49 bitop3:0x14
	s_delay_alu instid0(VALU_DEP_1) | instskip(NEXT) | instid1(VALU_DEP_1)
	v_xor_b32_e32 v6, v6, v49
	v_dual_mov_b32 v6, v21 :: v_dual_sub_nc_u32 v47, v6, v49
	s_delay_alu instid0(VALU_DEP_1) | instskip(SKIP_3) | instid1(SALU_CYCLE_1)
	v_cmp_ne_u32_e64 s1, v47, v45
	v_cmp_eq_u32_e32 vcc_lo, v47, v45
	s_wait_xcnt 0x0
	s_and_saveexec_b32 s26, s1
	s_xor_b32 s1, exec_lo, s26
; %bb.16:                               ;   in Loop: Header=BB201_15 Depth=2
	v_min_i32_e32 v44, v47, v44
                                        ; implicit-def: $vgpr46
                                        ; implicit-def: $vgpr6
; %bb.17:                               ;   in Loop: Header=BB201_15 Depth=2
	s_or_saveexec_b32 s1, s1
	v_mov_b32_e32 v21, v20
	s_xor_b32 exec_lo, exec_lo, s1
	s_cbranch_execz .LBB201_14
; %bb.18:                               ;   in Loop: Header=BB201_15 Depth=2
	global_load_b128 v[48:51], v[24:25], off
	v_sub_nc_u32_e32 v21, v46, v5
	s_delay_alu instid0(VALU_DEP_1)
	v_lshl_add_u32 v46, v21, 4, v29
	v_mov_b32_e32 v21, v6
	ds_store_b8 v26, v43 offset:16384
	s_wait_loadcnt 0x0
	ds_store_2addr_b64 v46, v[48:49], v[50:51] offset1:1
	s_branch .LBB201_14
.LBB201_19:                             ;   in Loop: Header=BB201_10 Depth=1
	s_or_b32 exec_lo, exec_lo, s25
.LBB201_20:                             ;   in Loop: Header=BB201_10 Depth=1
	s_delay_alu instid0(SALU_CYCLE_1)
	s_or_b32 exec_lo, exec_lo, s24
	ds_bpermute_b32 v5, v30, v21
	s_wait_dscnt 0x0
	ds_load_u8 v20, v26 offset:16384
	v_min_i32_e32 v5, v5, v21
	ds_bpermute_b32 v6, v31, v5
	s_wait_dscnt 0x0
	v_min_i32_e32 v5, v6, v5
	ds_bpermute_b32 v6, v32, v5
	s_wait_dscnt 0x0
	v_min_i32_e32 v5, v6, v5
	ds_bpermute_b32 v24, v33, v5
	v_and_b32_e32 v5, 1, v20
	s_delay_alu instid0(VALU_DEP_1)
	v_cmp_eq_u32_e32 vcc_lo, 1, v5
	v_mov_b32_e32 v5, 0
	s_and_saveexec_b32 s1, vcc_lo
	s_cbranch_execz .LBB201_9
; %bb.21:                               ;   in Loop: Header=BB201_10 Depth=1
	v_ashrrev_i32_e32 v5, 31, v4
	s_delay_alu instid0(VALU_DEP_1) | instskip(SKIP_3) | instid1(VALU_DEP_1)
	v_mul_u64_e32 v[20:21], s[18:19], v[4:5]
	v_add_nc_u32_e32 v5, s21, v45
	global_store_b32 v4, v5, s[8:9] scale_offset
	v_lshlrev_b64_e32 v[20:21], 4, v[20:21]
	v_add_nc_u64_e32 v[22:23], v[8:9], v[20:21]
	v_add_nc_u64_e32 v[20:21], v[10:11], v[20:21]
	s_wait_xcnt 0x0
	s_and_saveexec_b32 s24, s6
	s_cbranch_execz .LBB201_23
; %bb.22:                               ;   in Loop: Header=BB201_10 Depth=1
	ds_load_2addr_b64 v[46:49], v34 offset1:1
	v_lshl_add_u64 v[50:51], v[12:13], 4, v[22:23]
	s_delay_alu instid0(VALU_DEP_1)
	v_dual_cndmask_b32 v51, v51, v21, s0 :: v_dual_cndmask_b32 v50, v50, v20, s0
	s_wait_dscnt 0x0
	global_store_b128 v[50:51], v[46:49], off
.LBB201_23:                             ;   in Loop: Header=BB201_10 Depth=1
	s_wait_xcnt 0x0
	s_or_b32 exec_lo, exec_lo, s24
	s_and_saveexec_b32 s24, s2
	s_cbranch_execz .LBB201_28
; %bb.24:                               ;   in Loop: Header=BB201_10 Depth=1
	s_and_not1_b32 vcc_lo, exec_lo, s22
	s_mov_b32 s25, -1
	s_cbranch_vccnz .LBB201_26
; %bb.25:                               ;   in Loop: Header=BB201_10 Depth=1
	ds_load_2addr_b64 v[46:49], v39 offset1:1
	v_lshl_add_u64 v[50:51], v[14:15], 4, v[22:23]
	s_mov_b32 s25, 0
	s_wait_dscnt 0x0
	global_store_b128 v[50:51], v[46:49], off
.LBB201_26:                             ;   in Loop: Header=BB201_10 Depth=1
	s_and_not1_b32 vcc_lo, exec_lo, s25
	s_cbranch_vccnz .LBB201_28
; %bb.27:                               ;   in Loop: Header=BB201_10 Depth=1
	s_wait_xcnt 0x0
	ds_load_2addr_b64 v[46:49], v39 offset1:1
	s_wait_dscnt 0x0
	global_store_b128 v[20:21], v[46:49], off offset:128
.LBB201_28:                             ;   in Loop: Header=BB201_10 Depth=1
	s_wait_xcnt 0x0
	s_or_b32 exec_lo, exec_lo, s24
	s_and_saveexec_b32 s24, s3
	s_cbranch_execz .LBB201_33
; %bb.29:                               ;   in Loop: Header=BB201_10 Depth=1
	s_and_not1_b32 vcc_lo, exec_lo, s22
	s_mov_b32 s25, -1
	s_cbranch_vccnz .LBB201_31
; %bb.30:                               ;   in Loop: Header=BB201_10 Depth=1
	ds_load_2addr_b64 v[46:49], v40 offset1:1
	v_lshl_add_u64 v[50:51], v[16:17], 4, v[22:23]
	s_mov_b32 s25, 0
	s_wait_dscnt 0x0
	global_store_b128 v[50:51], v[46:49], off
.LBB201_31:                             ;   in Loop: Header=BB201_10 Depth=1
	s_and_not1_b32 vcc_lo, exec_lo, s25
	s_cbranch_vccnz .LBB201_33
; %bb.32:                               ;   in Loop: Header=BB201_10 Depth=1
	s_wait_xcnt 0x0
	ds_load_2addr_b64 v[46:49], v40 offset1:1
	s_wait_dscnt 0x0
	global_store_b128 v[20:21], v[46:49], off offset:256
.LBB201_33:                             ;   in Loop: Header=BB201_10 Depth=1
	s_wait_xcnt 0x0
	s_or_b32 exec_lo, exec_lo, s24
	s_and_saveexec_b32 s24, s4
	s_cbranch_execz .LBB201_8
; %bb.34:                               ;   in Loop: Header=BB201_10 Depth=1
	s_and_not1_b32 vcc_lo, exec_lo, s22
	s_mov_b32 s25, -1
	s_cbranch_vccnz .LBB201_36
; %bb.35:                               ;   in Loop: Header=BB201_10 Depth=1
	ds_load_2addr_b64 v[46:49], v41 offset1:1
	v_lshl_add_u64 v[22:23], v[18:19], 4, v[22:23]
	s_mov_b32 s25, 0
	s_wait_dscnt 0x0
	global_store_b128 v[22:23], v[46:49], off
.LBB201_36:                             ;   in Loop: Header=BB201_10 Depth=1
	s_and_not1_b32 vcc_lo, exec_lo, s25
	s_cbranch_vccnz .LBB201_8
; %bb.37:                               ;   in Loop: Header=BB201_10 Depth=1
	s_wait_xcnt 0x0
	ds_load_2addr_b64 v[46:49], v41 offset1:1
	s_wait_dscnt 0x0
	global_store_b128 v[20:21], v[46:49], off offset:384
	s_branch .LBB201_8
.LBB201_38:
	s_endpgm
	.section	.rodata,"a",@progbits
	.p2align	6, 0x0
	.amdhsa_kernel _ZN9rocsparseL44csr2gebsr_wavefront_per_row_multipass_kernelILi256ELi8ELi32ELi64E21rocsparse_complex_numIdEEEv20rocsparse_direction_iiiiii21rocsparse_index_base_PKT3_PKiS9_S4_PS5_PiSB_
		.amdhsa_group_segment_fixed_size 16392
		.amdhsa_private_segment_fixed_size 0
		.amdhsa_kernarg_size 88
		.amdhsa_user_sgpr_count 2
		.amdhsa_user_sgpr_dispatch_ptr 0
		.amdhsa_user_sgpr_queue_ptr 0
		.amdhsa_user_sgpr_kernarg_segment_ptr 1
		.amdhsa_user_sgpr_dispatch_id 0
		.amdhsa_user_sgpr_kernarg_preload_length 0
		.amdhsa_user_sgpr_kernarg_preload_offset 0
		.amdhsa_user_sgpr_private_segment_size 0
		.amdhsa_wavefront_size32 1
		.amdhsa_uses_dynamic_stack 0
		.amdhsa_enable_private_segment 0
		.amdhsa_system_sgpr_workgroup_id_x 1
		.amdhsa_system_sgpr_workgroup_id_y 0
		.amdhsa_system_sgpr_workgroup_id_z 0
		.amdhsa_system_sgpr_workgroup_info 0
		.amdhsa_system_vgpr_workitem_id 0
		.amdhsa_next_free_vgpr 52
		.amdhsa_next_free_sgpr 27
		.amdhsa_named_barrier_count 0
		.amdhsa_reserve_vcc 1
		.amdhsa_float_round_mode_32 0
		.amdhsa_float_round_mode_16_64 0
		.amdhsa_float_denorm_mode_32 3
		.amdhsa_float_denorm_mode_16_64 3
		.amdhsa_fp16_overflow 0
		.amdhsa_memory_ordered 1
		.amdhsa_forward_progress 1
		.amdhsa_inst_pref_size 16
		.amdhsa_round_robin_scheduling 0
		.amdhsa_exception_fp_ieee_invalid_op 0
		.amdhsa_exception_fp_denorm_src 0
		.amdhsa_exception_fp_ieee_div_zero 0
		.amdhsa_exception_fp_ieee_overflow 0
		.amdhsa_exception_fp_ieee_underflow 0
		.amdhsa_exception_fp_ieee_inexact 0
		.amdhsa_exception_int_div_zero 0
	.end_amdhsa_kernel
	.section	.text._ZN9rocsparseL44csr2gebsr_wavefront_per_row_multipass_kernelILi256ELi8ELi32ELi64E21rocsparse_complex_numIdEEEv20rocsparse_direction_iiiiii21rocsparse_index_base_PKT3_PKiS9_S4_PS5_PiSB_,"axG",@progbits,_ZN9rocsparseL44csr2gebsr_wavefront_per_row_multipass_kernelILi256ELi8ELi32ELi64E21rocsparse_complex_numIdEEEv20rocsparse_direction_iiiiii21rocsparse_index_base_PKT3_PKiS9_S4_PS5_PiSB_,comdat
.Lfunc_end201:
	.size	_ZN9rocsparseL44csr2gebsr_wavefront_per_row_multipass_kernelILi256ELi8ELi32ELi64E21rocsparse_complex_numIdEEEv20rocsparse_direction_iiiiii21rocsparse_index_base_PKT3_PKiS9_S4_PS5_PiSB_, .Lfunc_end201-_ZN9rocsparseL44csr2gebsr_wavefront_per_row_multipass_kernelILi256ELi8ELi32ELi64E21rocsparse_complex_numIdEEEv20rocsparse_direction_iiiiii21rocsparse_index_base_PKT3_PKiS9_S4_PS5_PiSB_
                                        ; -- End function
	.set _ZN9rocsparseL44csr2gebsr_wavefront_per_row_multipass_kernelILi256ELi8ELi32ELi64E21rocsparse_complex_numIdEEEv20rocsparse_direction_iiiiii21rocsparse_index_base_PKT3_PKiS9_S4_PS5_PiSB_.num_vgpr, 52
	.set _ZN9rocsparseL44csr2gebsr_wavefront_per_row_multipass_kernelILi256ELi8ELi32ELi64E21rocsparse_complex_numIdEEEv20rocsparse_direction_iiiiii21rocsparse_index_base_PKT3_PKiS9_S4_PS5_PiSB_.num_agpr, 0
	.set _ZN9rocsparseL44csr2gebsr_wavefront_per_row_multipass_kernelILi256ELi8ELi32ELi64E21rocsparse_complex_numIdEEEv20rocsparse_direction_iiiiii21rocsparse_index_base_PKT3_PKiS9_S4_PS5_PiSB_.numbered_sgpr, 27
	.set _ZN9rocsparseL44csr2gebsr_wavefront_per_row_multipass_kernelILi256ELi8ELi32ELi64E21rocsparse_complex_numIdEEEv20rocsparse_direction_iiiiii21rocsparse_index_base_PKT3_PKiS9_S4_PS5_PiSB_.num_named_barrier, 0
	.set _ZN9rocsparseL44csr2gebsr_wavefront_per_row_multipass_kernelILi256ELi8ELi32ELi64E21rocsparse_complex_numIdEEEv20rocsparse_direction_iiiiii21rocsparse_index_base_PKT3_PKiS9_S4_PS5_PiSB_.private_seg_size, 0
	.set _ZN9rocsparseL44csr2gebsr_wavefront_per_row_multipass_kernelILi256ELi8ELi32ELi64E21rocsparse_complex_numIdEEEv20rocsparse_direction_iiiiii21rocsparse_index_base_PKT3_PKiS9_S4_PS5_PiSB_.uses_vcc, 1
	.set _ZN9rocsparseL44csr2gebsr_wavefront_per_row_multipass_kernelILi256ELi8ELi32ELi64E21rocsparse_complex_numIdEEEv20rocsparse_direction_iiiiii21rocsparse_index_base_PKT3_PKiS9_S4_PS5_PiSB_.uses_flat_scratch, 0
	.set _ZN9rocsparseL44csr2gebsr_wavefront_per_row_multipass_kernelILi256ELi8ELi32ELi64E21rocsparse_complex_numIdEEEv20rocsparse_direction_iiiiii21rocsparse_index_base_PKT3_PKiS9_S4_PS5_PiSB_.has_dyn_sized_stack, 0
	.set _ZN9rocsparseL44csr2gebsr_wavefront_per_row_multipass_kernelILi256ELi8ELi32ELi64E21rocsparse_complex_numIdEEEv20rocsparse_direction_iiiiii21rocsparse_index_base_PKT3_PKiS9_S4_PS5_PiSB_.has_recursion, 0
	.set _ZN9rocsparseL44csr2gebsr_wavefront_per_row_multipass_kernelILi256ELi8ELi32ELi64E21rocsparse_complex_numIdEEEv20rocsparse_direction_iiiiii21rocsparse_index_base_PKT3_PKiS9_S4_PS5_PiSB_.has_indirect_call, 0
	.section	.AMDGPU.csdata,"",@progbits
; Kernel info:
; codeLenInByte = 1948
; TotalNumSgprs: 29
; NumVgprs: 52
; ScratchSize: 0
; MemoryBound: 0
; FloatMode: 240
; IeeeMode: 1
; LDSByteSize: 16392 bytes/workgroup (compile time only)
; SGPRBlocks: 0
; VGPRBlocks: 3
; NumSGPRsForWavesPerEU: 29
; NumVGPRsForWavesPerEU: 52
; NamedBarCnt: 0
; Occupancy: 16
; WaveLimiterHint : 0
; COMPUTE_PGM_RSRC2:SCRATCH_EN: 0
; COMPUTE_PGM_RSRC2:USER_SGPR: 2
; COMPUTE_PGM_RSRC2:TRAP_HANDLER: 0
; COMPUTE_PGM_RSRC2:TGID_X_EN: 1
; COMPUTE_PGM_RSRC2:TGID_Y_EN: 0
; COMPUTE_PGM_RSRC2:TGID_Z_EN: 0
; COMPUTE_PGM_RSRC2:TIDIG_COMP_CNT: 0
	.section	.text._ZN9rocsparseL44csr2gebsr_wavefront_per_row_multipass_kernelILi256ELi8ELi32ELi32E21rocsparse_complex_numIdEEEv20rocsparse_direction_iiiiii21rocsparse_index_base_PKT3_PKiS9_S4_PS5_PiSB_,"axG",@progbits,_ZN9rocsparseL44csr2gebsr_wavefront_per_row_multipass_kernelILi256ELi8ELi32ELi32E21rocsparse_complex_numIdEEEv20rocsparse_direction_iiiiii21rocsparse_index_base_PKT3_PKiS9_S4_PS5_PiSB_,comdat
	.globl	_ZN9rocsparseL44csr2gebsr_wavefront_per_row_multipass_kernelILi256ELi8ELi32ELi32E21rocsparse_complex_numIdEEEv20rocsparse_direction_iiiiii21rocsparse_index_base_PKT3_PKiS9_S4_PS5_PiSB_ ; -- Begin function _ZN9rocsparseL44csr2gebsr_wavefront_per_row_multipass_kernelILi256ELi8ELi32ELi32E21rocsparse_complex_numIdEEEv20rocsparse_direction_iiiiii21rocsparse_index_base_PKT3_PKiS9_S4_PS5_PiSB_
	.p2align	8
	.type	_ZN9rocsparseL44csr2gebsr_wavefront_per_row_multipass_kernelILi256ELi8ELi32ELi32E21rocsparse_complex_numIdEEEv20rocsparse_direction_iiiiii21rocsparse_index_base_PKT3_PKiS9_S4_PS5_PiSB_,@function
_ZN9rocsparseL44csr2gebsr_wavefront_per_row_multipass_kernelILi256ELi8ELi32ELi32E21rocsparse_complex_numIdEEEv20rocsparse_direction_iiiiii21rocsparse_index_base_PKT3_PKiS9_S4_PS5_PiSB_: ; @_ZN9rocsparseL44csr2gebsr_wavefront_per_row_multipass_kernelILi256ELi8ELi32ELi32E21rocsparse_complex_numIdEEEv20rocsparse_direction_iiiiii21rocsparse_index_base_PKT3_PKiS9_S4_PS5_PiSB_
; %bb.0:
	s_clause 0x1
	s_load_b128 s[8:11], s[0:1], 0xc
	s_load_b64 s[4:5], s[0:1], 0x0
	s_bfe_u32 s2, ttmp6, 0x4000c
	s_and_b32 s3, ttmp6, 15
	s_add_co_i32 s2, s2, 1
	s_getreg_b32 s6, hwreg(HW_REG_IB_STS2, 6, 4)
	s_mul_i32 s2, ttmp9, s2
	v_dual_lshrrev_b32 v34, 5, v0 :: v_dual_mov_b32 v4, 0
	s_add_co_i32 s3, s3, s2
	s_cmp_eq_u32 s6, 0
	v_bfe_u32 v1, v0, 2, 3
	s_cselect_b32 s2, ttmp9, s3
	s_clause 0x1
	s_load_b32 s24, s[0:1], 0x1c
	s_load_b64 s[6:7], s[0:1], 0x28
	v_lshl_or_b32 v2, s2, 3, v34
	v_mov_b32_e32 v32, 0
	s_wait_kmcnt 0x0
	s_delay_alu instid0(VALU_DEP_2) | instskip(SKIP_1) | instid1(VALU_DEP_2)
	v_mad_u32 v3, v2, s10, v1
	v_cmp_gt_i32_e32 vcc_lo, s10, v1
	v_cmp_gt_i32_e64 s2, s5, v3
	s_and_b32 s2, vcc_lo, s2
	s_delay_alu instid0(SALU_CYCLE_1)
	s_and_saveexec_b32 s3, s2
	s_cbranch_execz .LBB202_2
; %bb.1:
	global_load_b32 v5, v3, s[6:7] scale_offset
	s_wait_loadcnt 0x0
	v_subrev_nc_u32_e32 v32, s24, v5
.LBB202_2:
	s_or_b32 exec_lo, exec_lo, s3
	v_mov_b32_e32 v35, 0
	s_and_saveexec_b32 s3, s2
	s_cbranch_execz .LBB202_4
; %bb.3:
	global_load_b32 v3, v3, s[6:7] offset:4 scale_offset
	s_wait_loadcnt 0x0
	v_subrev_nc_u32_e32 v35, s24, v3
.LBB202_4:
	s_or_b32 exec_lo, exec_lo, s3
	s_load_b32 s25, s[0:1], 0x38
	s_mov_b32 s3, exec_lo
	v_cmpx_gt_i32_e64 s8, v2
	s_cbranch_execz .LBB202_6
; %bb.5:
	s_load_b64 s[6:7], s[0:1], 0x48
	s_wait_kmcnt 0x0
	global_load_b32 v2, v2, s[6:7] scale_offset
	s_wait_loadcnt 0x0
	v_subrev_nc_u32_e32 v4, s25, v2
.LBB202_6:
	s_or_b32 exec_lo, exec_lo, s3
	s_cmp_lt_i32 s9, 1
	s_cbranch_scc1 .LBB202_58
; %bb.7:
	v_mbcnt_lo_u32_b32 v5, -1, 0
	s_clause 0x3
	s_load_b64 s[12:13], s[0:1], 0x50
	s_load_b64 s[2:3], s[0:1], 0x40
	;; [unrolled: 1-line block ×4, first 2 shown]
	v_dual_lshlrev_b32 v0, 9, v1 :: v_dual_bitop2_b32 v36, 3, v0 bitop3:0x40
	s_cmp_eq_u32 s4, 0
	v_xor_b32_e32 v3, 1, v5
	v_xor_b32_e32 v2, 2, v5
	s_mov_b32 s19, 0
	v_lshl_or_b32 v37, v34, 12, v0
	s_mov_b32 s18, s10
	s_mov_b32 s20, s11
	s_wait_xcnt 0x0
	v_cmp_gt_i32_e64 s0, 32, v2
	v_lshl_or_b32 v40, v5, 2, 12
	v_dual_mov_b32 v54, 1 :: v_dual_mov_b32 v56, 0
	s_delay_alu instid0(VALU_DEP_3) | instskip(SKIP_2) | instid1(VALU_DEP_3)
	v_dual_mov_b32 v7, 0 :: v_dual_cndmask_b32 v6, v5, v2, s0
	v_mul_lo_u32 v2, s11, v1
	v_cmp_gt_i32_e64 s0, 32, v3
	v_dual_mov_b32 v17, v7 :: v_dual_lshlrev_b32 v0, 4, v36
	v_dual_mov_b32 v21, v7 :: v_dual_mov_b32 v27, v7
	s_delay_alu instid0(VALU_DEP_3) | instskip(SKIP_3) | instid1(VALU_DEP_3)
	v_dual_cndmask_b32 v3, v5, v3, s0 :: v_dual_bitop2_b32 v53, -4, v36 bitop3:0x54
	v_dual_lshlrev_b32 v38, 2, v6 :: v_dual_lshlrev_b32 v6, 4, v1
	v_mov_b32_e32 v1, v7
	s_cselect_b32 s0, -1, 0
	v_dual_lshlrev_b32 v39, 2, v3 :: v_dual_ashrrev_i32 v3, 31, v2
	v_or_b32_e32 v41, v37, v0
	s_wait_kmcnt 0x0
	v_add_nc_u64_e32 v[8:9], s[2:3], v[6:7]
	v_xor_b32_e32 v6, 8, v5
	v_xor_b32_e32 v12, 16, v5
	v_lshl_add_u64 v[2:3], v[2:3], 4, s[2:3]
	s_cmp_lg_u32 s4, 0
	v_or_b32_e32 v47, 0x80, v41
	s_cselect_b32 s26, -1, 0
	v_cmp_gt_i32_e64 s1, 32, v12
	v_add_nc_u64_e32 v[10:11], v[2:3], v[0:1]
	s_ashr_i32 s21, s11, 31
	v_or_b32_e32 v48, 0xc0, v41
	s_mul_u64 s[22:23], s[20:21], s[18:19]
	v_cndmask_b32_e64 v1, v5, v12, s1
	v_cmp_gt_i32_e64 s1, 32, v6
	v_mul_lo_u32 v12, v36, s10
	s_lshl_b32 s18, s10, 2
	v_or_b32_e32 v46, 64, v41
	s_abs_i32 s10, s11
	v_dual_cndmask_b32 v2, v5, v6, s1 :: v_dual_bitop2_b32 v0, 4, v5 bitop3:0x14
	s_cvt_f32_u32 s7, s10
	v_or_b32_e32 v49, 0x100, v41
	v_or_b32_e32 v50, 0x140, v41
	s_delay_alu instid0(VALU_DEP_3) | instskip(SKIP_3) | instid1(VALU_DEP_3)
	v_lshlrev_b32_e32 v43, 2, v2
	v_cmp_gt_i32_e64 s1, 32, v0
	v_dual_lshlrev_b32 v42, 2, v1 :: v_dual_bitop2_b32 v1, 4, v36 bitop3:0x54
	v_dual_mov_b32 v13, v7 :: v_dual_add_nc_u32 v14, s18, v12
	v_cndmask_b32_e64 v0, v5, v0, s1
	v_cmp_gt_u32_e64 s1, s11, v36
	s_delay_alu instid0(VALU_DEP_4) | instskip(NEXT) | instid1(VALU_DEP_4)
	v_cmp_gt_u32_e64 s2, s11, v1
	v_dual_add_nc_u32 v16, s18, v14 :: v_dual_bitop2_b32 v1, 12, v36 bitop3:0x54
	s_delay_alu instid0(VALU_DEP_4) | instskip(SKIP_1) | instid1(VALU_DEP_3)
	v_dual_mov_b32 v19, v7 :: v_dual_lshlrev_b32 v44, 2, v0
	v_mov_b32_e32 v45, 0x7c
	v_cmp_gt_u32_e64 s4, s11, v1
	s_delay_alu instid0(VALU_DEP_4) | instskip(SKIP_3) | instid1(VALU_DEP_3)
	v_add_nc_u32_e32 v18, s18, v16
	v_or_b32_e32 v1, 20, v36
	v_dual_mov_b32 v15, v7 :: v_dual_bitop2_b32 v0, 8, v36 bitop3:0x54
	s_and_b32 s20, s1, vcc_lo
	v_add_nc_u32_e32 v20, s18, v18
	s_delay_alu instid0(VALU_DEP_3)
	v_cmp_gt_u32_e64 s6, s11, v1
	v_rcp_iflag_f32_e32 v1, s7
	v_cmp_gt_u32_e64 s3, s11, v0
	v_or_b32_e32 v0, 16, v36
	v_dual_mov_b32 v23, v7 :: v_dual_add_nc_u32 v22, s18, v20
	v_or_b32_e32 v2, 28, v36
	v_or_b32_e32 v51, 0x180, v41
	s_delay_alu instid0(TRANS32_DEP_1) | instskip(NEXT) | instid1(VALU_DEP_4)
	v_readfirstlane_b32 s27, v1
	v_add_nc_u32_e32 v24, s18, v22
	v_cmp_gt_u32_e64 s5, s11, v0
	v_dual_mov_b32 v25, v7 :: v_dual_bitop2_b32 v0, 24, v36 bitop3:0x54
	s_mul_f32 s1, s27, 0x4f7ffffe
	v_add_nc_u32_e32 v26, s18, v24
	s_sub_co_i32 s18, 0, s10
	s_delay_alu instid0(VALU_DEP_2)
	v_cmp_gt_u32_e64 s7, s11, v0
	s_cvt_u32_f32 s1, s1
	v_cmp_gt_u32_e64 s8, s11, v2
	v_or_b32_e32 v52, 0x1c0, v41
	v_dual_mov_b32 v0, v7 :: v_dual_mov_b32 v1, v7
	s_mul_i32 s18, s18, s1
	v_dual_mov_b32 v2, v7 :: v_dual_mov_b32 v3, v7
	s_mul_hi_u32 s18, s1, s18
	s_and_b32 s2, vcc_lo, s2
	s_and_b32 s3, vcc_lo, s3
	;; [unrolled: 1-line block ×7, first 2 shown]
	s_add_co_i32 s18, s1, s18
	s_mov_b32 s27, s19
	s_branch .LBB202_10
.LBB202_8:                              ;   in Loop: Header=BB202_10 Depth=1
	s_wait_xcnt 0x0
	s_or_b32 exec_lo, exec_lo, s28
	v_mov_b32_e32 v5, 1
.LBB202_9:                              ;   in Loop: Header=BB202_10 Depth=1
	s_or_b32 exec_lo, exec_lo, s1
	ds_bpermute_b32 v6, v42, v55
	s_wait_storecnt_dscnt 0x0
	v_dual_add_nc_u32 v4, v5, v4 :: v_dual_min_i32 v6, v6, v55
	ds_bpermute_b32 v28, v43, v6
	s_wait_dscnt 0x0
	v_min_i32_e32 v6, v28, v6
	ds_bpermute_b32 v28, v44, v6
	s_wait_dscnt 0x0
	v_min_i32_e32 v6, v28, v6
	;; [unrolled: 3-line block ×4, first 2 shown]
	ds_bpermute_b32 v56, v45, v6
	s_wait_dscnt 0x0
	v_cmp_le_i32_e32 vcc_lo, s9, v56
	s_or_b32 s27, vcc_lo, s27
	s_delay_alu instid0(SALU_CYCLE_1)
	s_and_not1_b32 exec_lo, exec_lo, s27
	s_cbranch_execz .LBB202_58
.LBB202_10:                             ; =>This Loop Header: Depth=1
                                        ;     Child Loop BB202_11 Depth 2
                                        ;     Child Loop BB202_15 Depth 2
	v_dual_mov_b32 v5, v41 :: v_dual_mov_b32 v6, v53
	s_mov_b32 s1, 0
	ds_store_b8 v34, v7 offset:32768
.LBB202_11:                             ;   Parent Loop BB202_10 Depth=1
                                        ; =>  This Inner Loop Header: Depth=2
	v_add_nc_u32_e32 v6, 4, v6
	ds_store_b128 v5, v[0:3]
	v_add_nc_u32_e32 v5, 64, v5
	v_cmp_lt_u32_e32 vcc_lo, 27, v6
	s_or_b32 s1, vcc_lo, s1
	s_delay_alu instid0(SALU_CYCLE_1)
	s_and_not1_b32 exec_lo, exec_lo, s1
	s_cbranch_execnz .LBB202_11
; %bb.12:                               ;   in Loop: Header=BB202_10 Depth=1
	s_or_b32 exec_lo, exec_lo, s1
	v_dual_mov_b32 v55, s9 :: v_dual_add_nc_u32 v28, v32, v36
	v_mov_b32_e32 v29, v35
	s_mov_b32 s28, exec_lo
	s_wait_dscnt 0x0
	s_delay_alu instid0(VALU_DEP_2)
	v_cmpx_lt_i32_e64 v28, v35
	s_cbranch_execz .LBB202_20
; %bb.13:                               ;   in Loop: Header=BB202_10 Depth=1
	v_mul_lo_u32 v5, v56, s11
	v_dual_ashrrev_i32 v29, 31, v28 :: v_dual_mov_b32 v55, s9
	s_mov_b32 s29, 0
	s_delay_alu instid0(VALU_DEP_1)
	v_lshl_add_u64 v[30:31], v[28:29], 2, s[16:17]
	v_lshl_add_u64 v[32:33], v[28:29], 4, s[14:15]
	v_mov_b32_e32 v29, v35
	s_branch .LBB202_15
.LBB202_14:                             ;   in Loop: Header=BB202_15 Depth=2
	s_wait_xcnt 0x0
	s_or_b32 exec_lo, exec_lo, s1
	v_add_nc_u32_e32 v28, 4, v28
	s_xor_b32 s30, vcc_lo, -1
	v_add_nc_u64_e32 v[30:31], 16, v[30:31]
	v_add_nc_u64_e32 v[32:33], 64, v[32:33]
	s_delay_alu instid0(VALU_DEP_3) | instskip(SKIP_1) | instid1(SALU_CYCLE_1)
	v_cmp_ge_i32_e64 s1, v28, v35
	s_or_b32 s1, s30, s1
	s_and_b32 s1, exec_lo, s1
	s_delay_alu instid0(SALU_CYCLE_1) | instskip(NEXT) | instid1(SALU_CYCLE_1)
	s_or_b32 s29, s1, s29
	s_and_not1_b32 exec_lo, exec_lo, s29
	s_cbranch_execz .LBB202_19
.LBB202_15:                             ;   Parent Loop BB202_10 Depth=1
                                        ; =>  This Inner Loop Header: Depth=2
	global_load_b32 v6, v[30:31], off
	s_wait_loadcnt 0x0
	v_subrev_nc_u32_e32 v57, s24, v6
	s_delay_alu instid0(VALU_DEP_1) | instskip(NEXT) | instid1(VALU_DEP_1)
	v_sub_nc_u32_e32 v6, 0, v57
	v_max_i32_e32 v6, v57, v6
	s_delay_alu instid0(VALU_DEP_1) | instskip(NEXT) | instid1(VALU_DEP_1)
	v_mul_u64_e32 v[58:59], s[18:19], v[6:7]
	v_mul_lo_u32 v58, v59, s10
	s_delay_alu instid0(VALU_DEP_1) | instskip(NEXT) | instid1(VALU_DEP_1)
	v_dual_sub_nc_u32 v6, v6, v58 :: v_dual_add_nc_u32 v58, 1, v59
	v_cmp_le_u32_e32 vcc_lo, s10, v6
	s_delay_alu instid0(VALU_DEP_2) | instskip(SKIP_1) | instid1(VALU_DEP_1)
	v_cndmask_b32_e32 v58, v59, v58, vcc_lo
	v_subrev_nc_u32_e32 v60, s10, v6
	v_dual_cndmask_b32 v6, v6, v60 :: v_dual_ashrrev_i32 v59, 31, v57
	s_delay_alu instid0(VALU_DEP_3) | instskip(NEXT) | instid1(VALU_DEP_2)
	v_add_nc_u32_e32 v60, 1, v58
	v_cmp_le_u32_e32 vcc_lo, s10, v6
	s_delay_alu instid0(VALU_DEP_2) | instskip(NEXT) | instid1(VALU_DEP_1)
	v_dual_cndmask_b32 v6, v58, v60, vcc_lo :: v_dual_bitop2_b32 v59, s21, v59 bitop3:0x14
	v_xor_b32_e32 v6, v6, v59
	s_delay_alu instid0(VALU_DEP_1) | instskip(NEXT) | instid1(VALU_DEP_1)
	v_dual_sub_nc_u32 v58, v6, v59 :: v_dual_mov_b32 v6, v29
	v_cmp_ne_u32_e64 s1, v58, v56
	v_cmp_eq_u32_e32 vcc_lo, v58, v56
	s_wait_xcnt 0x0
	s_and_saveexec_b32 s30, s1
	s_delay_alu instid0(SALU_CYCLE_1)
	s_xor_b32 s1, exec_lo, s30
; %bb.16:                               ;   in Loop: Header=BB202_15 Depth=2
	v_min_i32_e32 v55, v58, v55
                                        ; implicit-def: $vgpr57
                                        ; implicit-def: $vgpr6
; %bb.17:                               ;   in Loop: Header=BB202_15 Depth=2
	s_or_saveexec_b32 s1, s1
	v_mov_b32_e32 v29, v28
	s_xor_b32 exec_lo, exec_lo, s1
	s_cbranch_execz .LBB202_14
; %bb.18:                               ;   in Loop: Header=BB202_15 Depth=2
	global_load_b128 v[58:61], v[32:33], off
	v_sub_nc_u32_e32 v29, v57, v5
	s_delay_alu instid0(VALU_DEP_1)
	v_lshl_add_u32 v57, v29, 4, v37
	v_mov_b32_e32 v29, v6
	ds_store_b8 v34, v54 offset:32768
	s_wait_loadcnt 0x0
	ds_store_2addr_b64 v57, v[58:59], v[60:61] offset1:1
	s_branch .LBB202_14
.LBB202_19:                             ;   in Loop: Header=BB202_10 Depth=1
	s_or_b32 exec_lo, exec_lo, s29
.LBB202_20:                             ;   in Loop: Header=BB202_10 Depth=1
	s_delay_alu instid0(SALU_CYCLE_1)
	s_or_b32 exec_lo, exec_lo, s28
	ds_bpermute_b32 v5, v38, v29
	s_wait_dscnt 0x0
	ds_load_u8 v28, v34 offset:32768
	v_min_i32_e32 v5, v5, v29
	ds_bpermute_b32 v6, v39, v5
	s_wait_dscnt 0x0
	v_min_i32_e32 v5, v6, v5
	ds_bpermute_b32 v32, v40, v5
	v_and_b32_e32 v5, 1, v28
	s_delay_alu instid0(VALU_DEP_1)
	v_cmp_eq_u32_e32 vcc_lo, 1, v5
	v_mov_b32_e32 v5, 0
	s_and_saveexec_b32 s1, vcc_lo
	s_cbranch_execz .LBB202_9
; %bb.21:                               ;   in Loop: Header=BB202_10 Depth=1
	v_ashrrev_i32_e32 v5, 31, v4
	s_delay_alu instid0(VALU_DEP_1) | instskip(SKIP_3) | instid1(VALU_DEP_1)
	v_mul_u64_e32 v[28:29], s[22:23], v[4:5]
	v_add_nc_u32_e32 v5, s25, v56
	global_store_b32 v4, v5, s[12:13] scale_offset
	v_lshlrev_b64_e32 v[28:29], 4, v[28:29]
	v_add_nc_u64_e32 v[30:31], v[8:9], v[28:29]
	v_add_nc_u64_e32 v[28:29], v[10:11], v[28:29]
	s_wait_xcnt 0x0
	s_and_saveexec_b32 s28, s20
	s_cbranch_execz .LBB202_23
; %bb.22:                               ;   in Loop: Header=BB202_10 Depth=1
	ds_load_2addr_b64 v[56:59], v41 offset1:1
	v_lshl_add_u64 v[60:61], v[12:13], 4, v[30:31]
	s_delay_alu instid0(VALU_DEP_1)
	v_dual_cndmask_b32 v61, v61, v29, s0 :: v_dual_cndmask_b32 v60, v60, v28, s0
	s_wait_dscnt 0x0
	global_store_b128 v[60:61], v[56:59], off
.LBB202_23:                             ;   in Loop: Header=BB202_10 Depth=1
	s_wait_xcnt 0x0
	s_or_b32 exec_lo, exec_lo, s28
	s_and_saveexec_b32 s28, s2
	s_cbranch_execz .LBB202_28
; %bb.24:                               ;   in Loop: Header=BB202_10 Depth=1
	s_and_not1_b32 vcc_lo, exec_lo, s26
	s_mov_b32 s29, -1
	s_cbranch_vccnz .LBB202_26
; %bb.25:                               ;   in Loop: Header=BB202_10 Depth=1
	ds_load_2addr_b64 v[56:59], v46 offset1:1
	v_lshl_add_u64 v[60:61], v[14:15], 4, v[30:31]
	s_mov_b32 s29, 0
	s_wait_dscnt 0x0
	global_store_b128 v[60:61], v[56:59], off
.LBB202_26:                             ;   in Loop: Header=BB202_10 Depth=1
	s_and_not1_b32 vcc_lo, exec_lo, s29
	s_cbranch_vccnz .LBB202_28
; %bb.27:                               ;   in Loop: Header=BB202_10 Depth=1
	s_wait_xcnt 0x0
	ds_load_2addr_b64 v[56:59], v46 offset1:1
	s_wait_dscnt 0x0
	global_store_b128 v[28:29], v[56:59], off offset:64
.LBB202_28:                             ;   in Loop: Header=BB202_10 Depth=1
	s_wait_xcnt 0x0
	s_or_b32 exec_lo, exec_lo, s28
	s_and_saveexec_b32 s28, s3
	s_cbranch_execz .LBB202_33
; %bb.29:                               ;   in Loop: Header=BB202_10 Depth=1
	s_and_not1_b32 vcc_lo, exec_lo, s26
	s_mov_b32 s29, -1
	s_cbranch_vccnz .LBB202_31
; %bb.30:                               ;   in Loop: Header=BB202_10 Depth=1
	ds_load_2addr_b64 v[56:59], v47 offset1:1
	v_lshl_add_u64 v[60:61], v[16:17], 4, v[30:31]
	s_mov_b32 s29, 0
	s_wait_dscnt 0x0
	global_store_b128 v[60:61], v[56:59], off
.LBB202_31:                             ;   in Loop: Header=BB202_10 Depth=1
	s_and_not1_b32 vcc_lo, exec_lo, s29
	s_cbranch_vccnz .LBB202_33
; %bb.32:                               ;   in Loop: Header=BB202_10 Depth=1
	s_wait_xcnt 0x0
	ds_load_2addr_b64 v[56:59], v47 offset1:1
	s_wait_dscnt 0x0
	global_store_b128 v[28:29], v[56:59], off offset:128
.LBB202_33:                             ;   in Loop: Header=BB202_10 Depth=1
	;; [unrolled: 23-line block ×6, first 2 shown]
	s_wait_xcnt 0x0
	s_or_b32 exec_lo, exec_lo, s28
	s_and_saveexec_b32 s28, s8
	s_cbranch_execz .LBB202_8
; %bb.54:                               ;   in Loop: Header=BB202_10 Depth=1
	s_and_not1_b32 vcc_lo, exec_lo, s26
	s_mov_b32 s29, -1
	s_cbranch_vccnz .LBB202_56
; %bb.55:                               ;   in Loop: Header=BB202_10 Depth=1
	ds_load_2addr_b64 v[56:59], v52 offset1:1
	v_lshl_add_u64 v[30:31], v[26:27], 4, v[30:31]
	s_mov_b32 s29, 0
	s_wait_dscnt 0x0
	global_store_b128 v[30:31], v[56:59], off
.LBB202_56:                             ;   in Loop: Header=BB202_10 Depth=1
	s_and_not1_b32 vcc_lo, exec_lo, s29
	s_cbranch_vccnz .LBB202_8
; %bb.57:                               ;   in Loop: Header=BB202_10 Depth=1
	s_wait_xcnt 0x0
	ds_load_2addr_b64 v[56:59], v52 offset1:1
	s_wait_dscnt 0x0
	global_store_b128 v[28:29], v[56:59], off offset:448
	s_branch .LBB202_8
.LBB202_58:
	s_endpgm
	.section	.rodata,"a",@progbits
	.p2align	6, 0x0
	.amdhsa_kernel _ZN9rocsparseL44csr2gebsr_wavefront_per_row_multipass_kernelILi256ELi8ELi32ELi32E21rocsparse_complex_numIdEEEv20rocsparse_direction_iiiiii21rocsparse_index_base_PKT3_PKiS9_S4_PS5_PiSB_
		.amdhsa_group_segment_fixed_size 32776
		.amdhsa_private_segment_fixed_size 0
		.amdhsa_kernarg_size 88
		.amdhsa_user_sgpr_count 2
		.amdhsa_user_sgpr_dispatch_ptr 0
		.amdhsa_user_sgpr_queue_ptr 0
		.amdhsa_user_sgpr_kernarg_segment_ptr 1
		.amdhsa_user_sgpr_dispatch_id 0
		.amdhsa_user_sgpr_kernarg_preload_length 0
		.amdhsa_user_sgpr_kernarg_preload_offset 0
		.amdhsa_user_sgpr_private_segment_size 0
		.amdhsa_wavefront_size32 1
		.amdhsa_uses_dynamic_stack 0
		.amdhsa_enable_private_segment 0
		.amdhsa_system_sgpr_workgroup_id_x 1
		.amdhsa_system_sgpr_workgroup_id_y 0
		.amdhsa_system_sgpr_workgroup_id_z 0
		.amdhsa_system_sgpr_workgroup_info 0
		.amdhsa_system_vgpr_workitem_id 0
		.amdhsa_next_free_vgpr 62
		.amdhsa_next_free_sgpr 31
		.amdhsa_named_barrier_count 0
		.amdhsa_reserve_vcc 1
		.amdhsa_float_round_mode_32 0
		.amdhsa_float_round_mode_16_64 0
		.amdhsa_float_denorm_mode_32 3
		.amdhsa_float_denorm_mode_16_64 3
		.amdhsa_fp16_overflow 0
		.amdhsa_memory_ordered 1
		.amdhsa_forward_progress 1
		.amdhsa_inst_pref_size 20
		.amdhsa_round_robin_scheduling 0
		.amdhsa_exception_fp_ieee_invalid_op 0
		.amdhsa_exception_fp_denorm_src 0
		.amdhsa_exception_fp_ieee_div_zero 0
		.amdhsa_exception_fp_ieee_overflow 0
		.amdhsa_exception_fp_ieee_underflow 0
		.amdhsa_exception_fp_ieee_inexact 0
		.amdhsa_exception_int_div_zero 0
	.end_amdhsa_kernel
	.section	.text._ZN9rocsparseL44csr2gebsr_wavefront_per_row_multipass_kernelILi256ELi8ELi32ELi32E21rocsparse_complex_numIdEEEv20rocsparse_direction_iiiiii21rocsparse_index_base_PKT3_PKiS9_S4_PS5_PiSB_,"axG",@progbits,_ZN9rocsparseL44csr2gebsr_wavefront_per_row_multipass_kernelILi256ELi8ELi32ELi32E21rocsparse_complex_numIdEEEv20rocsparse_direction_iiiiii21rocsparse_index_base_PKT3_PKiS9_S4_PS5_PiSB_,comdat
.Lfunc_end202:
	.size	_ZN9rocsparseL44csr2gebsr_wavefront_per_row_multipass_kernelILi256ELi8ELi32ELi32E21rocsparse_complex_numIdEEEv20rocsparse_direction_iiiiii21rocsparse_index_base_PKT3_PKiS9_S4_PS5_PiSB_, .Lfunc_end202-_ZN9rocsparseL44csr2gebsr_wavefront_per_row_multipass_kernelILi256ELi8ELi32ELi32E21rocsparse_complex_numIdEEEv20rocsparse_direction_iiiiii21rocsparse_index_base_PKT3_PKiS9_S4_PS5_PiSB_
                                        ; -- End function
	.set _ZN9rocsparseL44csr2gebsr_wavefront_per_row_multipass_kernelILi256ELi8ELi32ELi32E21rocsparse_complex_numIdEEEv20rocsparse_direction_iiiiii21rocsparse_index_base_PKT3_PKiS9_S4_PS5_PiSB_.num_vgpr, 62
	.set _ZN9rocsparseL44csr2gebsr_wavefront_per_row_multipass_kernelILi256ELi8ELi32ELi32E21rocsparse_complex_numIdEEEv20rocsparse_direction_iiiiii21rocsparse_index_base_PKT3_PKiS9_S4_PS5_PiSB_.num_agpr, 0
	.set _ZN9rocsparseL44csr2gebsr_wavefront_per_row_multipass_kernelILi256ELi8ELi32ELi32E21rocsparse_complex_numIdEEEv20rocsparse_direction_iiiiii21rocsparse_index_base_PKT3_PKiS9_S4_PS5_PiSB_.numbered_sgpr, 31
	.set _ZN9rocsparseL44csr2gebsr_wavefront_per_row_multipass_kernelILi256ELi8ELi32ELi32E21rocsparse_complex_numIdEEEv20rocsparse_direction_iiiiii21rocsparse_index_base_PKT3_PKiS9_S4_PS5_PiSB_.num_named_barrier, 0
	.set _ZN9rocsparseL44csr2gebsr_wavefront_per_row_multipass_kernelILi256ELi8ELi32ELi32E21rocsparse_complex_numIdEEEv20rocsparse_direction_iiiiii21rocsparse_index_base_PKT3_PKiS9_S4_PS5_PiSB_.private_seg_size, 0
	.set _ZN9rocsparseL44csr2gebsr_wavefront_per_row_multipass_kernelILi256ELi8ELi32ELi32E21rocsparse_complex_numIdEEEv20rocsparse_direction_iiiiii21rocsparse_index_base_PKT3_PKiS9_S4_PS5_PiSB_.uses_vcc, 1
	.set _ZN9rocsparseL44csr2gebsr_wavefront_per_row_multipass_kernelILi256ELi8ELi32ELi32E21rocsparse_complex_numIdEEEv20rocsparse_direction_iiiiii21rocsparse_index_base_PKT3_PKiS9_S4_PS5_PiSB_.uses_flat_scratch, 0
	.set _ZN9rocsparseL44csr2gebsr_wavefront_per_row_multipass_kernelILi256ELi8ELi32ELi32E21rocsparse_complex_numIdEEEv20rocsparse_direction_iiiiii21rocsparse_index_base_PKT3_PKiS9_S4_PS5_PiSB_.has_dyn_sized_stack, 0
	.set _ZN9rocsparseL44csr2gebsr_wavefront_per_row_multipass_kernelILi256ELi8ELi32ELi32E21rocsparse_complex_numIdEEEv20rocsparse_direction_iiiiii21rocsparse_index_base_PKT3_PKiS9_S4_PS5_PiSB_.has_recursion, 0
	.set _ZN9rocsparseL44csr2gebsr_wavefront_per_row_multipass_kernelILi256ELi8ELi32ELi32E21rocsparse_complex_numIdEEEv20rocsparse_direction_iiiiii21rocsparse_index_base_PKT3_PKiS9_S4_PS5_PiSB_.has_indirect_call, 0
	.section	.AMDGPU.csdata,"",@progbits
; Kernel info:
; codeLenInByte = 2444
; TotalNumSgprs: 33
; NumVgprs: 62
; ScratchSize: 0
; MemoryBound: 0
; FloatMode: 240
; IeeeMode: 1
; LDSByteSize: 32776 bytes/workgroup (compile time only)
; SGPRBlocks: 0
; VGPRBlocks: 3
; NumSGPRsForWavesPerEU: 33
; NumVGPRsForWavesPerEU: 62
; NamedBarCnt: 0
; Occupancy: 16
; WaveLimiterHint : 0
; COMPUTE_PGM_RSRC2:SCRATCH_EN: 0
; COMPUTE_PGM_RSRC2:USER_SGPR: 2
; COMPUTE_PGM_RSRC2:TRAP_HANDLER: 0
; COMPUTE_PGM_RSRC2:TGID_X_EN: 1
; COMPUTE_PGM_RSRC2:TGID_Y_EN: 0
; COMPUTE_PGM_RSRC2:TGID_Z_EN: 0
; COMPUTE_PGM_RSRC2:TIDIG_COMP_CNT: 0
	.section	.text._ZN9rocsparseL44csr2gebsr_wavefront_per_row_multipass_kernelILi256ELi8ELi64ELi64E21rocsparse_complex_numIdEEEv20rocsparse_direction_iiiiii21rocsparse_index_base_PKT3_PKiS9_S4_PS5_PiSB_,"axG",@progbits,_ZN9rocsparseL44csr2gebsr_wavefront_per_row_multipass_kernelILi256ELi8ELi64ELi64E21rocsparse_complex_numIdEEEv20rocsparse_direction_iiiiii21rocsparse_index_base_PKT3_PKiS9_S4_PS5_PiSB_,comdat
	.globl	_ZN9rocsparseL44csr2gebsr_wavefront_per_row_multipass_kernelILi256ELi8ELi64ELi64E21rocsparse_complex_numIdEEEv20rocsparse_direction_iiiiii21rocsparse_index_base_PKT3_PKiS9_S4_PS5_PiSB_ ; -- Begin function _ZN9rocsparseL44csr2gebsr_wavefront_per_row_multipass_kernelILi256ELi8ELi64ELi64E21rocsparse_complex_numIdEEEv20rocsparse_direction_iiiiii21rocsparse_index_base_PKT3_PKiS9_S4_PS5_PiSB_
	.p2align	8
	.type	_ZN9rocsparseL44csr2gebsr_wavefront_per_row_multipass_kernelILi256ELi8ELi64ELi64E21rocsparse_complex_numIdEEEv20rocsparse_direction_iiiiii21rocsparse_index_base_PKT3_PKiS9_S4_PS5_PiSB_,@function
_ZN9rocsparseL44csr2gebsr_wavefront_per_row_multipass_kernelILi256ELi8ELi64ELi64E21rocsparse_complex_numIdEEEv20rocsparse_direction_iiiiii21rocsparse_index_base_PKT3_PKiS9_S4_PS5_PiSB_: ; @_ZN9rocsparseL44csr2gebsr_wavefront_per_row_multipass_kernelILi256ELi8ELi64ELi64E21rocsparse_complex_numIdEEEv20rocsparse_direction_iiiiii21rocsparse_index_base_PKT3_PKiS9_S4_PS5_PiSB_
; %bb.0:
	s_clause 0x1
	s_load_b128 s[8:11], s[0:1], 0xc
	s_load_b64 s[4:5], s[0:1], 0x0
	s_bfe_u32 s2, ttmp6, 0x4000c
	s_and_b32 s3, ttmp6, 15
	s_add_co_i32 s2, s2, 1
	s_getreg_b32 s6, hwreg(HW_REG_IB_STS2, 6, 4)
	s_mul_i32 s2, ttmp9, s2
	v_dual_lshrrev_b32 v34, 6, v0 :: v_dual_mov_b32 v4, 0
	s_add_co_i32 s3, s3, s2
	s_cmp_eq_u32 s6, 0
	v_bfe_u32 v1, v0, 3, 3
	s_cselect_b32 s2, ttmp9, s3
	s_clause 0x1
	s_load_b32 s24, s[0:1], 0x1c
	s_load_b64 s[6:7], s[0:1], 0x28
	v_lshl_or_b32 v2, s2, 2, v34
	v_mov_b32_e32 v32, 0
	s_wait_kmcnt 0x0
	s_delay_alu instid0(VALU_DEP_2) | instskip(SKIP_1) | instid1(VALU_DEP_2)
	v_mad_u32 v3, v2, s10, v1
	v_cmp_gt_i32_e32 vcc_lo, s10, v1
	v_cmp_gt_i32_e64 s2, s5, v3
	s_and_b32 s2, vcc_lo, s2
	s_delay_alu instid0(SALU_CYCLE_1)
	s_and_saveexec_b32 s3, s2
	s_cbranch_execz .LBB203_2
; %bb.1:
	global_load_b32 v5, v3, s[6:7] scale_offset
	s_wait_loadcnt 0x0
	v_subrev_nc_u32_e32 v32, s24, v5
.LBB203_2:
	s_or_b32 exec_lo, exec_lo, s3
	v_mov_b32_e32 v35, 0
	s_and_saveexec_b32 s3, s2
	s_cbranch_execz .LBB203_4
; %bb.3:
	global_load_b32 v3, v3, s[6:7] offset:4 scale_offset
	s_wait_loadcnt 0x0
	v_subrev_nc_u32_e32 v35, s24, v3
.LBB203_4:
	s_or_b32 exec_lo, exec_lo, s3
	s_load_b32 s25, s[0:1], 0x38
	s_mov_b32 s3, exec_lo
	v_cmpx_gt_i32_e64 s8, v2
	s_cbranch_execz .LBB203_6
; %bb.5:
	s_load_b64 s[6:7], s[0:1], 0x48
	s_wait_kmcnt 0x0
	global_load_b32 v2, v2, s[6:7] scale_offset
	s_wait_loadcnt 0x0
	v_subrev_nc_u32_e32 v4, s25, v2
.LBB203_6:
	s_or_b32 exec_lo, exec_lo, s3
	s_cmp_lt_i32 s9, 1
	s_cbranch_scc1 .LBB203_58
; %bb.7:
	v_mbcnt_lo_u32_b32 v5, -1, 0
	v_dual_lshlrev_b32 v2, 10, v1 :: v_dual_bitop2_b32 v36, 7, v0 bitop3:0x40
	s_clause 0x3
	s_load_b64 s[12:13], s[0:1], 0x50
	s_load_b64 s[2:3], s[0:1], 0x40
	;; [unrolled: 1-line block ×4, first 2 shown]
	v_dual_mov_b32 v7, 0 :: v_dual_bitop2_b32 v0, 2, v5 bitop3:0x14
	v_xor_b32_e32 v3, 4, v5
	v_lshl_or_b32 v37, v34, 13, v2
	s_cmp_eq_u32 s4, 0
	s_mov_b32 s19, 0
	s_mov_b32 s18, s10
	s_wait_xcnt 0x0
	v_cmp_gt_i32_e64 s0, 32, v3
	s_mov_b32 s20, s11
	v_lshl_or_b32 v41, v5, 2, 28
	v_bfrev_b32_e32 v46, 0.5
	v_dual_mov_b32 v57, 0 :: v_dual_cndmask_b32 v3, v5, v3, s0
	v_xor_b32_e32 v2, 1, v5
	v_cmp_gt_i32_e64 s0, 32, v0
	v_dual_mov_b32 v55, 1 :: v_dual_bitop2_b32 v12, 32, v5 bitop3:0x54
	s_delay_alu instid0(VALU_DEP_2) | instskip(NEXT) | instid1(VALU_DEP_4)
	v_dual_lshlrev_b32 v38, 2, v3 :: v_dual_cndmask_b32 v0, v5, v0, s0
	v_cmp_gt_i32_e64 s0, 32, v2
	s_delay_alu instid0(VALU_DEP_3) | instskip(NEXT) | instid1(VALU_DEP_2)
	v_cmp_gt_i32_e64 s1, 32, v12
	v_dual_lshlrev_b32 v39, 2, v0 :: v_dual_cndmask_b32 v6, v5, v2, s0
	v_mul_lo_u32 v2, s11, v1
	v_lshlrev_b32_e32 v0, 4, v36
	s_cselect_b32 s0, -1, 0
	s_cmp_lg_u32 s4, 0
	v_dual_lshlrev_b32 v40, 2, v6 :: v_dual_lshlrev_b32 v6, 4, v1
	s_delay_alu instid0(VALU_DEP_2)
	v_dual_mov_b32 v1, v7 :: v_dual_bitop2_b32 v42, v37, v0 bitop3:0x54
	s_cselect_b32 s26, -1, 0
	s_ashr_i32 s21, s11, 31
	s_wait_kmcnt 0x0
	v_add_nc_u64_e32 v[8:9], s[2:3], v[6:7]
	v_dual_ashrrev_i32 v3, 31, v2 :: v_dual_bitop2_b32 v6, 16, v5 bitop3:0x14
	s_mul_u64 s[22:23], s[20:21], s[18:19]
	s_lshl_b32 s18, s10, 3
	v_or_b32_e32 v47, 0x80, v42
	s_delay_alu instid0(VALU_DEP_2)
	v_lshl_add_u64 v[2:3], v[2:3], 4, s[2:3]
	v_or_b32_e32 v48, 0x100, v42
	v_or_b32_e32 v49, 0x180, v42
	;; [unrolled: 1-line block ×4, first 2 shown]
	v_add_nc_u64_e32 v[10:11], v[2:3], v[0:1]
	v_cndmask_b32_e64 v1, v5, v12, s1
	v_mul_lo_u32 v12, v36, s10
	v_cmp_gt_i32_e64 s1, 32, v6
	v_xor_b32_e32 v0, 8, v5
	s_abs_i32 s10, s11
	v_dual_lshlrev_b32 v43, 2, v1 :: v_dual_bitop2_b32 v1, 8, v36 bitop3:0x54
	v_cndmask_b32_e64 v2, v5, v6, s1
	s_delay_alu instid0(VALU_DEP_3)
	v_cmp_gt_i32_e64 s1, 32, v0
	v_mov_b32_e32 v17, v7
	s_cvt_f32_u32 s7, s10
	v_cmp_gt_u32_e64 s2, s11, v1
	v_dual_lshlrev_b32 v44, 2, v2 :: v_dual_cndmask_b32 v0, v5, v0, s1
	v_add_nc_u32_e32 v14, s18, v12
	v_dual_mov_b32 v21, v7 :: v_dual_bitop2_b32 v1, 24, v36 bitop3:0x54
	v_cmp_gt_u32_e64 s1, s11, v36
	s_delay_alu instid0(VALU_DEP_4) | instskip(NEXT) | instid1(VALU_DEP_4)
	v_dual_lshlrev_b32 v45, 2, v0 :: v_dual_mov_b32 v13, v7
	v_add_nc_u32_e32 v16, s18, v14
	s_delay_alu instid0(VALU_DEP_4) | instskip(SKIP_4) | instid1(VALU_DEP_3)
	v_cmp_gt_u32_e64 s4, s11, v1
	v_dual_mov_b32 v15, v7 :: v_dual_bitop2_b32 v0, 16, v36 bitop3:0x54
	s_and_b32 s20, s1, vcc_lo
	v_add_nc_u32_e32 v18, s18, v16
	v_or_b32_e32 v1, 40, v36
	v_cmp_gt_u32_e64 s3, s11, v0
	v_dual_mov_b32 v19, v7 :: v_dual_bitop2_b32 v0, 32, v36 bitop3:0x54
	s_delay_alu instid0(VALU_DEP_4) | instskip(NEXT) | instid1(VALU_DEP_4)
	v_add_nc_u32_e32 v20, s18, v18
	v_cmp_gt_u32_e64 s6, s11, v1
	v_rcp_iflag_f32_e32 v1, s7
	v_mov_b32_e32 v25, v7
	v_cmp_gt_u32_e64 s5, s11, v0
	v_add_nc_u32_e32 v22, s18, v20
	v_or_b32_e32 v2, 56, v36
	v_dual_mov_b32 v23, v7 :: v_dual_bitop2_b32 v0, 48, v36 bitop3:0x54
	s_delay_alu instid0(TRANS32_DEP_1) | instskip(NEXT) | instid1(VALU_DEP_4)
	v_readfirstlane_b32 s27, v1
	v_add_nc_u32_e32 v24, s18, v22
	s_delay_alu instid0(VALU_DEP_4) | instskip(NEXT) | instid1(VALU_DEP_4)
	v_cmp_gt_u32_e64 s8, s11, v2
	v_cmp_gt_u32_e64 s7, s11, v0
	v_or_b32_e32 v52, 0x300, v42
	s_mul_f32 s1, s27, 0x4f7ffffe
	v_dual_mov_b32 v27, v7 :: v_dual_add_nc_u32 v26, s18, v24
	s_sub_co_i32 s18, 0, s10
	s_delay_alu instid0(SALU_CYCLE_1) | instskip(SKIP_2) | instid1(SALU_CYCLE_1)
	s_cvt_u32_f32 s1, s1
	v_or_b32_e32 v53, 0x380, v42
	v_dual_mov_b32 v0, v7 :: v_dual_bitop2_b32 v54, -8, v36 bitop3:0x54
	s_mul_i32 s18, s18, s1
	v_dual_mov_b32 v1, v7 :: v_dual_mov_b32 v2, v7
	v_mov_b32_e32 v3, v7
	s_mul_hi_u32 s18, s1, s18
	s_and_b32 s2, vcc_lo, s2
	s_and_b32 s3, vcc_lo, s3
	;; [unrolled: 1-line block ×7, first 2 shown]
	s_add_co_i32 s18, s1, s18
	s_mov_b32 s27, s19
	s_branch .LBB203_10
.LBB203_8:                              ;   in Loop: Header=BB203_10 Depth=1
	s_wait_xcnt 0x0
	s_or_b32 exec_lo, exec_lo, s28
	v_mov_b32_e32 v5, 1
.LBB203_9:                              ;   in Loop: Header=BB203_10 Depth=1
	s_or_b32 exec_lo, exec_lo, s1
	ds_bpermute_b32 v6, v43, v56
	s_wait_storecnt_dscnt 0x0
	v_add_nc_u32_e32 v4, v5, v4
	v_min_i32_e32 v6, v6, v56
	ds_bpermute_b32 v28, v44, v6
	s_wait_dscnt 0x0
	v_min_i32_e32 v6, v28, v6
	ds_bpermute_b32 v28, v45, v6
	s_wait_dscnt 0x0
	;; [unrolled: 3-line block ×6, first 2 shown]
	v_cmp_le_i32_e32 vcc_lo, s9, v57
	s_or_b32 s27, vcc_lo, s27
	s_delay_alu instid0(SALU_CYCLE_1)
	s_and_not1_b32 exec_lo, exec_lo, s27
	s_cbranch_execz .LBB203_58
.LBB203_10:                             ; =>This Loop Header: Depth=1
                                        ;     Child Loop BB203_11 Depth 2
                                        ;     Child Loop BB203_15 Depth 2
	v_dual_mov_b32 v5, v42 :: v_dual_mov_b32 v6, v54
	s_mov_b32 s1, 0
	ds_store_b8 v34, v7 offset:32768
.LBB203_11:                             ;   Parent Loop BB203_10 Depth=1
                                        ; =>  This Inner Loop Header: Depth=2
	v_add_nc_u32_e32 v6, 8, v6
	ds_store_b128 v5, v[0:3]
	v_add_nc_u32_e32 v5, 0x80, v5
	v_cmp_lt_u32_e32 vcc_lo, 55, v6
	s_or_b32 s1, vcc_lo, s1
	s_delay_alu instid0(SALU_CYCLE_1)
	s_and_not1_b32 exec_lo, exec_lo, s1
	s_cbranch_execnz .LBB203_11
; %bb.12:                               ;   in Loop: Header=BB203_10 Depth=1
	s_or_b32 exec_lo, exec_lo, s1
	v_dual_add_nc_u32 v28, v32, v36 :: v_dual_mov_b32 v56, s9
	v_mov_b32_e32 v29, v35
	s_mov_b32 s28, exec_lo
	s_wait_dscnt 0x0
	s_delay_alu instid0(VALU_DEP_2)
	v_cmpx_lt_i32_e64 v28, v35
	s_cbranch_execz .LBB203_20
; %bb.13:                               ;   in Loop: Header=BB203_10 Depth=1
	v_mul_lo_u32 v5, v57, s11
	v_dual_mov_b32 v56, s9 :: v_dual_ashrrev_i32 v29, 31, v28
	s_mov_b32 s29, 0
	s_delay_alu instid0(VALU_DEP_1)
	v_lshl_add_u64 v[30:31], v[28:29], 2, s[16:17]
	v_lshl_add_u64 v[32:33], v[28:29], 4, s[14:15]
	v_mov_b32_e32 v29, v35
	s_branch .LBB203_15
.LBB203_14:                             ;   in Loop: Header=BB203_15 Depth=2
	s_wait_xcnt 0x0
	s_or_b32 exec_lo, exec_lo, s1
	v_add_nc_u32_e32 v28, 8, v28
	s_xor_b32 s30, vcc_lo, -1
	v_add_nc_u64_e32 v[30:31], 32, v[30:31]
	v_add_nc_u64_e32 v[32:33], 0x80, v[32:33]
	s_delay_alu instid0(VALU_DEP_3) | instskip(SKIP_1) | instid1(SALU_CYCLE_1)
	v_cmp_ge_i32_e64 s1, v28, v35
	s_or_b32 s1, s30, s1
	s_and_b32 s1, exec_lo, s1
	s_delay_alu instid0(SALU_CYCLE_1) | instskip(NEXT) | instid1(SALU_CYCLE_1)
	s_or_b32 s29, s1, s29
	s_and_not1_b32 exec_lo, exec_lo, s29
	s_cbranch_execz .LBB203_19
.LBB203_15:                             ;   Parent Loop BB203_10 Depth=1
                                        ; =>  This Inner Loop Header: Depth=2
	global_load_b32 v6, v[30:31], off
	s_wait_loadcnt 0x0
	v_subrev_nc_u32_e32 v58, s24, v6
	s_delay_alu instid0(VALU_DEP_1) | instskip(NEXT) | instid1(VALU_DEP_1)
	v_sub_nc_u32_e32 v6, 0, v58
	v_max_i32_e32 v6, v58, v6
	s_delay_alu instid0(VALU_DEP_1) | instskip(NEXT) | instid1(VALU_DEP_1)
	v_mul_u64_e32 v[60:61], s[18:19], v[6:7]
	v_mul_lo_u32 v59, v61, s10
	s_delay_alu instid0(VALU_DEP_1) | instskip(NEXT) | instid1(VALU_DEP_1)
	v_dual_sub_nc_u32 v6, v6, v59 :: v_dual_add_nc_u32 v59, 1, v61
	v_cmp_le_u32_e32 vcc_lo, s10, v6
	s_delay_alu instid0(VALU_DEP_2) | instskip(SKIP_1) | instid1(VALU_DEP_1)
	v_dual_cndmask_b32 v59, v61, v59, vcc_lo :: v_dual_ashrrev_i32 v61, 31, v58
	v_subrev_nc_u32_e32 v60, s10, v6
	v_dual_cndmask_b32 v6, v6, v60, vcc_lo :: v_dual_add_nc_u32 v60, 1, v59
	s_delay_alu instid0(VALU_DEP_1) | instskip(NEXT) | instid1(VALU_DEP_2)
	v_cmp_le_u32_e32 vcc_lo, s10, v6
	v_dual_cndmask_b32 v6, v59, v60, vcc_lo :: v_dual_bitop2_b32 v61, s21, v61 bitop3:0x14
	s_delay_alu instid0(VALU_DEP_1) | instskip(NEXT) | instid1(VALU_DEP_1)
	v_xor_b32_e32 v6, v6, v61
	v_dual_mov_b32 v6, v29 :: v_dual_sub_nc_u32 v59, v6, v61
	s_delay_alu instid0(VALU_DEP_1) | instskip(SKIP_3) | instid1(SALU_CYCLE_1)
	v_cmp_ne_u32_e64 s1, v59, v57
	v_cmp_eq_u32_e32 vcc_lo, v59, v57
	s_wait_xcnt 0x0
	s_and_saveexec_b32 s30, s1
	s_xor_b32 s1, exec_lo, s30
; %bb.16:                               ;   in Loop: Header=BB203_15 Depth=2
	v_min_i32_e32 v56, v59, v56
                                        ; implicit-def: $vgpr58
                                        ; implicit-def: $vgpr6
; %bb.17:                               ;   in Loop: Header=BB203_15 Depth=2
	s_or_saveexec_b32 s1, s1
	v_mov_b32_e32 v29, v28
	s_xor_b32 exec_lo, exec_lo, s1
	s_cbranch_execz .LBB203_14
; %bb.18:                               ;   in Loop: Header=BB203_15 Depth=2
	global_load_b128 v[60:63], v[32:33], off
	v_sub_nc_u32_e32 v29, v58, v5
	s_delay_alu instid0(VALU_DEP_1)
	v_lshl_add_u32 v58, v29, 4, v37
	v_mov_b32_e32 v29, v6
	ds_store_b8 v34, v55 offset:32768
	s_wait_loadcnt 0x0
	ds_store_2addr_b64 v58, v[60:61], v[62:63] offset1:1
	s_branch .LBB203_14
.LBB203_19:                             ;   in Loop: Header=BB203_10 Depth=1
	s_or_b32 exec_lo, exec_lo, s29
.LBB203_20:                             ;   in Loop: Header=BB203_10 Depth=1
	s_delay_alu instid0(SALU_CYCLE_1)
	s_or_b32 exec_lo, exec_lo, s28
	ds_bpermute_b32 v5, v38, v29
	s_wait_dscnt 0x0
	ds_load_u8 v28, v34 offset:32768
	v_min_i32_e32 v5, v5, v29
	ds_bpermute_b32 v6, v39, v5
	s_wait_dscnt 0x0
	v_min_i32_e32 v5, v6, v5
	ds_bpermute_b32 v6, v40, v5
	s_wait_dscnt 0x0
	v_min_i32_e32 v5, v6, v5
	ds_bpermute_b32 v32, v41, v5
	v_and_b32_e32 v5, 1, v28
	s_delay_alu instid0(VALU_DEP_1)
	v_cmp_eq_u32_e32 vcc_lo, 1, v5
	v_mov_b32_e32 v5, 0
	s_and_saveexec_b32 s1, vcc_lo
	s_cbranch_execz .LBB203_9
; %bb.21:                               ;   in Loop: Header=BB203_10 Depth=1
	v_ashrrev_i32_e32 v5, 31, v4
	s_delay_alu instid0(VALU_DEP_1) | instskip(SKIP_3) | instid1(VALU_DEP_1)
	v_mul_u64_e32 v[28:29], s[22:23], v[4:5]
	v_add_nc_u32_e32 v5, s25, v57
	global_store_b32 v4, v5, s[12:13] scale_offset
	v_lshlrev_b64_e32 v[28:29], 4, v[28:29]
	v_add_nc_u64_e32 v[30:31], v[8:9], v[28:29]
	v_add_nc_u64_e32 v[28:29], v[10:11], v[28:29]
	s_wait_xcnt 0x0
	s_and_saveexec_b32 s28, s20
	s_cbranch_execz .LBB203_23
; %bb.22:                               ;   in Loop: Header=BB203_10 Depth=1
	ds_load_2addr_b64 v[58:61], v42 offset1:1
	v_lshl_add_u64 v[62:63], v[12:13], 4, v[30:31]
	s_delay_alu instid0(VALU_DEP_1)
	v_dual_cndmask_b32 v63, v63, v29, s0 :: v_dual_cndmask_b32 v62, v62, v28, s0
	s_wait_dscnt 0x0
	global_store_b128 v[62:63], v[58:61], off
.LBB203_23:                             ;   in Loop: Header=BB203_10 Depth=1
	s_wait_xcnt 0x0
	s_or_b32 exec_lo, exec_lo, s28
	s_and_saveexec_b32 s28, s2
	s_cbranch_execz .LBB203_28
; %bb.24:                               ;   in Loop: Header=BB203_10 Depth=1
	s_and_not1_b32 vcc_lo, exec_lo, s26
	s_mov_b32 s29, -1
	s_cbranch_vccnz .LBB203_26
; %bb.25:                               ;   in Loop: Header=BB203_10 Depth=1
	ds_load_2addr_b64 v[58:61], v47 offset1:1
	v_lshl_add_u64 v[62:63], v[14:15], 4, v[30:31]
	s_mov_b32 s29, 0
	s_wait_dscnt 0x0
	global_store_b128 v[62:63], v[58:61], off
.LBB203_26:                             ;   in Loop: Header=BB203_10 Depth=1
	s_and_not1_b32 vcc_lo, exec_lo, s29
	s_cbranch_vccnz .LBB203_28
; %bb.27:                               ;   in Loop: Header=BB203_10 Depth=1
	s_wait_xcnt 0x0
	ds_load_2addr_b64 v[58:61], v47 offset1:1
	s_wait_dscnt 0x0
	global_store_b128 v[28:29], v[58:61], off offset:128
.LBB203_28:                             ;   in Loop: Header=BB203_10 Depth=1
	s_wait_xcnt 0x0
	s_or_b32 exec_lo, exec_lo, s28
	s_and_saveexec_b32 s28, s3
	s_cbranch_execz .LBB203_33
; %bb.29:                               ;   in Loop: Header=BB203_10 Depth=1
	s_and_not1_b32 vcc_lo, exec_lo, s26
	s_mov_b32 s29, -1
	s_cbranch_vccnz .LBB203_31
; %bb.30:                               ;   in Loop: Header=BB203_10 Depth=1
	ds_load_2addr_b64 v[58:61], v48 offset1:1
	v_lshl_add_u64 v[62:63], v[16:17], 4, v[30:31]
	s_mov_b32 s29, 0
	s_wait_dscnt 0x0
	global_store_b128 v[62:63], v[58:61], off
.LBB203_31:                             ;   in Loop: Header=BB203_10 Depth=1
	s_and_not1_b32 vcc_lo, exec_lo, s29
	s_cbranch_vccnz .LBB203_33
; %bb.32:                               ;   in Loop: Header=BB203_10 Depth=1
	s_wait_xcnt 0x0
	ds_load_2addr_b64 v[58:61], v48 offset1:1
	s_wait_dscnt 0x0
	global_store_b128 v[28:29], v[58:61], off offset:256
.LBB203_33:                             ;   in Loop: Header=BB203_10 Depth=1
	;; [unrolled: 23-line block ×6, first 2 shown]
	s_wait_xcnt 0x0
	s_or_b32 exec_lo, exec_lo, s28
	s_and_saveexec_b32 s28, s8
	s_cbranch_execz .LBB203_8
; %bb.54:                               ;   in Loop: Header=BB203_10 Depth=1
	s_and_not1_b32 vcc_lo, exec_lo, s26
	s_mov_b32 s29, -1
	s_cbranch_vccnz .LBB203_56
; %bb.55:                               ;   in Loop: Header=BB203_10 Depth=1
	ds_load_2addr_b64 v[58:61], v53 offset1:1
	v_lshl_add_u64 v[30:31], v[26:27], 4, v[30:31]
	s_mov_b32 s29, 0
	s_wait_dscnt 0x0
	global_store_b128 v[30:31], v[58:61], off
.LBB203_56:                             ;   in Loop: Header=BB203_10 Depth=1
	s_and_not1_b32 vcc_lo, exec_lo, s29
	s_cbranch_vccnz .LBB203_8
; %bb.57:                               ;   in Loop: Header=BB203_10 Depth=1
	s_wait_xcnt 0x0
	ds_load_2addr_b64 v[58:61], v53 offset1:1
	s_wait_dscnt 0x0
	global_store_b128 v[28:29], v[58:61], off offset:896
	s_branch .LBB203_8
.LBB203_58:
	s_endpgm
	.section	.rodata,"a",@progbits
	.p2align	6, 0x0
	.amdhsa_kernel _ZN9rocsparseL44csr2gebsr_wavefront_per_row_multipass_kernelILi256ELi8ELi64ELi64E21rocsparse_complex_numIdEEEv20rocsparse_direction_iiiiii21rocsparse_index_base_PKT3_PKiS9_S4_PS5_PiSB_
		.amdhsa_group_segment_fixed_size 32776
		.amdhsa_private_segment_fixed_size 0
		.amdhsa_kernarg_size 88
		.amdhsa_user_sgpr_count 2
		.amdhsa_user_sgpr_dispatch_ptr 0
		.amdhsa_user_sgpr_queue_ptr 0
		.amdhsa_user_sgpr_kernarg_segment_ptr 1
		.amdhsa_user_sgpr_dispatch_id 0
		.amdhsa_user_sgpr_kernarg_preload_length 0
		.amdhsa_user_sgpr_kernarg_preload_offset 0
		.amdhsa_user_sgpr_private_segment_size 0
		.amdhsa_wavefront_size32 1
		.amdhsa_uses_dynamic_stack 0
		.amdhsa_enable_private_segment 0
		.amdhsa_system_sgpr_workgroup_id_x 1
		.amdhsa_system_sgpr_workgroup_id_y 0
		.amdhsa_system_sgpr_workgroup_id_z 0
		.amdhsa_system_sgpr_workgroup_info 0
		.amdhsa_system_vgpr_workitem_id 0
		.amdhsa_next_free_vgpr 64
		.amdhsa_next_free_sgpr 31
		.amdhsa_named_barrier_count 0
		.amdhsa_reserve_vcc 1
		.amdhsa_float_round_mode_32 0
		.amdhsa_float_round_mode_16_64 0
		.amdhsa_float_denorm_mode_32 3
		.amdhsa_float_denorm_mode_16_64 3
		.amdhsa_fp16_overflow 0
		.amdhsa_memory_ordered 1
		.amdhsa_forward_progress 1
		.amdhsa_inst_pref_size 20
		.amdhsa_round_robin_scheduling 0
		.amdhsa_exception_fp_ieee_invalid_op 0
		.amdhsa_exception_fp_denorm_src 0
		.amdhsa_exception_fp_ieee_div_zero 0
		.amdhsa_exception_fp_ieee_overflow 0
		.amdhsa_exception_fp_ieee_underflow 0
		.amdhsa_exception_fp_ieee_inexact 0
		.amdhsa_exception_int_div_zero 0
	.end_amdhsa_kernel
	.section	.text._ZN9rocsparseL44csr2gebsr_wavefront_per_row_multipass_kernelILi256ELi8ELi64ELi64E21rocsparse_complex_numIdEEEv20rocsparse_direction_iiiiii21rocsparse_index_base_PKT3_PKiS9_S4_PS5_PiSB_,"axG",@progbits,_ZN9rocsparseL44csr2gebsr_wavefront_per_row_multipass_kernelILi256ELi8ELi64ELi64E21rocsparse_complex_numIdEEEv20rocsparse_direction_iiiiii21rocsparse_index_base_PKT3_PKiS9_S4_PS5_PiSB_,comdat
.Lfunc_end203:
	.size	_ZN9rocsparseL44csr2gebsr_wavefront_per_row_multipass_kernelILi256ELi8ELi64ELi64E21rocsparse_complex_numIdEEEv20rocsparse_direction_iiiiii21rocsparse_index_base_PKT3_PKiS9_S4_PS5_PiSB_, .Lfunc_end203-_ZN9rocsparseL44csr2gebsr_wavefront_per_row_multipass_kernelILi256ELi8ELi64ELi64E21rocsparse_complex_numIdEEEv20rocsparse_direction_iiiiii21rocsparse_index_base_PKT3_PKiS9_S4_PS5_PiSB_
                                        ; -- End function
	.set _ZN9rocsparseL44csr2gebsr_wavefront_per_row_multipass_kernelILi256ELi8ELi64ELi64E21rocsparse_complex_numIdEEEv20rocsparse_direction_iiiiii21rocsparse_index_base_PKT3_PKiS9_S4_PS5_PiSB_.num_vgpr, 64
	.set _ZN9rocsparseL44csr2gebsr_wavefront_per_row_multipass_kernelILi256ELi8ELi64ELi64E21rocsparse_complex_numIdEEEv20rocsparse_direction_iiiiii21rocsparse_index_base_PKT3_PKiS9_S4_PS5_PiSB_.num_agpr, 0
	.set _ZN9rocsparseL44csr2gebsr_wavefront_per_row_multipass_kernelILi256ELi8ELi64ELi64E21rocsparse_complex_numIdEEEv20rocsparse_direction_iiiiii21rocsparse_index_base_PKT3_PKiS9_S4_PS5_PiSB_.numbered_sgpr, 31
	.set _ZN9rocsparseL44csr2gebsr_wavefront_per_row_multipass_kernelILi256ELi8ELi64ELi64E21rocsparse_complex_numIdEEEv20rocsparse_direction_iiiiii21rocsparse_index_base_PKT3_PKiS9_S4_PS5_PiSB_.num_named_barrier, 0
	.set _ZN9rocsparseL44csr2gebsr_wavefront_per_row_multipass_kernelILi256ELi8ELi64ELi64E21rocsparse_complex_numIdEEEv20rocsparse_direction_iiiiii21rocsparse_index_base_PKT3_PKiS9_S4_PS5_PiSB_.private_seg_size, 0
	.set _ZN9rocsparseL44csr2gebsr_wavefront_per_row_multipass_kernelILi256ELi8ELi64ELi64E21rocsparse_complex_numIdEEEv20rocsparse_direction_iiiiii21rocsparse_index_base_PKT3_PKiS9_S4_PS5_PiSB_.uses_vcc, 1
	.set _ZN9rocsparseL44csr2gebsr_wavefront_per_row_multipass_kernelILi256ELi8ELi64ELi64E21rocsparse_complex_numIdEEEv20rocsparse_direction_iiiiii21rocsparse_index_base_PKT3_PKiS9_S4_PS5_PiSB_.uses_flat_scratch, 0
	.set _ZN9rocsparseL44csr2gebsr_wavefront_per_row_multipass_kernelILi256ELi8ELi64ELi64E21rocsparse_complex_numIdEEEv20rocsparse_direction_iiiiii21rocsparse_index_base_PKT3_PKiS9_S4_PS5_PiSB_.has_dyn_sized_stack, 0
	.set _ZN9rocsparseL44csr2gebsr_wavefront_per_row_multipass_kernelILi256ELi8ELi64ELi64E21rocsparse_complex_numIdEEEv20rocsparse_direction_iiiiii21rocsparse_index_base_PKT3_PKiS9_S4_PS5_PiSB_.has_recursion, 0
	.set _ZN9rocsparseL44csr2gebsr_wavefront_per_row_multipass_kernelILi256ELi8ELi64ELi64E21rocsparse_complex_numIdEEEv20rocsparse_direction_iiiiii21rocsparse_index_base_PKT3_PKiS9_S4_PS5_PiSB_.has_indirect_call, 0
	.section	.AMDGPU.csdata,"",@progbits
; Kernel info:
; codeLenInByte = 2528
; TotalNumSgprs: 33
; NumVgprs: 64
; ScratchSize: 0
; MemoryBound: 0
; FloatMode: 240
; IeeeMode: 1
; LDSByteSize: 32776 bytes/workgroup (compile time only)
; SGPRBlocks: 0
; VGPRBlocks: 3
; NumSGPRsForWavesPerEU: 33
; NumVGPRsForWavesPerEU: 64
; NamedBarCnt: 0
; Occupancy: 16
; WaveLimiterHint : 0
; COMPUTE_PGM_RSRC2:SCRATCH_EN: 0
; COMPUTE_PGM_RSRC2:USER_SGPR: 2
; COMPUTE_PGM_RSRC2:TRAP_HANDLER: 0
; COMPUTE_PGM_RSRC2:TGID_X_EN: 1
; COMPUTE_PGM_RSRC2:TGID_Y_EN: 0
; COMPUTE_PGM_RSRC2:TGID_Z_EN: 0
; COMPUTE_PGM_RSRC2:TIDIG_COMP_CNT: 0
	.section	.text._ZN9rocsparseL44csr2gebsr_wavefront_per_row_multipass_kernelILi128ELi8ELi64ELi32E21rocsparse_complex_numIdEEEv20rocsparse_direction_iiiiii21rocsparse_index_base_PKT3_PKiS9_S4_PS5_PiSB_,"axG",@progbits,_ZN9rocsparseL44csr2gebsr_wavefront_per_row_multipass_kernelILi128ELi8ELi64ELi32E21rocsparse_complex_numIdEEEv20rocsparse_direction_iiiiii21rocsparse_index_base_PKT3_PKiS9_S4_PS5_PiSB_,comdat
	.globl	_ZN9rocsparseL44csr2gebsr_wavefront_per_row_multipass_kernelILi128ELi8ELi64ELi32E21rocsparse_complex_numIdEEEv20rocsparse_direction_iiiiii21rocsparse_index_base_PKT3_PKiS9_S4_PS5_PiSB_ ; -- Begin function _ZN9rocsparseL44csr2gebsr_wavefront_per_row_multipass_kernelILi128ELi8ELi64ELi32E21rocsparse_complex_numIdEEEv20rocsparse_direction_iiiiii21rocsparse_index_base_PKT3_PKiS9_S4_PS5_PiSB_
	.p2align	8
	.type	_ZN9rocsparseL44csr2gebsr_wavefront_per_row_multipass_kernelILi128ELi8ELi64ELi32E21rocsparse_complex_numIdEEEv20rocsparse_direction_iiiiii21rocsparse_index_base_PKT3_PKiS9_S4_PS5_PiSB_,@function
_ZN9rocsparseL44csr2gebsr_wavefront_per_row_multipass_kernelILi128ELi8ELi64ELi32E21rocsparse_complex_numIdEEEv20rocsparse_direction_iiiiii21rocsparse_index_base_PKT3_PKiS9_S4_PS5_PiSB_: ; @_ZN9rocsparseL44csr2gebsr_wavefront_per_row_multipass_kernelILi128ELi8ELi64ELi32E21rocsparse_complex_numIdEEEv20rocsparse_direction_iiiiii21rocsparse_index_base_PKT3_PKiS9_S4_PS5_PiSB_
; %bb.0:
	s_clause 0x1
	s_load_b128 s[16:19], s[0:1], 0xc
	s_load_b64 s[4:5], s[0:1], 0x0
	s_bfe_u32 s2, ttmp6, 0x4000c
	s_and_b32 s3, ttmp6, 15
	s_add_co_i32 s2, s2, 1
	s_getreg_b32 s6, hwreg(HW_REG_IB_STS2, 6, 4)
	s_mul_i32 s2, ttmp9, s2
	v_dual_lshrrev_b32 v50, 5, v0 :: v_dual_mov_b32 v4, 0
	s_add_co_i32 s3, s3, s2
	s_cmp_eq_u32 s6, 0
	v_bfe_u32 v1, v0, 2, 3
	s_cselect_b32 s2, ttmp9, s3
	s_clause 0x1
	s_load_b32 s33, s[0:1], 0x1c
	s_load_b64 s[6:7], s[0:1], 0x28
	v_lshl_or_b32 v2, s2, 2, v50
	v_mov_b32_e32 v48, 0
	s_wait_kmcnt 0x0
	s_delay_alu instid0(VALU_DEP_2) | instskip(SKIP_1) | instid1(VALU_DEP_2)
	v_mad_u32 v3, v2, s18, v1
	v_cmp_gt_i32_e32 vcc_lo, s18, v1
	v_cmp_gt_i32_e64 s2, s5, v3
	s_and_b32 s2, vcc_lo, s2
	s_delay_alu instid0(SALU_CYCLE_1)
	s_and_saveexec_b32 s3, s2
	s_cbranch_execz .LBB204_2
; %bb.1:
	global_load_b32 v5, v3, s[6:7] scale_offset
	s_wait_loadcnt 0x0
	v_subrev_nc_u32_e32 v48, s33, v5
.LBB204_2:
	s_or_b32 exec_lo, exec_lo, s3
	v_mov_b32_e32 v51, 0
	s_and_saveexec_b32 s3, s2
	s_cbranch_execz .LBB204_4
; %bb.3:
	global_load_b32 v3, v3, s[6:7] offset:4 scale_offset
	s_wait_loadcnt 0x0
	v_subrev_nc_u32_e32 v51, s33, v3
.LBB204_4:
	s_or_b32 exec_lo, exec_lo, s3
	s_load_b32 s34, s[0:1], 0x38
	s_mov_b32 s3, exec_lo
	v_cmpx_gt_i32_e64 s16, v2
	s_cbranch_execz .LBB204_6
; %bb.5:
	s_load_b64 s[6:7], s[0:1], 0x48
	s_wait_kmcnt 0x0
	global_load_b32 v2, v2, s[6:7] scale_offset
	s_wait_loadcnt 0x0
	v_subrev_nc_u32_e32 v4, s34, v2
.LBB204_6:
	s_or_b32 exec_lo, exec_lo, s3
	s_cmp_lt_i32 s17, 1
	s_cbranch_scc1 .LBB204_98
; %bb.7:
	v_mbcnt_lo_u32_b32 v5, -1, 0
	s_clause 0x3
	s_load_b64 s[20:21], s[0:1], 0x50
	s_load_b64 s[2:3], s[0:1], 0x40
	;; [unrolled: 1-line block ×4, first 2 shown]
	v_dual_lshlrev_b32 v0, 10, v1 :: v_dual_bitop2_b32 v52, 3, v0 bitop3:0x40
	s_cmp_eq_u32 s4, 0
	v_xor_b32_e32 v3, 1, v5
	v_xor_b32_e32 v2, 2, v5
	s_mov_b32 s27, 0
	v_lshl_or_b32 v53, v50, 13, v0
	s_mov_b32 s26, s18
	s_mov_b32 s28, s19
	s_wait_xcnt 0x0
	v_cmp_gt_i32_e64 s0, 32, v2
	v_lshl_or_b32 v56, v5, 2, 12
	v_dual_mov_b32 v78, 1 :: v_dual_mov_b32 v80, 0
	s_mov_b32 s36, s27
	v_cndmask_b32_e64 v6, v5, v2, s0
	v_mul_lo_u32 v2, s19, v1
	v_cmp_gt_i32_e64 s0, 32, v3
	v_dual_mov_b32 v7, 0 :: v_dual_lshlrev_b32 v0, 4, v52
	v_or_b32_e32 v77, -4, v52
	v_mov_b32_e32 v61, 0x7c
	s_delay_alu instid0(VALU_DEP_4) | instskip(NEXT) | instid1(VALU_DEP_4)
	v_dual_cndmask_b32 v3, v5, v3, s0 :: v_dual_lshlrev_b32 v54, 2, v6
	v_dual_mov_b32 v1, v7 :: v_dual_lshlrev_b32 v6, 4, v1
	s_cselect_b32 s0, -1, 0
	s_delay_alu instid0(VALU_DEP_2)
	v_dual_lshlrev_b32 v55, 2, v3 :: v_dual_ashrrev_i32 v3, 31, v2
	v_or_b32_e32 v57, v53, v0
	s_wait_kmcnt 0x0
	v_add_nc_u64_e32 v[8:9], s[2:3], v[6:7]
	v_xor_b32_e32 v6, 8, v5
	v_xor_b32_e32 v12, 16, v5
	v_lshl_add_u64 v[2:3], v[2:3], 4, s[2:3]
	s_cmp_lg_u32 s4, 0
	v_mov_b32_e32 v15, v7
	s_cselect_b32 s35, -1, 0
	v_cmp_gt_i32_e64 s1, 32, v12
	v_add_nc_u64_e32 v[10:11], v[2:3], v[0:1]
	s_ashr_i32 s29, s19, 31
	v_mov_b32_e32 v13, v7
	s_mul_u64 s[30:31], s[28:29], s[26:27]
	v_cndmask_b32_e64 v1, v5, v12, s1
	v_cmp_gt_i32_e64 s1, 32, v6
	v_mul_lo_u32 v12, v52, s18
	s_lshl_b32 s26, s18, 2
	v_or_b32_e32 v62, 64, v57
	v_dual_lshlrev_b32 v58, 2, v1 :: v_dual_cndmask_b32 v2, v5, v6, s1
	v_xor_b32_e32 v0, 4, v5
	v_dual_mov_b32 v17, v7 :: v_dual_bitop2_b32 v1, 4, v52 bitop3:0x54
	s_delay_alu instid0(VALU_DEP_3) | instskip(NEXT) | instid1(VALU_DEP_3)
	v_dual_mov_b32 v21, v7 :: v_dual_lshlrev_b32 v59, 2, v2
	v_cmp_gt_i32_e64 s1, 32, v0
	v_add_nc_u32_e32 v14, s26, v12
	s_delay_alu instid0(VALU_DEP_4)
	v_cmp_gt_u32_e64 s2, s19, v1
	v_or_b32_e32 v1, 16, v52
	s_abs_i32 s18, s19
	v_cndmask_b32_e64 v0, v5, v0, s1
	s_cvt_f32_u32 s28, s18
	v_mov_b32_e32 v25, v7
	v_cmp_gt_u32_e64 s1, s19, v52
	s_delay_alu instid0(VALU_DEP_3) | instskip(SKIP_3) | instid1(VALU_DEP_3)
	v_dual_mov_b32 v29, v7 :: v_dual_lshlrev_b32 v60, 2, v0
	v_dual_add_nc_u32 v16, s26, v14 :: v_dual_bitop2_b32 v0, 8, v52 bitop3:0x54
	v_cmp_gt_u32_e64 s5, s19, v1
	v_dual_mov_b32 v33, v7 :: v_dual_bitop2_b32 v1, 24, v52 bitop3:0x54
	v_cmp_gt_u32_e64 s3, s19, v0
	v_or_b32_e32 v0, 12, v52
	v_dual_mov_b32 v19, v7 :: v_dual_add_nc_u32 v18, s26, v16
	s_delay_alu instid0(VALU_DEP_4) | instskip(SKIP_1) | instid1(VALU_DEP_4)
	v_cmp_gt_u32_e64 s7, s19, v1
	v_or_b32_e32 v1, 32, v52
	v_cmp_gt_u32_e64 s4, s19, v0
	s_delay_alu instid0(VALU_DEP_4) | instskip(SKIP_1) | instid1(VALU_DEP_4)
	v_dual_add_nc_u32 v20, s26, v18 :: v_dual_bitop2_b32 v0, 20, v52 bitop3:0x54
	v_dual_mov_b32 v37, v7 :: v_dual_mov_b32 v23, v7
	v_cmp_gt_u32_e64 s9, s19, v1
	s_delay_alu instid0(VALU_DEP_3) | instskip(NEXT) | instid1(VALU_DEP_4)
	v_cmp_gt_u32_e64 s6, s19, v0
	v_add_nc_u32_e32 v22, s26, v20
	v_or_b32_e32 v0, 28, v52
	v_or_b32_e32 v1, 40, v52
	;; [unrolled: 1-line block ×4, first 2 shown]
	v_add_nc_u32_e32 v24, s26, v22
	v_cmp_gt_u32_e64 s8, s19, v0
	v_mov_b32_e32 v27, v7
	v_cmp_gt_u32_e64 s11, s19, v1
	v_or_b32_e32 v1, 48, v52
	v_add_nc_u32_e32 v26, s26, v24
	v_or_b32_e32 v0, 36, v52
	v_or_b32_e32 v65, 0x100, v57
	;; [unrolled: 1-line block ×3, first 2 shown]
	v_cmp_gt_u32_e64 s13, s19, v1
	v_add_nc_u32_e32 v28, s26, v26
	v_cmp_gt_u32_e64 s10, s19, v0
	v_dual_mov_b32 v31, v7 :: v_dual_bitop2_b32 v1, 56, v52 bitop3:0x54
	v_or_b32_e32 v67, 0x180, v57
	s_delay_alu instid0(VALU_DEP_4)
	v_add_nc_u32_e32 v30, s26, v28
	v_or_b32_e32 v0, 44, v52
	v_or_b32_e32 v68, 0x1c0, v57
	v_cmp_gt_u32_e64 s15, s19, v1
	v_or_b32_e32 v69, 0x200, v57
	v_add_nc_u32_e32 v32, s26, v30
	v_cmp_gt_u32_e64 s12, s19, v0
	v_mov_b32_e32 v35, v7
	v_or_b32_e32 v70, 0x240, v57
	v_or_b32_e32 v71, 0x280, v57
	v_add_nc_u32_e32 v34, s26, v32
	v_or_b32_e32 v0, 52, v52
	v_or_b32_e32 v72, 0x2c0, v57
	;; [unrolled: 1-line block ×4, first 2 shown]
	v_add_nc_u32_e32 v36, s26, v34
	v_cmp_gt_u32_e64 s14, s19, v0
	v_mov_b32_e32 v39, v7
	v_or_b32_e32 v75, 0x380, v57
	v_or_b32_e32 v76, 0x3c0, v57
	v_add_nc_u32_e32 v38, s26, v36
	v_dual_mov_b32 v43, v7 :: v_dual_bitop2_b32 v0, 60, v52 bitop3:0x54
	v_dual_mov_b32 v2, v7 :: v_dual_mov_b32 v3, v7
	s_delay_alu instid0(VALU_DEP_3) | instskip(NEXT) | instid1(VALU_DEP_3)
	v_add_nc_u32_e32 v40, s26, v38
	v_cmp_gt_u32_e64 s16, s19, v0
	v_rcp_iflag_f32_e32 v0, s28
	s_and_b32 s28, s1, vcc_lo
	v_dual_mov_b32 v41, v7 :: v_dual_add_nc_u32 v42, s26, v40
	s_sub_co_i32 s26, 0, s18
	v_mov_b32_e32 v1, v7
	s_and_b32 s2, vcc_lo, s2
	s_delay_alu instid0(TRANS32_DEP_1)
	v_readfirstlane_b32 s1, v0
	v_mov_b32_e32 v0, v7
	s_and_b32 s3, vcc_lo, s3
	s_and_b32 s4, vcc_lo, s4
	s_and_b32 s5, vcc_lo, s5
	s_mul_f32 s1, s1, 0x4f7ffffe
	s_and_b32 s6, vcc_lo, s6
	s_and_b32 s7, vcc_lo, s7
	s_and_b32 s8, vcc_lo, s8
	s_cvt_u32_f32 s1, s1
	s_and_b32 s9, vcc_lo, s9
	s_and_b32 s10, vcc_lo, s10
	;; [unrolled: 1-line block ×3, first 2 shown]
	s_mul_i32 s26, s26, s1
	s_and_b32 s12, vcc_lo, s12
	s_mul_hi_u32 s26, s1, s26
	s_and_b32 s13, vcc_lo, s13
	s_and_b32 s14, vcc_lo, s14
	s_and_b32 s15, vcc_lo, s15
	s_and_b32 s16, vcc_lo, s16
	s_add_co_i32 s26, s1, s26
	s_branch .LBB204_10
.LBB204_8:                              ;   in Loop: Header=BB204_10 Depth=1
	s_wait_xcnt 0x0
	s_or_b32 exec_lo, exec_lo, s37
	v_mov_b32_e32 v5, 1
.LBB204_9:                              ;   in Loop: Header=BB204_10 Depth=1
	s_or_b32 exec_lo, exec_lo, s1
	ds_bpermute_b32 v6, v58, v79
	s_wait_storecnt_dscnt 0x0
	v_dual_add_nc_u32 v4, v5, v4 :: v_dual_min_i32 v6, v6, v79
	ds_bpermute_b32 v44, v59, v6
	s_wait_dscnt 0x0
	v_min_i32_e32 v6, v44, v6
	ds_bpermute_b32 v44, v60, v6
	s_wait_dscnt 0x0
	v_min_i32_e32 v6, v44, v6
	;; [unrolled: 3-line block ×4, first 2 shown]
	ds_bpermute_b32 v80, v61, v6
	s_wait_dscnt 0x0
	v_cmp_le_i32_e32 vcc_lo, s17, v80
	s_or_b32 s36, vcc_lo, s36
	s_delay_alu instid0(SALU_CYCLE_1)
	s_and_not1_b32 exec_lo, exec_lo, s36
	s_cbranch_execz .LBB204_98
.LBB204_10:                             ; =>This Loop Header: Depth=1
                                        ;     Child Loop BB204_11 Depth 2
                                        ;     Child Loop BB204_15 Depth 2
	v_dual_mov_b32 v5, v57 :: v_dual_mov_b32 v6, v77
	s_mov_b32 s1, 0
	ds_store_b8 v50, v7 offset:32768
.LBB204_11:                             ;   Parent Loop BB204_10 Depth=1
                                        ; =>  This Inner Loop Header: Depth=2
	v_add_nc_u32_e32 v6, 4, v6
	ds_store_b128 v5, v[0:3]
	v_add_nc_u32_e32 v5, 64, v5
	v_cmp_lt_u32_e32 vcc_lo, 59, v6
	s_or_b32 s1, vcc_lo, s1
	s_delay_alu instid0(SALU_CYCLE_1)
	s_and_not1_b32 exec_lo, exec_lo, s1
	s_cbranch_execnz .LBB204_11
; %bb.12:                               ;   in Loop: Header=BB204_10 Depth=1
	s_or_b32 exec_lo, exec_lo, s1
	v_dual_mov_b32 v79, s17 :: v_dual_add_nc_u32 v44, v48, v52
	v_mov_b32_e32 v45, v51
	s_mov_b32 s37, exec_lo
	s_wait_dscnt 0x0
	s_delay_alu instid0(VALU_DEP_2)
	v_cmpx_lt_i32_e64 v44, v51
	s_cbranch_execz .LBB204_20
; %bb.13:                               ;   in Loop: Header=BB204_10 Depth=1
	v_mul_lo_u32 v5, v80, s19
	v_dual_ashrrev_i32 v45, 31, v44 :: v_dual_mov_b32 v79, s17
	s_mov_b32 s38, 0
	s_delay_alu instid0(VALU_DEP_1)
	v_lshl_add_u64 v[46:47], v[44:45], 2, s[24:25]
	v_lshl_add_u64 v[48:49], v[44:45], 4, s[22:23]
	v_mov_b32_e32 v45, v51
	s_branch .LBB204_15
.LBB204_14:                             ;   in Loop: Header=BB204_15 Depth=2
	s_wait_xcnt 0x0
	s_or_b32 exec_lo, exec_lo, s1
	v_add_nc_u32_e32 v44, 4, v44
	s_xor_b32 s39, vcc_lo, -1
	v_add_nc_u64_e32 v[46:47], 16, v[46:47]
	v_add_nc_u64_e32 v[48:49], 64, v[48:49]
	s_delay_alu instid0(VALU_DEP_3) | instskip(SKIP_1) | instid1(SALU_CYCLE_1)
	v_cmp_ge_i32_e64 s1, v44, v51
	s_or_b32 s1, s39, s1
	s_and_b32 s1, exec_lo, s1
	s_delay_alu instid0(SALU_CYCLE_1) | instskip(NEXT) | instid1(SALU_CYCLE_1)
	s_or_b32 s38, s1, s38
	s_and_not1_b32 exec_lo, exec_lo, s38
	s_cbranch_execz .LBB204_19
.LBB204_15:                             ;   Parent Loop BB204_10 Depth=1
                                        ; =>  This Inner Loop Header: Depth=2
	global_load_b32 v6, v[46:47], off
	s_wait_loadcnt 0x0
	v_subrev_nc_u32_e32 v81, s33, v6
	s_delay_alu instid0(VALU_DEP_1) | instskip(NEXT) | instid1(VALU_DEP_1)
	v_sub_nc_u32_e32 v6, 0, v81
	v_max_i32_e32 v6, v81, v6
	s_delay_alu instid0(VALU_DEP_1) | instskip(NEXT) | instid1(VALU_DEP_1)
	v_mul_u64_e32 v[82:83], s[26:27], v[6:7]
	v_mul_lo_u32 v82, v83, s18
	s_delay_alu instid0(VALU_DEP_1) | instskip(NEXT) | instid1(VALU_DEP_1)
	v_dual_sub_nc_u32 v6, v6, v82 :: v_dual_add_nc_u32 v82, 1, v83
	v_cmp_le_u32_e32 vcc_lo, s18, v6
	s_delay_alu instid0(VALU_DEP_2) | instskip(SKIP_1) | instid1(VALU_DEP_1)
	v_cndmask_b32_e32 v82, v83, v82, vcc_lo
	v_subrev_nc_u32_e32 v84, s18, v6
	v_dual_cndmask_b32 v6, v6, v84 :: v_dual_ashrrev_i32 v83, 31, v81
	s_delay_alu instid0(VALU_DEP_3) | instskip(NEXT) | instid1(VALU_DEP_2)
	v_add_nc_u32_e32 v84, 1, v82
	v_cmp_le_u32_e32 vcc_lo, s18, v6
	s_delay_alu instid0(VALU_DEP_2) | instskip(NEXT) | instid1(VALU_DEP_1)
	v_dual_cndmask_b32 v6, v82, v84, vcc_lo :: v_dual_bitop2_b32 v83, s29, v83 bitop3:0x14
	v_xor_b32_e32 v6, v6, v83
	s_delay_alu instid0(VALU_DEP_1) | instskip(NEXT) | instid1(VALU_DEP_1)
	v_dual_sub_nc_u32 v82, v6, v83 :: v_dual_mov_b32 v6, v45
	v_cmp_ne_u32_e64 s1, v82, v80
	v_cmp_eq_u32_e32 vcc_lo, v82, v80
	s_wait_xcnt 0x0
	s_and_saveexec_b32 s39, s1
	s_delay_alu instid0(SALU_CYCLE_1)
	s_xor_b32 s1, exec_lo, s39
; %bb.16:                               ;   in Loop: Header=BB204_15 Depth=2
	v_min_i32_e32 v79, v82, v79
                                        ; implicit-def: $vgpr81
                                        ; implicit-def: $vgpr6
; %bb.17:                               ;   in Loop: Header=BB204_15 Depth=2
	s_or_saveexec_b32 s1, s1
	v_mov_b32_e32 v45, v44
	s_xor_b32 exec_lo, exec_lo, s1
	s_cbranch_execz .LBB204_14
; %bb.18:                               ;   in Loop: Header=BB204_15 Depth=2
	global_load_b128 v[82:85], v[48:49], off
	v_sub_nc_u32_e32 v45, v81, v5
	s_delay_alu instid0(VALU_DEP_1)
	v_lshl_add_u32 v81, v45, 4, v53
	v_mov_b32_e32 v45, v6
	ds_store_b8 v50, v78 offset:32768
	s_wait_loadcnt 0x0
	ds_store_2addr_b64 v81, v[82:83], v[84:85] offset1:1
	s_branch .LBB204_14
.LBB204_19:                             ;   in Loop: Header=BB204_10 Depth=1
	s_or_b32 exec_lo, exec_lo, s38
.LBB204_20:                             ;   in Loop: Header=BB204_10 Depth=1
	s_delay_alu instid0(SALU_CYCLE_1)
	s_or_b32 exec_lo, exec_lo, s37
	ds_bpermute_b32 v5, v54, v45
	s_wait_dscnt 0x0
	ds_load_u8 v44, v50 offset:32768
	v_min_i32_e32 v5, v5, v45
	ds_bpermute_b32 v6, v55, v5
	s_wait_dscnt 0x0
	v_min_i32_e32 v5, v6, v5
	ds_bpermute_b32 v48, v56, v5
	v_and_b32_e32 v5, 1, v44
	s_delay_alu instid0(VALU_DEP_1)
	v_cmp_eq_u32_e32 vcc_lo, 1, v5
	v_mov_b32_e32 v5, 0
	s_and_saveexec_b32 s1, vcc_lo
	s_cbranch_execz .LBB204_9
; %bb.21:                               ;   in Loop: Header=BB204_10 Depth=1
	v_ashrrev_i32_e32 v5, 31, v4
	s_delay_alu instid0(VALU_DEP_1) | instskip(SKIP_3) | instid1(VALU_DEP_1)
	v_mul_u64_e32 v[44:45], s[30:31], v[4:5]
	v_add_nc_u32_e32 v5, s34, v80
	global_store_b32 v4, v5, s[20:21] scale_offset
	v_lshlrev_b64_e32 v[44:45], 4, v[44:45]
	v_add_nc_u64_e32 v[46:47], v[8:9], v[44:45]
	v_add_nc_u64_e32 v[44:45], v[10:11], v[44:45]
	s_wait_xcnt 0x0
	s_and_saveexec_b32 s37, s28
	s_cbranch_execz .LBB204_23
; %bb.22:                               ;   in Loop: Header=BB204_10 Depth=1
	ds_load_2addr_b64 v[80:83], v57 offset1:1
	v_lshl_add_u64 v[84:85], v[12:13], 4, v[46:47]
	s_delay_alu instid0(VALU_DEP_1)
	v_dual_cndmask_b32 v85, v85, v45, s0 :: v_dual_cndmask_b32 v84, v84, v44, s0
	s_wait_dscnt 0x0
	global_store_b128 v[84:85], v[80:83], off
.LBB204_23:                             ;   in Loop: Header=BB204_10 Depth=1
	s_wait_xcnt 0x0
	s_or_b32 exec_lo, exec_lo, s37
	s_and_saveexec_b32 s37, s2
	s_cbranch_execz .LBB204_28
; %bb.24:                               ;   in Loop: Header=BB204_10 Depth=1
	s_and_not1_b32 vcc_lo, exec_lo, s35
	s_mov_b32 s38, -1
	s_cbranch_vccnz .LBB204_26
; %bb.25:                               ;   in Loop: Header=BB204_10 Depth=1
	ds_load_2addr_b64 v[80:83], v62 offset1:1
	v_lshl_add_u64 v[84:85], v[14:15], 4, v[46:47]
	s_mov_b32 s38, 0
	s_wait_dscnt 0x0
	global_store_b128 v[84:85], v[80:83], off
.LBB204_26:                             ;   in Loop: Header=BB204_10 Depth=1
	s_and_not1_b32 vcc_lo, exec_lo, s38
	s_cbranch_vccnz .LBB204_28
; %bb.27:                               ;   in Loop: Header=BB204_10 Depth=1
	s_wait_xcnt 0x0
	ds_load_2addr_b64 v[80:83], v62 offset1:1
	s_wait_dscnt 0x0
	global_store_b128 v[44:45], v[80:83], off offset:64
.LBB204_28:                             ;   in Loop: Header=BB204_10 Depth=1
	s_wait_xcnt 0x0
	s_or_b32 exec_lo, exec_lo, s37
	s_and_saveexec_b32 s37, s3
	s_cbranch_execz .LBB204_33
; %bb.29:                               ;   in Loop: Header=BB204_10 Depth=1
	s_and_not1_b32 vcc_lo, exec_lo, s35
	s_mov_b32 s38, -1
	s_cbranch_vccnz .LBB204_31
; %bb.30:                               ;   in Loop: Header=BB204_10 Depth=1
	ds_load_2addr_b64 v[80:83], v63 offset1:1
	v_lshl_add_u64 v[84:85], v[16:17], 4, v[46:47]
	s_mov_b32 s38, 0
	s_wait_dscnt 0x0
	global_store_b128 v[84:85], v[80:83], off
.LBB204_31:                             ;   in Loop: Header=BB204_10 Depth=1
	s_and_not1_b32 vcc_lo, exec_lo, s38
	s_cbranch_vccnz .LBB204_33
; %bb.32:                               ;   in Loop: Header=BB204_10 Depth=1
	s_wait_xcnt 0x0
	ds_load_2addr_b64 v[80:83], v63 offset1:1
	s_wait_dscnt 0x0
	global_store_b128 v[44:45], v[80:83], off offset:128
.LBB204_33:                             ;   in Loop: Header=BB204_10 Depth=1
	;; [unrolled: 23-line block ×14, first 2 shown]
	s_wait_xcnt 0x0
	s_or_b32 exec_lo, exec_lo, s37
	s_and_saveexec_b32 s37, s16
	s_cbranch_execz .LBB204_8
; %bb.94:                               ;   in Loop: Header=BB204_10 Depth=1
	s_and_not1_b32 vcc_lo, exec_lo, s35
	s_mov_b32 s38, -1
	s_cbranch_vccnz .LBB204_96
; %bb.95:                               ;   in Loop: Header=BB204_10 Depth=1
	ds_load_2addr_b64 v[80:83], v76 offset1:1
	v_lshl_add_u64 v[46:47], v[42:43], 4, v[46:47]
	s_mov_b32 s38, 0
	s_wait_dscnt 0x0
	global_store_b128 v[46:47], v[80:83], off
.LBB204_96:                             ;   in Loop: Header=BB204_10 Depth=1
	s_and_not1_b32 vcc_lo, exec_lo, s38
	s_cbranch_vccnz .LBB204_8
; %bb.97:                               ;   in Loop: Header=BB204_10 Depth=1
	s_wait_xcnt 0x0
	ds_load_2addr_b64 v[80:83], v76 offset1:1
	s_wait_dscnt 0x0
	global_store_b128 v[44:45], v[80:83], off offset:960
	s_branch .LBB204_8
.LBB204_98:
	s_endpgm
	.section	.rodata,"a",@progbits
	.p2align	6, 0x0
	.amdhsa_kernel _ZN9rocsparseL44csr2gebsr_wavefront_per_row_multipass_kernelILi128ELi8ELi64ELi32E21rocsparse_complex_numIdEEEv20rocsparse_direction_iiiiii21rocsparse_index_base_PKT3_PKiS9_S4_PS5_PiSB_
		.amdhsa_group_segment_fixed_size 32776
		.amdhsa_private_segment_fixed_size 0
		.amdhsa_kernarg_size 88
		.amdhsa_user_sgpr_count 2
		.amdhsa_user_sgpr_dispatch_ptr 0
		.amdhsa_user_sgpr_queue_ptr 0
		.amdhsa_user_sgpr_kernarg_segment_ptr 1
		.amdhsa_user_sgpr_dispatch_id 0
		.amdhsa_user_sgpr_kernarg_preload_length 0
		.amdhsa_user_sgpr_kernarg_preload_offset 0
		.amdhsa_user_sgpr_private_segment_size 0
		.amdhsa_wavefront_size32 1
		.amdhsa_uses_dynamic_stack 0
		.amdhsa_enable_private_segment 0
		.amdhsa_system_sgpr_workgroup_id_x 1
		.amdhsa_system_sgpr_workgroup_id_y 0
		.amdhsa_system_sgpr_workgroup_id_z 0
		.amdhsa_system_sgpr_workgroup_info 0
		.amdhsa_system_vgpr_workitem_id 0
		.amdhsa_next_free_vgpr 97
		.amdhsa_next_free_sgpr 40
		.amdhsa_named_barrier_count 0
		.amdhsa_reserve_vcc 1
		.amdhsa_float_round_mode_32 0
		.amdhsa_float_round_mode_16_64 0
		.amdhsa_float_denorm_mode_32 3
		.amdhsa_float_denorm_mode_16_64 3
		.amdhsa_fp16_overflow 0
		.amdhsa_memory_ordered 1
		.amdhsa_forward_progress 1
		.amdhsa_inst_pref_size 28
		.amdhsa_round_robin_scheduling 0
		.amdhsa_exception_fp_ieee_invalid_op 0
		.amdhsa_exception_fp_denorm_src 0
		.amdhsa_exception_fp_ieee_div_zero 0
		.amdhsa_exception_fp_ieee_overflow 0
		.amdhsa_exception_fp_ieee_underflow 0
		.amdhsa_exception_fp_ieee_inexact 0
		.amdhsa_exception_int_div_zero 0
	.end_amdhsa_kernel
	.section	.text._ZN9rocsparseL44csr2gebsr_wavefront_per_row_multipass_kernelILi128ELi8ELi64ELi32E21rocsparse_complex_numIdEEEv20rocsparse_direction_iiiiii21rocsparse_index_base_PKT3_PKiS9_S4_PS5_PiSB_,"axG",@progbits,_ZN9rocsparseL44csr2gebsr_wavefront_per_row_multipass_kernelILi128ELi8ELi64ELi32E21rocsparse_complex_numIdEEEv20rocsparse_direction_iiiiii21rocsparse_index_base_PKT3_PKiS9_S4_PS5_PiSB_,comdat
.Lfunc_end204:
	.size	_ZN9rocsparseL44csr2gebsr_wavefront_per_row_multipass_kernelILi128ELi8ELi64ELi32E21rocsparse_complex_numIdEEEv20rocsparse_direction_iiiiii21rocsparse_index_base_PKT3_PKiS9_S4_PS5_PiSB_, .Lfunc_end204-_ZN9rocsparseL44csr2gebsr_wavefront_per_row_multipass_kernelILi128ELi8ELi64ELi32E21rocsparse_complex_numIdEEEv20rocsparse_direction_iiiiii21rocsparse_index_base_PKT3_PKiS9_S4_PS5_PiSB_
                                        ; -- End function
	.set _ZN9rocsparseL44csr2gebsr_wavefront_per_row_multipass_kernelILi128ELi8ELi64ELi32E21rocsparse_complex_numIdEEEv20rocsparse_direction_iiiiii21rocsparse_index_base_PKT3_PKiS9_S4_PS5_PiSB_.num_vgpr, 86
	.set _ZN9rocsparseL44csr2gebsr_wavefront_per_row_multipass_kernelILi128ELi8ELi64ELi32E21rocsparse_complex_numIdEEEv20rocsparse_direction_iiiiii21rocsparse_index_base_PKT3_PKiS9_S4_PS5_PiSB_.num_agpr, 0
	.set _ZN9rocsparseL44csr2gebsr_wavefront_per_row_multipass_kernelILi128ELi8ELi64ELi32E21rocsparse_complex_numIdEEEv20rocsparse_direction_iiiiii21rocsparse_index_base_PKT3_PKiS9_S4_PS5_PiSB_.numbered_sgpr, 40
	.set _ZN9rocsparseL44csr2gebsr_wavefront_per_row_multipass_kernelILi128ELi8ELi64ELi32E21rocsparse_complex_numIdEEEv20rocsparse_direction_iiiiii21rocsparse_index_base_PKT3_PKiS9_S4_PS5_PiSB_.num_named_barrier, 0
	.set _ZN9rocsparseL44csr2gebsr_wavefront_per_row_multipass_kernelILi128ELi8ELi64ELi32E21rocsparse_complex_numIdEEEv20rocsparse_direction_iiiiii21rocsparse_index_base_PKT3_PKiS9_S4_PS5_PiSB_.private_seg_size, 0
	.set _ZN9rocsparseL44csr2gebsr_wavefront_per_row_multipass_kernelILi128ELi8ELi64ELi32E21rocsparse_complex_numIdEEEv20rocsparse_direction_iiiiii21rocsparse_index_base_PKT3_PKiS9_S4_PS5_PiSB_.uses_vcc, 1
	.set _ZN9rocsparseL44csr2gebsr_wavefront_per_row_multipass_kernelILi128ELi8ELi64ELi32E21rocsparse_complex_numIdEEEv20rocsparse_direction_iiiiii21rocsparse_index_base_PKT3_PKiS9_S4_PS5_PiSB_.uses_flat_scratch, 0
	.set _ZN9rocsparseL44csr2gebsr_wavefront_per_row_multipass_kernelILi128ELi8ELi64ELi32E21rocsparse_complex_numIdEEEv20rocsparse_direction_iiiiii21rocsparse_index_base_PKT3_PKiS9_S4_PS5_PiSB_.has_dyn_sized_stack, 0
	.set _ZN9rocsparseL44csr2gebsr_wavefront_per_row_multipass_kernelILi128ELi8ELi64ELi32E21rocsparse_complex_numIdEEEv20rocsparse_direction_iiiiii21rocsparse_index_base_PKT3_PKiS9_S4_PS5_PiSB_.has_recursion, 0
	.set _ZN9rocsparseL44csr2gebsr_wavefront_per_row_multipass_kernelILi128ELi8ELi64ELi32E21rocsparse_complex_numIdEEEv20rocsparse_direction_iiiiii21rocsparse_index_base_PKT3_PKiS9_S4_PS5_PiSB_.has_indirect_call, 0
	.section	.AMDGPU.csdata,"",@progbits
; Kernel info:
; codeLenInByte = 3516
; TotalNumSgprs: 42
; NumVgprs: 86
; ScratchSize: 0
; MemoryBound: 0
; FloatMode: 240
; IeeeMode: 1
; LDSByteSize: 32776 bytes/workgroup (compile time only)
; SGPRBlocks: 0
; VGPRBlocks: 6
; NumSGPRsForWavesPerEU: 42
; NumVGPRsForWavesPerEU: 97
; NamedBarCnt: 0
; Occupancy: 9
; WaveLimiterHint : 0
; COMPUTE_PGM_RSRC2:SCRATCH_EN: 0
; COMPUTE_PGM_RSRC2:USER_SGPR: 2
; COMPUTE_PGM_RSRC2:TRAP_HANDLER: 0
; COMPUTE_PGM_RSRC2:TGID_X_EN: 1
; COMPUTE_PGM_RSRC2:TGID_Y_EN: 0
; COMPUTE_PGM_RSRC2:TGID_Z_EN: 0
; COMPUTE_PGM_RSRC2:TIDIG_COMP_CNT: 0
	.section	.text._ZN9rocsparseL44csr2gebsr_wavefront_per_row_multipass_kernelILi256ELi16ELi2ELi32E21rocsparse_complex_numIdEEEv20rocsparse_direction_iiiiii21rocsparse_index_base_PKT3_PKiS9_S4_PS5_PiSB_,"axG",@progbits,_ZN9rocsparseL44csr2gebsr_wavefront_per_row_multipass_kernelILi256ELi16ELi2ELi32E21rocsparse_complex_numIdEEEv20rocsparse_direction_iiiiii21rocsparse_index_base_PKT3_PKiS9_S4_PS5_PiSB_,comdat
	.globl	_ZN9rocsparseL44csr2gebsr_wavefront_per_row_multipass_kernelILi256ELi16ELi2ELi32E21rocsparse_complex_numIdEEEv20rocsparse_direction_iiiiii21rocsparse_index_base_PKT3_PKiS9_S4_PS5_PiSB_ ; -- Begin function _ZN9rocsparseL44csr2gebsr_wavefront_per_row_multipass_kernelILi256ELi16ELi2ELi32E21rocsparse_complex_numIdEEEv20rocsparse_direction_iiiiii21rocsparse_index_base_PKT3_PKiS9_S4_PS5_PiSB_
	.p2align	8
	.type	_ZN9rocsparseL44csr2gebsr_wavefront_per_row_multipass_kernelILi256ELi16ELi2ELi32E21rocsparse_complex_numIdEEEv20rocsparse_direction_iiiiii21rocsparse_index_base_PKT3_PKiS9_S4_PS5_PiSB_,@function
_ZN9rocsparseL44csr2gebsr_wavefront_per_row_multipass_kernelILi256ELi16ELi2ELi32E21rocsparse_complex_numIdEEEv20rocsparse_direction_iiiiii21rocsparse_index_base_PKT3_PKiS9_S4_PS5_PiSB_: ; @_ZN9rocsparseL44csr2gebsr_wavefront_per_row_multipass_kernelILi256ELi16ELi2ELi32E21rocsparse_complex_numIdEEEv20rocsparse_direction_iiiiii21rocsparse_index_base_PKT3_PKiS9_S4_PS5_PiSB_
; %bb.0:
	s_clause 0x1
	s_load_b128 s[4:7], s[0:1], 0xc
	s_load_b64 s[12:13], s[0:1], 0x0
	s_bfe_u32 s2, ttmp6, 0x4000c
	s_and_b32 s3, ttmp6, 15
	s_add_co_i32 s2, s2, 1
	s_getreg_b32 s8, hwreg(HW_REG_IB_STS2, 6, 4)
	s_mul_i32 s2, ttmp9, s2
	v_dual_lshrrev_b32 v16, 5, v0 :: v_dual_mov_b32 v4, 0
	s_add_co_i32 s3, s3, s2
	s_cmp_eq_u32 s8, 0
	v_bfe_u32 v1, v0, 1, 4
	s_cselect_b32 s2, ttmp9, s3
	s_clause 0x1
	s_load_b32 s18, s[0:1], 0x1c
	s_load_b64 s[8:9], s[0:1], 0x28
	v_lshl_or_b32 v2, s2, 3, v16
	v_mov_b32_e32 v10, 0
	s_wait_kmcnt 0x0
	s_delay_alu instid0(VALU_DEP_2) | instskip(SKIP_1) | instid1(VALU_DEP_2)
	v_mad_u32 v3, v2, s6, v1
	v_cmp_gt_i32_e32 vcc_lo, s6, v1
	v_cmp_gt_i32_e64 s2, s13, v3
	s_and_b32 s2, vcc_lo, s2
	s_delay_alu instid0(SALU_CYCLE_1)
	s_and_saveexec_b32 s3, s2
	s_cbranch_execz .LBB205_2
; %bb.1:
	global_load_b32 v5, v3, s[8:9] scale_offset
	s_wait_loadcnt 0x0
	v_subrev_nc_u32_e32 v10, s18, v5
.LBB205_2:
	s_or_b32 exec_lo, exec_lo, s3
	v_mov_b32_e32 v17, 0
	s_and_saveexec_b32 s3, s2
	s_cbranch_execz .LBB205_4
; %bb.3:
	global_load_b32 v3, v3, s[8:9] offset:4 scale_offset
	s_wait_loadcnt 0x0
	v_subrev_nc_u32_e32 v17, s18, v3
.LBB205_4:
	s_or_b32 exec_lo, exec_lo, s3
	s_load_b32 s19, s[0:1], 0x38
	s_mov_b32 s3, exec_lo
	v_cmpx_gt_i32_e64 s4, v2
	s_cbranch_execz .LBB205_6
; %bb.5:
	s_load_b64 s[8:9], s[0:1], 0x48
	s_wait_kmcnt 0x0
	global_load_b32 v2, v2, s[8:9] scale_offset
	s_wait_loadcnt 0x0
	v_subrev_nc_u32_e32 v4, s19, v2
.LBB205_6:
	s_or_b32 exec_lo, exec_lo, s3
	s_cmp_lt_i32 s5, 1
	s_cbranch_scc1 .LBB205_21
; %bb.7:
	s_load_b64 s[14:15], s[0:1], 0x40
	v_mbcnt_lo_u32_b32 v5, -1, 0
	v_dual_lshlrev_b32 v7, 5, v1 :: v_dual_bitop2_b32 v6, 1, v0 bitop3:0x40
	v_mul_lo_u32 v2, s7, v1
	s_clause 0x2
	s_load_b64 s[2:3], s[0:1], 0x50
	s_load_b64 s[8:9], s[0:1], 0x20
	;; [unrolled: 1-line block ×3, first 2 shown]
	v_dual_mov_b32 v9, 0 :: v_dual_bitop2_b32 v3, 1, v5 bitop3:0x14
	v_mul_lo_u32 v8, s6, v6
	v_and_b32_e32 v0, 0xe0, v0
	v_xor_b32_e32 v14, 2, v5
	s_wait_xcnt 0x0
	v_cmp_gt_i32_e64 s0, 32, v3
	v_lshl_or_b32 v20, v5, 2, 4
	s_mov_b32 s13, 0
	v_lshl_or_b32 v18, v0, 4, v7
	v_mov_b32_e32 v7, v9
	v_dual_cndmask_b32 v11, v5, v3, s0 :: v_dual_ashrrev_i32 v3, 31, v2
	v_cmp_gt_u32_e64 s0, s7, v6
	v_lshlrev_b32_e32 v0, 4, v6
	s_wait_kmcnt 0x0
	v_lshl_add_u64 v[12:13], v[8:9], 4, s[14:15]
	v_dual_mov_b32 v1, v9 :: v_dual_lshlrev_b32 v8, 4, v1
	v_lshl_add_u64 v[2:3], v[2:3], 4, s[14:15]
	s_and_b32 s1, vcc_lo, s0
	s_cmp_eq_u32 s12, 0
	v_lshlrev_b32_e32 v19, 2, v11
	s_cselect_b32 vcc_lo, -1, 0
	s_abs_i32 s4, s7
	v_add_nc_u64_e32 v[2:3], v[2:3], v[0:1]
	v_or_b32_e32 v21, v18, v0
	v_xor_b32_e32 v11, 4, v5
	v_xor_b32_e32 v0, 16, v5
	s_cvt_f32_u32 s0, s4
	v_add_nc_u64_e32 v[12:13], v[12:13], v[8:9]
	s_mov_b32 s12, s6
	s_ashr_i32 s15, s7, 31
	v_rcp_iflag_f32_e32 v8, s0
	v_cmp_gt_i32_e64 s0, 32, v0
	v_xor_b32_e32 v1, 8, v5
	s_mov_b32 s14, s7
	v_cndmask_b32_e32 v12, v12, v2, vcc_lo
	s_mul_u64 s[16:17], s[14:15], s[12:13]
	v_cndmask_b32_e64 v0, v5, v0, s0
	v_cmp_gt_i32_e64 s0, 32, v1
	v_readfirstlane_b32 s6, v8
	v_mov_b32_e32 v26, 0x7c
	s_delay_alu instid0(VALU_DEP_4) | instskip(NEXT) | instid1(VALU_DEP_4)
	v_dual_mov_b32 v2, v9 :: v_dual_lshlrev_b32 v22, 2, v0
	v_cndmask_b32_e64 v1, v5, v1, s0
	v_cmp_gt_i32_e64 s0, 32, v11
	v_mov_b32_e32 v0, v9
	v_cndmask_b32_e32 v13, v13, v3, vcc_lo
	v_dual_mov_b32 v3, v9 :: v_dual_mov_b32 v27, 1
	s_delay_alu instid0(VALU_DEP_4) | instskip(SKIP_1) | instid1(VALU_DEP_1)
	v_cndmask_b32_e64 v8, v5, v11, s0
	v_cmp_gt_i32_e64 s0, 32, v14
	v_dual_lshlrev_b32 v24, 2, v8 :: v_dual_cndmask_b32 v5, v5, v14, s0
	s_mul_f32 s0, s6, 0x4f7ffffe
	s_sub_co_i32 s6, 0, s4
	v_dual_lshlrev_b32 v23, 2, v1 :: v_dual_mov_b32 v1, v9
	s_delay_alu instid0(SALU_CYCLE_1) | instskip(SKIP_1) | instid1(SALU_CYCLE_2)
	s_cvt_u32_f32 s0, s0
	v_dual_lshlrev_b32 v25, 2, v5 :: v_dual_mov_b32 v5, 0
	s_mul_i32 s6, s6, s0
	s_delay_alu instid0(SALU_CYCLE_1) | instskip(NEXT) | instid1(SALU_CYCLE_1)
	s_mul_hi_u32 s6, s0, s6
	s_add_co_i32 s12, s0, s6
	s_mov_b32 s6, s13
	s_branch .LBB205_10
.LBB205_8:                              ;   in Loop: Header=BB205_10 Depth=1
	s_wait_xcnt 0x0
	s_or_b32 exec_lo, exec_lo, s14
	v_mov_b32_e32 v8, 1
.LBB205_9:                              ;   in Loop: Header=BB205_10 Depth=1
	s_or_b32 exec_lo, exec_lo, s0
	ds_bpermute_b32 v5, v22, v28
	s_wait_storecnt_dscnt 0x0
	v_add_nc_u32_e32 v4, v8, v4
	v_min_i32_e32 v5, v5, v28
	ds_bpermute_b32 v11, v23, v5
	s_wait_dscnt 0x0
	v_min_i32_e32 v5, v11, v5
	ds_bpermute_b32 v11, v24, v5
	s_wait_dscnt 0x0
	;; [unrolled: 3-line block ×5, first 2 shown]
	v_cmp_le_i32_e32 vcc_lo, s5, v5
	s_or_b32 s6, vcc_lo, s6
	s_delay_alu instid0(SALU_CYCLE_1)
	s_and_not1_b32 exec_lo, exec_lo, s6
	s_cbranch_execz .LBB205_21
.LBB205_10:                             ; =>This Loop Header: Depth=1
                                        ;     Child Loop BB205_13 Depth 2
	v_dual_mov_b32 v28, s5 :: v_dual_add_nc_u32 v29, v10, v6
	v_mov_b32_e32 v31, v17
	s_mov_b32 s14, exec_lo
	ds_store_b8 v16, v9 offset:4096
	ds_store_b128 v21, v[0:3]
	s_wait_dscnt 0x0
	v_cmpx_lt_i32_e64 v29, v17
	s_cbranch_execz .LBB205_18
; %bb.11:                               ;   in Loop: Header=BB205_10 Depth=1
	v_dual_mov_b32 v28, s5 :: v_dual_ashrrev_i32 v11, 31, v10
	v_mul_lo_u32 v30, v5, s7
	v_mov_b32_e32 v31, v17
	s_mov_b32 s20, 0
	s_delay_alu instid0(VALU_DEP_3) | instskip(NEXT) | instid1(VALU_DEP_1)
	v_add_nc_u64_e32 v[14:15], v[6:7], v[10:11]
	v_lshl_add_u64 v[10:11], v[14:15], 2, s[10:11]
	v_lshl_add_u64 v[14:15], v[14:15], 4, s[8:9]
	s_branch .LBB205_13
.LBB205_12:                             ;   in Loop: Header=BB205_13 Depth=2
	s_wait_xcnt 0x0
	s_or_b32 exec_lo, exec_lo, s0
	v_add_nc_u32_e32 v29, 2, v29
	s_xor_b32 s21, vcc_lo, -1
	v_add_nc_u64_e32 v[10:11], 8, v[10:11]
	v_add_nc_u64_e32 v[14:15], 32, v[14:15]
	s_delay_alu instid0(VALU_DEP_3) | instskip(SKIP_1) | instid1(SALU_CYCLE_1)
	v_cmp_ge_i32_e64 s0, v29, v17
	s_or_b32 s0, s21, s0
	s_and_b32 s0, exec_lo, s0
	s_delay_alu instid0(SALU_CYCLE_1) | instskip(NEXT) | instid1(SALU_CYCLE_1)
	s_or_b32 s20, s0, s20
	s_and_not1_b32 exec_lo, exec_lo, s20
	s_cbranch_execz .LBB205_17
.LBB205_13:                             ;   Parent Loop BB205_10 Depth=1
                                        ; =>  This Inner Loop Header: Depth=2
	global_load_b32 v8, v[10:11], off
	s_wait_loadcnt 0x0
	v_subrev_nc_u32_e32 v32, s18, v8
	s_delay_alu instid0(VALU_DEP_1) | instskip(NEXT) | instid1(VALU_DEP_1)
	v_sub_nc_u32_e32 v8, 0, v32
	v_max_i32_e32 v8, v32, v8
	s_delay_alu instid0(VALU_DEP_1) | instskip(NEXT) | instid1(VALU_DEP_1)
	v_mul_u64_e32 v[34:35], s[12:13], v[8:9]
	v_mul_lo_u32 v33, v35, s4
	s_delay_alu instid0(VALU_DEP_1) | instskip(NEXT) | instid1(VALU_DEP_1)
	v_dual_sub_nc_u32 v8, v8, v33 :: v_dual_add_nc_u32 v33, 1, v35
	v_cmp_le_u32_e32 vcc_lo, s4, v8
	s_delay_alu instid0(VALU_DEP_2) | instskip(SKIP_1) | instid1(VALU_DEP_1)
	v_dual_cndmask_b32 v33, v35, v33, vcc_lo :: v_dual_ashrrev_i32 v35, 31, v32
	v_subrev_nc_u32_e32 v34, s4, v8
	v_dual_cndmask_b32 v8, v8, v34, vcc_lo :: v_dual_add_nc_u32 v34, 1, v33
	s_delay_alu instid0(VALU_DEP_1) | instskip(NEXT) | instid1(VALU_DEP_2)
	v_cmp_le_u32_e32 vcc_lo, s4, v8
	v_dual_cndmask_b32 v8, v33, v34, vcc_lo :: v_dual_bitop2_b32 v35, s15, v35 bitop3:0x14
	s_delay_alu instid0(VALU_DEP_1) | instskip(NEXT) | instid1(VALU_DEP_1)
	v_xor_b32_e32 v8, v8, v35
	v_dual_mov_b32 v8, v31 :: v_dual_sub_nc_u32 v33, v8, v35
	s_delay_alu instid0(VALU_DEP_1) | instskip(SKIP_3) | instid1(SALU_CYCLE_1)
	v_cmp_ne_u32_e64 s0, v33, v5
	v_cmp_eq_u32_e32 vcc_lo, v33, v5
	s_wait_xcnt 0x0
	s_and_saveexec_b32 s21, s0
	s_xor_b32 s0, exec_lo, s21
; %bb.14:                               ;   in Loop: Header=BB205_13 Depth=2
	v_min_i32_e32 v28, v33, v28
                                        ; implicit-def: $vgpr32
                                        ; implicit-def: $vgpr8
; %bb.15:                               ;   in Loop: Header=BB205_13 Depth=2
	s_or_saveexec_b32 s0, s0
	v_mov_b32_e32 v31, v29
	s_xor_b32 exec_lo, exec_lo, s0
	s_cbranch_execz .LBB205_12
; %bb.16:                               ;   in Loop: Header=BB205_13 Depth=2
	global_load_b128 v[34:37], v[14:15], off
	v_sub_nc_u32_e32 v31, v32, v30
	s_delay_alu instid0(VALU_DEP_1)
	v_lshl_add_u32 v32, v31, 4, v18
	v_mov_b32_e32 v31, v8
	ds_store_b8 v16, v27 offset:4096
	s_wait_loadcnt 0x0
	ds_store_2addr_b64 v32, v[34:35], v[36:37] offset1:1
	s_branch .LBB205_12
.LBB205_17:                             ;   in Loop: Header=BB205_10 Depth=1
	s_or_b32 exec_lo, exec_lo, s20
.LBB205_18:                             ;   in Loop: Header=BB205_10 Depth=1
	s_delay_alu instid0(SALU_CYCLE_1)
	s_or_b32 exec_lo, exec_lo, s14
	ds_bpermute_b32 v8, v19, v31
	s_wait_dscnt 0x0
	ds_load_u8 v11, v16 offset:4096
	v_min_i32_e32 v8, v8, v31
	ds_bpermute_b32 v10, v20, v8
	s_wait_dscnt 0x1
	v_and_b32_e32 v8, 1, v11
	s_delay_alu instid0(VALU_DEP_1)
	v_cmp_eq_u32_e32 vcc_lo, 1, v8
	v_mov_b32_e32 v8, 0
	s_and_saveexec_b32 s0, vcc_lo
	s_cbranch_execz .LBB205_9
; %bb.19:                               ;   in Loop: Header=BB205_10 Depth=1
	v_add_nc_u32_e32 v5, s19, v5
	global_store_b32 v4, v5, s[2:3] scale_offset
	s_wait_xcnt 0x0
	s_and_saveexec_b32 s14, s1
	s_cbranch_execz .LBB205_8
; %bb.20:                               ;   in Loop: Header=BB205_10 Depth=1
	v_ashrrev_i32_e32 v5, 31, v4
	ds_load_2addr_b64 v[30:33], v21 offset1:1
	v_mul_u64_e32 v[14:15], s[16:17], v[4:5]
	s_delay_alu instid0(VALU_DEP_1)
	v_lshl_add_u64 v[14:15], v[14:15], 4, v[12:13]
	s_wait_dscnt 0x0
	global_store_b128 v[14:15], v[30:33], off
	s_branch .LBB205_8
.LBB205_21:
	s_endpgm
	.section	.rodata,"a",@progbits
	.p2align	6, 0x0
	.amdhsa_kernel _ZN9rocsparseL44csr2gebsr_wavefront_per_row_multipass_kernelILi256ELi16ELi2ELi32E21rocsparse_complex_numIdEEEv20rocsparse_direction_iiiiii21rocsparse_index_base_PKT3_PKiS9_S4_PS5_PiSB_
		.amdhsa_group_segment_fixed_size 4104
		.amdhsa_private_segment_fixed_size 0
		.amdhsa_kernarg_size 88
		.amdhsa_user_sgpr_count 2
		.amdhsa_user_sgpr_dispatch_ptr 0
		.amdhsa_user_sgpr_queue_ptr 0
		.amdhsa_user_sgpr_kernarg_segment_ptr 1
		.amdhsa_user_sgpr_dispatch_id 0
		.amdhsa_user_sgpr_kernarg_preload_length 0
		.amdhsa_user_sgpr_kernarg_preload_offset 0
		.amdhsa_user_sgpr_private_segment_size 0
		.amdhsa_wavefront_size32 1
		.amdhsa_uses_dynamic_stack 0
		.amdhsa_enable_private_segment 0
		.amdhsa_system_sgpr_workgroup_id_x 1
		.amdhsa_system_sgpr_workgroup_id_y 0
		.amdhsa_system_sgpr_workgroup_id_z 0
		.amdhsa_system_sgpr_workgroup_info 0
		.amdhsa_system_vgpr_workitem_id 0
		.amdhsa_next_free_vgpr 38
		.amdhsa_next_free_sgpr 22
		.amdhsa_named_barrier_count 0
		.amdhsa_reserve_vcc 1
		.amdhsa_float_round_mode_32 0
		.amdhsa_float_round_mode_16_64 0
		.amdhsa_float_denorm_mode_32 3
		.amdhsa_float_denorm_mode_16_64 3
		.amdhsa_fp16_overflow 0
		.amdhsa_memory_ordered 1
		.amdhsa_forward_progress 1
		.amdhsa_inst_pref_size 11
		.amdhsa_round_robin_scheduling 0
		.amdhsa_exception_fp_ieee_invalid_op 0
		.amdhsa_exception_fp_denorm_src 0
		.amdhsa_exception_fp_ieee_div_zero 0
		.amdhsa_exception_fp_ieee_overflow 0
		.amdhsa_exception_fp_ieee_underflow 0
		.amdhsa_exception_fp_ieee_inexact 0
		.amdhsa_exception_int_div_zero 0
	.end_amdhsa_kernel
	.section	.text._ZN9rocsparseL44csr2gebsr_wavefront_per_row_multipass_kernelILi256ELi16ELi2ELi32E21rocsparse_complex_numIdEEEv20rocsparse_direction_iiiiii21rocsparse_index_base_PKT3_PKiS9_S4_PS5_PiSB_,"axG",@progbits,_ZN9rocsparseL44csr2gebsr_wavefront_per_row_multipass_kernelILi256ELi16ELi2ELi32E21rocsparse_complex_numIdEEEv20rocsparse_direction_iiiiii21rocsparse_index_base_PKT3_PKiS9_S4_PS5_PiSB_,comdat
.Lfunc_end205:
	.size	_ZN9rocsparseL44csr2gebsr_wavefront_per_row_multipass_kernelILi256ELi16ELi2ELi32E21rocsparse_complex_numIdEEEv20rocsparse_direction_iiiiii21rocsparse_index_base_PKT3_PKiS9_S4_PS5_PiSB_, .Lfunc_end205-_ZN9rocsparseL44csr2gebsr_wavefront_per_row_multipass_kernelILi256ELi16ELi2ELi32E21rocsparse_complex_numIdEEEv20rocsparse_direction_iiiiii21rocsparse_index_base_PKT3_PKiS9_S4_PS5_PiSB_
                                        ; -- End function
	.set _ZN9rocsparseL44csr2gebsr_wavefront_per_row_multipass_kernelILi256ELi16ELi2ELi32E21rocsparse_complex_numIdEEEv20rocsparse_direction_iiiiii21rocsparse_index_base_PKT3_PKiS9_S4_PS5_PiSB_.num_vgpr, 38
	.set _ZN9rocsparseL44csr2gebsr_wavefront_per_row_multipass_kernelILi256ELi16ELi2ELi32E21rocsparse_complex_numIdEEEv20rocsparse_direction_iiiiii21rocsparse_index_base_PKT3_PKiS9_S4_PS5_PiSB_.num_agpr, 0
	.set _ZN9rocsparseL44csr2gebsr_wavefront_per_row_multipass_kernelILi256ELi16ELi2ELi32E21rocsparse_complex_numIdEEEv20rocsparse_direction_iiiiii21rocsparse_index_base_PKT3_PKiS9_S4_PS5_PiSB_.numbered_sgpr, 22
	.set _ZN9rocsparseL44csr2gebsr_wavefront_per_row_multipass_kernelILi256ELi16ELi2ELi32E21rocsparse_complex_numIdEEEv20rocsparse_direction_iiiiii21rocsparse_index_base_PKT3_PKiS9_S4_PS5_PiSB_.num_named_barrier, 0
	.set _ZN9rocsparseL44csr2gebsr_wavefront_per_row_multipass_kernelILi256ELi16ELi2ELi32E21rocsparse_complex_numIdEEEv20rocsparse_direction_iiiiii21rocsparse_index_base_PKT3_PKiS9_S4_PS5_PiSB_.private_seg_size, 0
	.set _ZN9rocsparseL44csr2gebsr_wavefront_per_row_multipass_kernelILi256ELi16ELi2ELi32E21rocsparse_complex_numIdEEEv20rocsparse_direction_iiiiii21rocsparse_index_base_PKT3_PKiS9_S4_PS5_PiSB_.uses_vcc, 1
	.set _ZN9rocsparseL44csr2gebsr_wavefront_per_row_multipass_kernelILi256ELi16ELi2ELi32E21rocsparse_complex_numIdEEEv20rocsparse_direction_iiiiii21rocsparse_index_base_PKT3_PKiS9_S4_PS5_PiSB_.uses_flat_scratch, 0
	.set _ZN9rocsparseL44csr2gebsr_wavefront_per_row_multipass_kernelILi256ELi16ELi2ELi32E21rocsparse_complex_numIdEEEv20rocsparse_direction_iiiiii21rocsparse_index_base_PKT3_PKiS9_S4_PS5_PiSB_.has_dyn_sized_stack, 0
	.set _ZN9rocsparseL44csr2gebsr_wavefront_per_row_multipass_kernelILi256ELi16ELi2ELi32E21rocsparse_complex_numIdEEEv20rocsparse_direction_iiiiii21rocsparse_index_base_PKT3_PKiS9_S4_PS5_PiSB_.has_recursion, 0
	.set _ZN9rocsparseL44csr2gebsr_wavefront_per_row_multipass_kernelILi256ELi16ELi2ELi32E21rocsparse_complex_numIdEEEv20rocsparse_direction_iiiiii21rocsparse_index_base_PKT3_PKiS9_S4_PS5_PiSB_.has_indirect_call, 0
	.section	.AMDGPU.csdata,"",@progbits
; Kernel info:
; codeLenInByte = 1408
; TotalNumSgprs: 24
; NumVgprs: 38
; ScratchSize: 0
; MemoryBound: 0
; FloatMode: 240
; IeeeMode: 1
; LDSByteSize: 4104 bytes/workgroup (compile time only)
; SGPRBlocks: 0
; VGPRBlocks: 2
; NumSGPRsForWavesPerEU: 24
; NumVGPRsForWavesPerEU: 38
; NamedBarCnt: 0
; Occupancy: 16
; WaveLimiterHint : 0
; COMPUTE_PGM_RSRC2:SCRATCH_EN: 0
; COMPUTE_PGM_RSRC2:USER_SGPR: 2
; COMPUTE_PGM_RSRC2:TRAP_HANDLER: 0
; COMPUTE_PGM_RSRC2:TGID_X_EN: 1
; COMPUTE_PGM_RSRC2:TGID_Y_EN: 0
; COMPUTE_PGM_RSRC2:TGID_Z_EN: 0
; COMPUTE_PGM_RSRC2:TIDIG_COMP_CNT: 0
	.section	.text._ZN9rocsparseL44csr2gebsr_wavefront_per_row_multipass_kernelILi256ELi16ELi4ELi64E21rocsparse_complex_numIdEEEv20rocsparse_direction_iiiiii21rocsparse_index_base_PKT3_PKiS9_S4_PS5_PiSB_,"axG",@progbits,_ZN9rocsparseL44csr2gebsr_wavefront_per_row_multipass_kernelILi256ELi16ELi4ELi64E21rocsparse_complex_numIdEEEv20rocsparse_direction_iiiiii21rocsparse_index_base_PKT3_PKiS9_S4_PS5_PiSB_,comdat
	.globl	_ZN9rocsparseL44csr2gebsr_wavefront_per_row_multipass_kernelILi256ELi16ELi4ELi64E21rocsparse_complex_numIdEEEv20rocsparse_direction_iiiiii21rocsparse_index_base_PKT3_PKiS9_S4_PS5_PiSB_ ; -- Begin function _ZN9rocsparseL44csr2gebsr_wavefront_per_row_multipass_kernelILi256ELi16ELi4ELi64E21rocsparse_complex_numIdEEEv20rocsparse_direction_iiiiii21rocsparse_index_base_PKT3_PKiS9_S4_PS5_PiSB_
	.p2align	8
	.type	_ZN9rocsparseL44csr2gebsr_wavefront_per_row_multipass_kernelILi256ELi16ELi4ELi64E21rocsparse_complex_numIdEEEv20rocsparse_direction_iiiiii21rocsparse_index_base_PKT3_PKiS9_S4_PS5_PiSB_,@function
_ZN9rocsparseL44csr2gebsr_wavefront_per_row_multipass_kernelILi256ELi16ELi4ELi64E21rocsparse_complex_numIdEEEv20rocsparse_direction_iiiiii21rocsparse_index_base_PKT3_PKiS9_S4_PS5_PiSB_: ; @_ZN9rocsparseL44csr2gebsr_wavefront_per_row_multipass_kernelILi256ELi16ELi4ELi64E21rocsparse_complex_numIdEEEv20rocsparse_direction_iiiiii21rocsparse_index_base_PKT3_PKiS9_S4_PS5_PiSB_
; %bb.0:
	s_clause 0x1
	s_load_b128 s[4:7], s[0:1], 0xc
	s_load_b64 s[12:13], s[0:1], 0x0
	s_bfe_u32 s2, ttmp6, 0x4000c
	s_and_b32 s3, ttmp6, 15
	s_add_co_i32 s2, s2, 1
	s_getreg_b32 s8, hwreg(HW_REG_IB_STS2, 6, 4)
	s_mul_i32 s2, ttmp9, s2
	v_dual_lshrrev_b32 v16, 6, v0 :: v_dual_mov_b32 v4, 0
	s_add_co_i32 s3, s3, s2
	s_cmp_eq_u32 s8, 0
	v_bfe_u32 v1, v0, 2, 4
	s_cselect_b32 s2, ttmp9, s3
	s_clause 0x1
	s_load_b32 s18, s[0:1], 0x1c
	s_load_b64 s[8:9], s[0:1], 0x28
	v_lshl_or_b32 v2, s2, 2, v16
	v_mov_b32_e32 v10, 0
	s_wait_kmcnt 0x0
	s_delay_alu instid0(VALU_DEP_2) | instskip(SKIP_1) | instid1(VALU_DEP_2)
	v_mad_u32 v3, v2, s6, v1
	v_cmp_gt_i32_e32 vcc_lo, s6, v1
	v_cmp_gt_i32_e64 s2, s13, v3
	s_and_b32 s2, vcc_lo, s2
	s_delay_alu instid0(SALU_CYCLE_1)
	s_and_saveexec_b32 s3, s2
	s_cbranch_execz .LBB206_2
; %bb.1:
	global_load_b32 v5, v3, s[8:9] scale_offset
	s_wait_loadcnt 0x0
	v_subrev_nc_u32_e32 v10, s18, v5
.LBB206_2:
	s_or_b32 exec_lo, exec_lo, s3
	v_mov_b32_e32 v17, 0
	s_and_saveexec_b32 s3, s2
	s_cbranch_execz .LBB206_4
; %bb.3:
	global_load_b32 v3, v3, s[8:9] offset:4 scale_offset
	s_wait_loadcnt 0x0
	v_subrev_nc_u32_e32 v17, s18, v3
.LBB206_4:
	s_or_b32 exec_lo, exec_lo, s3
	s_load_b32 s19, s[0:1], 0x38
	s_mov_b32 s3, exec_lo
	v_cmpx_gt_i32_e64 s4, v2
	s_cbranch_execz .LBB206_6
; %bb.5:
	s_load_b64 s[8:9], s[0:1], 0x48
	s_wait_kmcnt 0x0
	global_load_b32 v2, v2, s[8:9] scale_offset
	s_wait_loadcnt 0x0
	v_subrev_nc_u32_e32 v4, s19, v2
.LBB206_6:
	s_or_b32 exec_lo, exec_lo, s3
	s_cmp_lt_i32 s5, 1
	s_cbranch_scc1 .LBB206_21
; %bb.7:
	v_mbcnt_lo_u32_b32 v5, -1, 0
	s_clause 0x3
	s_load_b64 s[2:3], s[0:1], 0x50
	s_load_b64 s[14:15], s[0:1], 0x40
	;; [unrolled: 1-line block ×4, first 2 shown]
	v_dual_lshlrev_b32 v7, 6, v1 :: v_dual_bitop2_b32 v6, 3, v0 bitop3:0x40
	v_mul_lo_u32 v2, s7, v1
	v_xor_b32_e32 v3, 2, v5
	v_and_b32_e32 v0, 0xc0, v0
	s_delay_alu instid0(VALU_DEP_4)
	v_mul_lo_u32 v8, s6, v6
	v_xor_b32_e32 v14, 4, v5
	v_lshl_or_b32 v21, v5, 2, 12
	s_wait_xcnt 0x0
	v_cmp_gt_i32_e64 s0, 32, v3
	v_xor_b32_e32 v9, 1, v5
	v_lshl_or_b32 v18, v0, 4, v7
	v_lshlrev_b32_e32 v0, 4, v6
	v_bfrev_b32_e32 v27, 0.5
	v_cndmask_b32_e64 v3, v5, v3, s0
	v_cmp_gt_i32_e64 s0, 32, v9
	s_mov_b32 s13, 0
	v_dual_mov_b32 v28, 1 :: v_dual_lshlrev_b32 v19, 2, v3
	v_dual_cndmask_b32 v11, v5, v9, s0 :: v_dual_mov_b32 v9, 0
	v_ashrrev_i32_e32 v3, 31, v2
	v_cmp_gt_u32_e64 s0, s7, v6
	s_delay_alu instid0(VALU_DEP_3)
	v_lshlrev_b32_e32 v20, 2, v11
	s_wait_kmcnt 0x0
	v_lshl_add_u64 v[12:13], v[8:9], 4, s[14:15]
	v_lshlrev_b32_e32 v8, 4, v1
	v_lshl_add_u64 v[2:3], v[2:3], 4, s[14:15]
	v_dual_mov_b32 v1, v9 :: v_dual_bitop2_b32 v22, v18, v0 bitop3:0x54
	s_and_b32 s1, vcc_lo, s0
	s_cmp_eq_u32 s12, 0
	v_add_nc_u64_e32 v[12:13], v[12:13], v[8:9]
	s_cselect_b32 vcc_lo, -1, 0
	s_abs_i32 s4, s7
	v_add_nc_u64_e32 v[2:3], v[2:3], v[0:1]
	v_dual_mov_b32 v7, v9 :: v_dual_bitop2_b32 v0, 32, v5 bitop3:0x54
	s_cvt_f32_u32 s0, s4
	v_xor_b32_e32 v11, 8, v5
	s_mov_b32 s12, s6
	s_ashr_i32 s15, s7, 31
	v_rcp_iflag_f32_e32 v8, s0
	v_cmp_gt_i32_e64 s0, 32, v0
	v_dual_cndmask_b32 v13, v13, v3, vcc_lo :: v_dual_bitop2_b32 v1, 16, v5 bitop3:0x14
	v_dual_cndmask_b32 v12, v12, v2, vcc_lo :: v_dual_mov_b32 v2, v9
	s_delay_alu instid0(VALU_DEP_3) | instskip(NEXT) | instid1(VALU_DEP_3)
	v_cndmask_b32_e64 v0, v5, v0, s0
	v_cmp_gt_i32_e64 s0, 32, v1
	s_delay_alu instid0(TRANS32_DEP_1)
	v_readfirstlane_b32 s6, v8
	v_mov_b32_e32 v3, v9
	s_mov_b32 s14, s7
	v_dual_lshlrev_b32 v23, 2, v0 :: v_dual_cndmask_b32 v1, v5, v1, s0
	v_cmp_gt_i32_e64 s0, 32, v11
	v_mov_b32_e32 v0, v9
	s_mul_u64 s[16:17], s[14:15], s[12:13]
	v_cndmask_b32_e64 v8, v5, v11, s0
	v_cmp_gt_i32_e64 s0, 32, v14
	v_dual_mov_b32 v1, v9 :: v_dual_lshlrev_b32 v24, 2, v1
	s_delay_alu instid0(VALU_DEP_2) | instskip(SKIP_2) | instid1(SALU_CYCLE_2)
	v_dual_lshlrev_b32 v25, 2, v8 :: v_dual_cndmask_b32 v5, v5, v14, s0
	s_mul_f32 s0, s6, 0x4f7ffffe
	s_sub_co_i32 s6, 0, s4
	s_cvt_u32_f32 s0, s0
	s_delay_alu instid0(VALU_DEP_1) | instskip(NEXT) | instid1(SALU_CYCLE_2)
	v_dual_mov_b32 v5, 0 :: v_dual_lshlrev_b32 v26, 2, v5
	s_mul_i32 s6, s6, s0
	s_delay_alu instid0(SALU_CYCLE_1) | instskip(NEXT) | instid1(SALU_CYCLE_1)
	s_mul_hi_u32 s6, s0, s6
	s_add_co_i32 s12, s0, s6
	s_mov_b32 s6, s13
	s_branch .LBB206_10
.LBB206_8:                              ;   in Loop: Header=BB206_10 Depth=1
	s_wait_xcnt 0x0
	s_or_b32 exec_lo, exec_lo, s14
	v_mov_b32_e32 v8, 1
.LBB206_9:                              ;   in Loop: Header=BB206_10 Depth=1
	s_or_b32 exec_lo, exec_lo, s0
	ds_bpermute_b32 v5, v23, v29
	s_wait_storecnt_dscnt 0x0
	v_dual_add_nc_u32 v4, v8, v4 :: v_dual_min_i32 v5, v5, v29
	ds_bpermute_b32 v11, v24, v5
	s_wait_dscnt 0x0
	v_min_i32_e32 v5, v11, v5
	ds_bpermute_b32 v11, v25, v5
	s_wait_dscnt 0x0
	v_min_i32_e32 v5, v11, v5
	;; [unrolled: 3-line block ×5, first 2 shown]
	ds_bpermute_b32 v5, v27, v5
	s_wait_dscnt 0x0
	v_cmp_le_i32_e32 vcc_lo, s5, v5
	s_or_b32 s6, vcc_lo, s6
	s_delay_alu instid0(SALU_CYCLE_1)
	s_and_not1_b32 exec_lo, exec_lo, s6
	s_cbranch_execz .LBB206_21
.LBB206_10:                             ; =>This Loop Header: Depth=1
                                        ;     Child Loop BB206_13 Depth 2
	v_dual_mov_b32 v29, s5 :: v_dual_add_nc_u32 v30, v10, v6
	v_mov_b32_e32 v32, v17
	s_mov_b32 s14, exec_lo
	ds_store_b8 v16, v9 offset:4096
	ds_store_b128 v22, v[0:3]
	s_wait_dscnt 0x0
	v_cmpx_lt_i32_e64 v30, v17
	s_cbranch_execz .LBB206_18
; %bb.11:                               ;   in Loop: Header=BB206_10 Depth=1
	v_dual_ashrrev_i32 v11, 31, v10 :: v_dual_mov_b32 v29, s5
	v_mul_lo_u32 v31, v5, s7
	v_mov_b32_e32 v32, v17
	s_mov_b32 s20, 0
	s_delay_alu instid0(VALU_DEP_3) | instskip(NEXT) | instid1(VALU_DEP_1)
	v_add_nc_u64_e32 v[14:15], v[6:7], v[10:11]
	v_lshl_add_u64 v[10:11], v[14:15], 2, s[10:11]
	v_lshl_add_u64 v[14:15], v[14:15], 4, s[8:9]
	s_branch .LBB206_13
.LBB206_12:                             ;   in Loop: Header=BB206_13 Depth=2
	s_wait_xcnt 0x0
	s_or_b32 exec_lo, exec_lo, s0
	v_add_nc_u32_e32 v30, 4, v30
	s_xor_b32 s21, vcc_lo, -1
	v_add_nc_u64_e32 v[10:11], 16, v[10:11]
	v_add_nc_u64_e32 v[14:15], 64, v[14:15]
	s_delay_alu instid0(VALU_DEP_3) | instskip(SKIP_1) | instid1(SALU_CYCLE_1)
	v_cmp_ge_i32_e64 s0, v30, v17
	s_or_b32 s0, s21, s0
	s_and_b32 s0, exec_lo, s0
	s_delay_alu instid0(SALU_CYCLE_1) | instskip(NEXT) | instid1(SALU_CYCLE_1)
	s_or_b32 s20, s0, s20
	s_and_not1_b32 exec_lo, exec_lo, s20
	s_cbranch_execz .LBB206_17
.LBB206_13:                             ;   Parent Loop BB206_10 Depth=1
                                        ; =>  This Inner Loop Header: Depth=2
	global_load_b32 v8, v[10:11], off
	s_wait_loadcnt 0x0
	v_subrev_nc_u32_e32 v33, s18, v8
	s_delay_alu instid0(VALU_DEP_1) | instskip(NEXT) | instid1(VALU_DEP_1)
	v_sub_nc_u32_e32 v8, 0, v33
	v_max_i32_e32 v8, v33, v8
	s_delay_alu instid0(VALU_DEP_1) | instskip(NEXT) | instid1(VALU_DEP_1)
	v_mul_u64_e32 v[34:35], s[12:13], v[8:9]
	v_mul_lo_u32 v34, v35, s4
	s_delay_alu instid0(VALU_DEP_1) | instskip(NEXT) | instid1(VALU_DEP_1)
	v_dual_sub_nc_u32 v8, v8, v34 :: v_dual_add_nc_u32 v34, 1, v35
	v_cmp_le_u32_e32 vcc_lo, s4, v8
	s_delay_alu instid0(VALU_DEP_2) | instskip(SKIP_1) | instid1(VALU_DEP_1)
	v_dual_cndmask_b32 v34, v35, v34 :: v_dual_ashrrev_i32 v35, 31, v33
	v_subrev_nc_u32_e32 v36, s4, v8
	v_dual_cndmask_b32 v8, v8, v36, vcc_lo :: v_dual_add_nc_u32 v36, 1, v34
	s_delay_alu instid0(VALU_DEP_1) | instskip(NEXT) | instid1(VALU_DEP_2)
	v_cmp_le_u32_e32 vcc_lo, s4, v8
	v_dual_cndmask_b32 v8, v34, v36, vcc_lo :: v_dual_bitop2_b32 v35, s15, v35 bitop3:0x14
	s_delay_alu instid0(VALU_DEP_1) | instskip(NEXT) | instid1(VALU_DEP_1)
	v_xor_b32_e32 v8, v8, v35
	v_sub_nc_u32_e32 v34, v8, v35
	v_mov_b32_e32 v8, v32
	s_delay_alu instid0(VALU_DEP_2) | instskip(SKIP_3) | instid1(SALU_CYCLE_1)
	v_cmp_ne_u32_e64 s0, v34, v5
	v_cmp_eq_u32_e32 vcc_lo, v34, v5
	s_wait_xcnt 0x0
	s_and_saveexec_b32 s21, s0
	s_xor_b32 s0, exec_lo, s21
; %bb.14:                               ;   in Loop: Header=BB206_13 Depth=2
	v_min_i32_e32 v29, v34, v29
                                        ; implicit-def: $vgpr33
                                        ; implicit-def: $vgpr8
; %bb.15:                               ;   in Loop: Header=BB206_13 Depth=2
	s_or_saveexec_b32 s0, s0
	v_mov_b32_e32 v32, v30
	s_xor_b32 exec_lo, exec_lo, s0
	s_cbranch_execz .LBB206_12
; %bb.16:                               ;   in Loop: Header=BB206_13 Depth=2
	global_load_b128 v[34:37], v[14:15], off
	v_sub_nc_u32_e32 v32, v33, v31
	s_delay_alu instid0(VALU_DEP_1)
	v_lshl_add_u32 v33, v32, 4, v18
	v_mov_b32_e32 v32, v8
	ds_store_b8 v16, v28 offset:4096
	s_wait_loadcnt 0x0
	ds_store_2addr_b64 v33, v[34:35], v[36:37] offset1:1
	s_branch .LBB206_12
.LBB206_17:                             ;   in Loop: Header=BB206_10 Depth=1
	s_or_b32 exec_lo, exec_lo, s20
.LBB206_18:                             ;   in Loop: Header=BB206_10 Depth=1
	s_delay_alu instid0(SALU_CYCLE_1)
	s_or_b32 exec_lo, exec_lo, s14
	ds_bpermute_b32 v8, v19, v32
	s_wait_dscnt 0x0
	ds_load_u8 v11, v16 offset:4096
	v_min_i32_e32 v8, v8, v32
	ds_bpermute_b32 v10, v20, v8
	s_wait_dscnt 0x0
	v_min_i32_e32 v8, v10, v8
	ds_bpermute_b32 v10, v21, v8
	v_and_b32_e32 v8, 1, v11
	s_delay_alu instid0(VALU_DEP_1)
	v_cmp_eq_u32_e32 vcc_lo, 1, v8
	v_mov_b32_e32 v8, 0
	s_and_saveexec_b32 s0, vcc_lo
	s_cbranch_execz .LBB206_9
; %bb.19:                               ;   in Loop: Header=BB206_10 Depth=1
	v_add_nc_u32_e32 v5, s19, v5
	global_store_b32 v4, v5, s[2:3] scale_offset
	s_wait_xcnt 0x0
	s_and_saveexec_b32 s14, s1
	s_cbranch_execz .LBB206_8
; %bb.20:                               ;   in Loop: Header=BB206_10 Depth=1
	v_ashrrev_i32_e32 v5, 31, v4
	ds_load_2addr_b64 v[30:33], v22 offset1:1
	v_mul_u64_e32 v[14:15], s[16:17], v[4:5]
	s_delay_alu instid0(VALU_DEP_1)
	v_lshl_add_u64 v[14:15], v[14:15], 4, v[12:13]
	s_wait_dscnt 0x0
	global_store_b128 v[14:15], v[30:33], off
	s_branch .LBB206_8
.LBB206_21:
	s_endpgm
	.section	.rodata,"a",@progbits
	.p2align	6, 0x0
	.amdhsa_kernel _ZN9rocsparseL44csr2gebsr_wavefront_per_row_multipass_kernelILi256ELi16ELi4ELi64E21rocsparse_complex_numIdEEEv20rocsparse_direction_iiiiii21rocsparse_index_base_PKT3_PKiS9_S4_PS5_PiSB_
		.amdhsa_group_segment_fixed_size 4104
		.amdhsa_private_segment_fixed_size 0
		.amdhsa_kernarg_size 88
		.amdhsa_user_sgpr_count 2
		.amdhsa_user_sgpr_dispatch_ptr 0
		.amdhsa_user_sgpr_queue_ptr 0
		.amdhsa_user_sgpr_kernarg_segment_ptr 1
		.amdhsa_user_sgpr_dispatch_id 0
		.amdhsa_user_sgpr_kernarg_preload_length 0
		.amdhsa_user_sgpr_kernarg_preload_offset 0
		.amdhsa_user_sgpr_private_segment_size 0
		.amdhsa_wavefront_size32 1
		.amdhsa_uses_dynamic_stack 0
		.amdhsa_enable_private_segment 0
		.amdhsa_system_sgpr_workgroup_id_x 1
		.amdhsa_system_sgpr_workgroup_id_y 0
		.amdhsa_system_sgpr_workgroup_id_z 0
		.amdhsa_system_sgpr_workgroup_info 0
		.amdhsa_system_vgpr_workitem_id 0
		.amdhsa_next_free_vgpr 38
		.amdhsa_next_free_sgpr 22
		.amdhsa_named_barrier_count 0
		.amdhsa_reserve_vcc 1
		.amdhsa_float_round_mode_32 0
		.amdhsa_float_round_mode_16_64 0
		.amdhsa_float_denorm_mode_32 3
		.amdhsa_float_denorm_mode_16_64 3
		.amdhsa_fp16_overflow 0
		.amdhsa_memory_ordered 1
		.amdhsa_forward_progress 1
		.amdhsa_inst_pref_size 12
		.amdhsa_round_robin_scheduling 0
		.amdhsa_exception_fp_ieee_invalid_op 0
		.amdhsa_exception_fp_denorm_src 0
		.amdhsa_exception_fp_ieee_div_zero 0
		.amdhsa_exception_fp_ieee_overflow 0
		.amdhsa_exception_fp_ieee_underflow 0
		.amdhsa_exception_fp_ieee_inexact 0
		.amdhsa_exception_int_div_zero 0
	.end_amdhsa_kernel
	.section	.text._ZN9rocsparseL44csr2gebsr_wavefront_per_row_multipass_kernelILi256ELi16ELi4ELi64E21rocsparse_complex_numIdEEEv20rocsparse_direction_iiiiii21rocsparse_index_base_PKT3_PKiS9_S4_PS5_PiSB_,"axG",@progbits,_ZN9rocsparseL44csr2gebsr_wavefront_per_row_multipass_kernelILi256ELi16ELi4ELi64E21rocsparse_complex_numIdEEEv20rocsparse_direction_iiiiii21rocsparse_index_base_PKT3_PKiS9_S4_PS5_PiSB_,comdat
.Lfunc_end206:
	.size	_ZN9rocsparseL44csr2gebsr_wavefront_per_row_multipass_kernelILi256ELi16ELi4ELi64E21rocsparse_complex_numIdEEEv20rocsparse_direction_iiiiii21rocsparse_index_base_PKT3_PKiS9_S4_PS5_PiSB_, .Lfunc_end206-_ZN9rocsparseL44csr2gebsr_wavefront_per_row_multipass_kernelILi256ELi16ELi4ELi64E21rocsparse_complex_numIdEEEv20rocsparse_direction_iiiiii21rocsparse_index_base_PKT3_PKiS9_S4_PS5_PiSB_
                                        ; -- End function
	.set _ZN9rocsparseL44csr2gebsr_wavefront_per_row_multipass_kernelILi256ELi16ELi4ELi64E21rocsparse_complex_numIdEEEv20rocsparse_direction_iiiiii21rocsparse_index_base_PKT3_PKiS9_S4_PS5_PiSB_.num_vgpr, 38
	.set _ZN9rocsparseL44csr2gebsr_wavefront_per_row_multipass_kernelILi256ELi16ELi4ELi64E21rocsparse_complex_numIdEEEv20rocsparse_direction_iiiiii21rocsparse_index_base_PKT3_PKiS9_S4_PS5_PiSB_.num_agpr, 0
	.set _ZN9rocsparseL44csr2gebsr_wavefront_per_row_multipass_kernelILi256ELi16ELi4ELi64E21rocsparse_complex_numIdEEEv20rocsparse_direction_iiiiii21rocsparse_index_base_PKT3_PKiS9_S4_PS5_PiSB_.numbered_sgpr, 22
	.set _ZN9rocsparseL44csr2gebsr_wavefront_per_row_multipass_kernelILi256ELi16ELi4ELi64E21rocsparse_complex_numIdEEEv20rocsparse_direction_iiiiii21rocsparse_index_base_PKT3_PKiS9_S4_PS5_PiSB_.num_named_barrier, 0
	.set _ZN9rocsparseL44csr2gebsr_wavefront_per_row_multipass_kernelILi256ELi16ELi4ELi64E21rocsparse_complex_numIdEEEv20rocsparse_direction_iiiiii21rocsparse_index_base_PKT3_PKiS9_S4_PS5_PiSB_.private_seg_size, 0
	.set _ZN9rocsparseL44csr2gebsr_wavefront_per_row_multipass_kernelILi256ELi16ELi4ELi64E21rocsparse_complex_numIdEEEv20rocsparse_direction_iiiiii21rocsparse_index_base_PKT3_PKiS9_S4_PS5_PiSB_.uses_vcc, 1
	.set _ZN9rocsparseL44csr2gebsr_wavefront_per_row_multipass_kernelILi256ELi16ELi4ELi64E21rocsparse_complex_numIdEEEv20rocsparse_direction_iiiiii21rocsparse_index_base_PKT3_PKiS9_S4_PS5_PiSB_.uses_flat_scratch, 0
	.set _ZN9rocsparseL44csr2gebsr_wavefront_per_row_multipass_kernelILi256ELi16ELi4ELi64E21rocsparse_complex_numIdEEEv20rocsparse_direction_iiiiii21rocsparse_index_base_PKT3_PKiS9_S4_PS5_PiSB_.has_dyn_sized_stack, 0
	.set _ZN9rocsparseL44csr2gebsr_wavefront_per_row_multipass_kernelILi256ELi16ELi4ELi64E21rocsparse_complex_numIdEEEv20rocsparse_direction_iiiiii21rocsparse_index_base_PKT3_PKiS9_S4_PS5_PiSB_.has_recursion, 0
	.set _ZN9rocsparseL44csr2gebsr_wavefront_per_row_multipass_kernelILi256ELi16ELi4ELi64E21rocsparse_complex_numIdEEEv20rocsparse_direction_iiiiii21rocsparse_index_base_PKT3_PKiS9_S4_PS5_PiSB_.has_indirect_call, 0
	.section	.AMDGPU.csdata,"",@progbits
; Kernel info:
; codeLenInByte = 1468
; TotalNumSgprs: 24
; NumVgprs: 38
; ScratchSize: 0
; MemoryBound: 0
; FloatMode: 240
; IeeeMode: 1
; LDSByteSize: 4104 bytes/workgroup (compile time only)
; SGPRBlocks: 0
; VGPRBlocks: 2
; NumSGPRsForWavesPerEU: 24
; NumVGPRsForWavesPerEU: 38
; NamedBarCnt: 0
; Occupancy: 16
; WaveLimiterHint : 0
; COMPUTE_PGM_RSRC2:SCRATCH_EN: 0
; COMPUTE_PGM_RSRC2:USER_SGPR: 2
; COMPUTE_PGM_RSRC2:TRAP_HANDLER: 0
; COMPUTE_PGM_RSRC2:TGID_X_EN: 1
; COMPUTE_PGM_RSRC2:TGID_Y_EN: 0
; COMPUTE_PGM_RSRC2:TGID_Z_EN: 0
; COMPUTE_PGM_RSRC2:TIDIG_COMP_CNT: 0
	.section	.text._ZN9rocsparseL44csr2gebsr_wavefront_per_row_multipass_kernelILi256ELi16ELi4ELi32E21rocsparse_complex_numIdEEEv20rocsparse_direction_iiiiii21rocsparse_index_base_PKT3_PKiS9_S4_PS5_PiSB_,"axG",@progbits,_ZN9rocsparseL44csr2gebsr_wavefront_per_row_multipass_kernelILi256ELi16ELi4ELi32E21rocsparse_complex_numIdEEEv20rocsparse_direction_iiiiii21rocsparse_index_base_PKT3_PKiS9_S4_PS5_PiSB_,comdat
	.globl	_ZN9rocsparseL44csr2gebsr_wavefront_per_row_multipass_kernelILi256ELi16ELi4ELi32E21rocsparse_complex_numIdEEEv20rocsparse_direction_iiiiii21rocsparse_index_base_PKT3_PKiS9_S4_PS5_PiSB_ ; -- Begin function _ZN9rocsparseL44csr2gebsr_wavefront_per_row_multipass_kernelILi256ELi16ELi4ELi32E21rocsparse_complex_numIdEEEv20rocsparse_direction_iiiiii21rocsparse_index_base_PKT3_PKiS9_S4_PS5_PiSB_
	.p2align	8
	.type	_ZN9rocsparseL44csr2gebsr_wavefront_per_row_multipass_kernelILi256ELi16ELi4ELi32E21rocsparse_complex_numIdEEEv20rocsparse_direction_iiiiii21rocsparse_index_base_PKT3_PKiS9_S4_PS5_PiSB_,@function
_ZN9rocsparseL44csr2gebsr_wavefront_per_row_multipass_kernelILi256ELi16ELi4ELi32E21rocsparse_complex_numIdEEEv20rocsparse_direction_iiiiii21rocsparse_index_base_PKT3_PKiS9_S4_PS5_PiSB_: ; @_ZN9rocsparseL44csr2gebsr_wavefront_per_row_multipass_kernelILi256ELi16ELi4ELi32E21rocsparse_complex_numIdEEEv20rocsparse_direction_iiiiii21rocsparse_index_base_PKT3_PKiS9_S4_PS5_PiSB_
; %bb.0:
	s_clause 0x1
	s_load_b128 s[4:7], s[0:1], 0xc
	s_load_b64 s[14:15], s[0:1], 0x0
	s_bfe_u32 s2, ttmp6, 0x4000c
	s_and_b32 s3, ttmp6, 15
	s_add_co_i32 s2, s2, 1
	s_getreg_b32 s8, hwreg(HW_REG_IB_STS2, 6, 4)
	s_mul_i32 s2, ttmp9, s2
	v_dual_lshrrev_b32 v22, 5, v0 :: v_dual_mov_b32 v4, 0
	s_add_co_i32 s3, s3, s2
	s_cmp_eq_u32 s8, 0
	v_bfe_u32 v1, v0, 1, 4
	s_cselect_b32 s2, ttmp9, s3
	s_clause 0x1
	s_load_b32 s18, s[0:1], 0x1c
	s_load_b64 s[8:9], s[0:1], 0x28
	v_lshl_or_b32 v2, s2, 3, v22
	v_mov_b32_e32 v20, 0
	s_wait_kmcnt 0x0
	s_delay_alu instid0(VALU_DEP_2) | instskip(SKIP_1) | instid1(VALU_DEP_2)
	v_mad_u32 v3, v2, s6, v1
	v_cmp_gt_i32_e32 vcc_lo, s6, v1
	v_cmp_gt_i32_e64 s2, s15, v3
	s_and_b32 s2, vcc_lo, s2
	s_delay_alu instid0(SALU_CYCLE_1)
	s_and_saveexec_b32 s3, s2
	s_cbranch_execz .LBB207_2
; %bb.1:
	global_load_b32 v5, v3, s[8:9] scale_offset
	s_wait_loadcnt 0x0
	v_subrev_nc_u32_e32 v20, s18, v5
.LBB207_2:
	s_or_b32 exec_lo, exec_lo, s3
	v_mov_b32_e32 v23, 0
	s_and_saveexec_b32 s3, s2
	s_cbranch_execz .LBB207_4
; %bb.3:
	global_load_b32 v3, v3, s[8:9] offset:4 scale_offset
	s_wait_loadcnt 0x0
	v_subrev_nc_u32_e32 v23, s18, v3
.LBB207_4:
	s_or_b32 exec_lo, exec_lo, s3
	s_load_b32 s19, s[0:1], 0x38
	s_mov_b32 s3, exec_lo
	v_cmpx_gt_i32_e64 s4, v2
	s_cbranch_execz .LBB207_6
; %bb.5:
	s_load_b64 s[8:9], s[0:1], 0x48
	s_wait_kmcnt 0x0
	global_load_b32 v2, v2, s[8:9] scale_offset
	s_wait_loadcnt 0x0
	v_subrev_nc_u32_e32 v4, s19, v2
.LBB207_6:
	s_or_b32 exec_lo, exec_lo, s3
	s_cmp_lt_i32 s5, 1
	s_cbranch_scc1 .LBB207_28
; %bb.7:
	v_mbcnt_lo_u32_b32 v5, -1, 0
	v_dual_lshlrev_b32 v0, 6, v1 :: v_dual_bitop2_b32 v24, 1, v0 bitop3:0x40
	s_clause 0x3
	s_load_b64 s[8:9], s[0:1], 0x50
	s_load_b64 s[20:21], s[0:1], 0x40
	;; [unrolled: 1-line block ×4, first 2 shown]
	v_mul_lo_u32 v2, s7, v1
	v_xor_b32_e32 v3, 1, v5
	s_cmp_eq_u32 s14, 0
	v_lshl_or_b32 v25, v22, 10, v0
	v_lshlrev_b32_e32 v0, 4, v24
	s_mov_b32 s3, 0
	s_wait_xcnt 0x0
	v_cmp_gt_i32_e64 s0, 32, v3
	s_mov_b32 s2, s6
	v_lshl_or_b32 v27, v5, 2, 4
	v_dual_mov_b32 v38, 0 :: v_dual_mov_b32 v7, 0
	v_cndmask_b32_e64 v3, v5, v3, s0
	s_cselect_b32 s0, -1, 0
	s_cmp_lg_u32 s14, 0
	s_mov_b32 s14, s7
	s_cselect_b32 s4, -1, 0
	v_dual_lshlrev_b32 v26, 2, v3 :: v_dual_bitop2_b32 v28, v25, v0 bitop3:0x54
	v_dual_ashrrev_i32 v3, 31, v2 :: v_dual_lshlrev_b32 v6, 4, v1
	v_dual_mov_b32 v1, v7 :: v_dual_bitop2_b32 v12, 16, v5 bitop3:0x14
	s_ashr_i32 s15, s7, 31
	s_wait_kmcnt 0x0
	s_delay_alu instid0(VALU_DEP_2)
	v_lshl_add_u64 v[2:3], v[2:3], 4, s[20:21]
	s_mul_u64 s[16:17], s[14:15], s[2:3]
	s_abs_i32 s14, s7
	v_cmp_gt_i32_e64 s1, 32, v12
	s_cvt_f32_u32 s2, s14
	v_add_nc_u64_e32 v[10:11], v[2:3], v[0:1]
	v_xor_b32_e32 v0, 8, v5
	v_add_nc_u64_e32 v[8:9], s[20:21], v[6:7]
	v_cndmask_b32_e64 v1, v5, v12, s1
	v_rcp_iflag_f32_e32 v6, s2
	v_mul_lo_u32 v12, v24, s6
	v_cmp_gt_i32_e64 s1, 32, v0
	v_xor_b32_e32 v2, 4, v5
	v_mov_b32_e32 v33, 0x7c
	v_dual_mov_b32 v13, v7 :: v_dual_bitop2_b32 v34, 32, v28 bitop3:0x54
	s_delay_alu instid0(VALU_DEP_4) | instskip(NEXT) | instid1(VALU_DEP_4)
	v_cndmask_b32_e64 v0, v5, v0, s1
	v_cmp_gt_i32_e64 s1, 32, v2
	v_xor_b32_e32 v3, 2, v5
	v_readfirstlane_b32 s2, v6
	v_dual_mov_b32 v15, v7 :: v_dual_bitop2_b32 v35, -2, v24 bitop3:0x54
	s_delay_alu instid0(VALU_DEP_4) | instskip(NEXT) | instid1(VALU_DEP_4)
	v_cndmask_b32_e64 v2, v5, v2, s1
	v_cmp_gt_i32_e64 s1, 32, v3
	v_lshlrev_b32_e32 v29, 2, v1
	s_mul_f32 s20, s2, 0x4f7ffffe
	v_dual_lshlrev_b32 v30, 2, v0 :: v_dual_lshlrev_b32 v31, 2, v2
	v_dual_cndmask_b32 v1, v5, v3, s1 :: v_dual_bitop2_b32 v0, 2, v24 bitop3:0x54
	s_delay_alu instid0(SALU_CYCLE_1) | instskip(SKIP_2) | instid1(VALU_DEP_3)
	s_cvt_u32_f32 s21, s20
	v_cmp_gt_u32_e64 s1, s7, v24
	v_lshl_add_u32 v14, s6, 1, v12
	v_lshlrev_b32_e32 v32, 2, v1
	s_sub_co_i32 s6, 0, s14
	v_cmp_gt_u32_e64 s2, s7, v0
	s_mul_i32 s20, s6, s21
	v_dual_mov_b32 v0, v7 :: v_dual_mov_b32 v1, v7
	v_dual_mov_b32 v2, v7 :: v_dual_mov_b32 v3, v7
	v_mov_b32_e32 v36, 1
	s_and_b32 s6, s1, vcc_lo
	s_mul_hi_u32 s1, s21, s20
	s_and_b32 s20, vcc_lo, s2
	s_add_co_i32 s2, s21, s1
	s_mov_b32 s21, s3
	s_branch .LBB207_10
.LBB207_8:                              ;   in Loop: Header=BB207_10 Depth=1
	s_wait_xcnt 0x0
	s_or_b32 exec_lo, exec_lo, s22
	v_mov_b32_e32 v5, 1
.LBB207_9:                              ;   in Loop: Header=BB207_10 Depth=1
	s_or_b32 exec_lo, exec_lo, s1
	ds_bpermute_b32 v6, v29, v37
	s_wait_storecnt_dscnt 0x0
	v_dual_add_nc_u32 v4, v5, v4 :: v_dual_min_i32 v6, v6, v37
	ds_bpermute_b32 v16, v30, v6
	s_wait_dscnt 0x0
	v_min_i32_e32 v6, v16, v6
	ds_bpermute_b32 v16, v31, v6
	s_wait_dscnt 0x0
	v_min_i32_e32 v6, v16, v6
	;; [unrolled: 3-line block ×4, first 2 shown]
	ds_bpermute_b32 v38, v33, v6
	s_wait_dscnt 0x0
	v_cmp_le_i32_e32 vcc_lo, s5, v38
	s_or_b32 s21, vcc_lo, s21
	s_delay_alu instid0(SALU_CYCLE_1)
	s_and_not1_b32 exec_lo, exec_lo, s21
	s_cbranch_execz .LBB207_28
.LBB207_10:                             ; =>This Loop Header: Depth=1
                                        ;     Child Loop BB207_11 Depth 2
                                        ;     Child Loop BB207_15 Depth 2
	v_dual_mov_b32 v5, v28 :: v_dual_mov_b32 v6, v35
	s_mov_b32 s1, 0
	ds_store_b8 v22, v7 offset:8192
.LBB207_11:                             ;   Parent Loop BB207_10 Depth=1
                                        ; =>  This Inner Loop Header: Depth=2
	v_add_co_u32 v6, s22, v6, 2
	s_xor_b32 s22, s22, -1
	ds_store_b128 v5, v[0:3]
	v_add_nc_u32_e32 v5, 32, v5
	s_and_b32 s22, exec_lo, s22
	s_delay_alu instid0(SALU_CYCLE_1) | instskip(NEXT) | instid1(SALU_CYCLE_1)
	s_or_b32 s1, s22, s1
	s_and_not1_b32 exec_lo, exec_lo, s1
	s_cbranch_execnz .LBB207_11
; %bb.12:                               ;   in Loop: Header=BB207_10 Depth=1
	s_or_b32 exec_lo, exec_lo, s1
	v_dual_mov_b32 v37, s5 :: v_dual_add_nc_u32 v16, v20, v24
	v_mov_b32_e32 v17, v23
	s_mov_b32 s22, exec_lo
	s_wait_dscnt 0x0
	s_delay_alu instid0(VALU_DEP_2)
	v_cmpx_lt_i32_e64 v16, v23
	s_cbranch_execz .LBB207_20
; %bb.13:                               ;   in Loop: Header=BB207_10 Depth=1
	v_mul_lo_u32 v5, v38, s7
	v_dual_ashrrev_i32 v17, 31, v16 :: v_dual_mov_b32 v37, s5
	s_mov_b32 s23, 0
	s_delay_alu instid0(VALU_DEP_1)
	v_lshl_add_u64 v[18:19], v[16:17], 2, s[12:13]
	v_lshl_add_u64 v[20:21], v[16:17], 4, s[10:11]
	v_mov_b32_e32 v17, v23
	s_branch .LBB207_15
.LBB207_14:                             ;   in Loop: Header=BB207_15 Depth=2
	s_wait_xcnt 0x0
	s_or_b32 exec_lo, exec_lo, s1
	v_add_nc_u32_e32 v16, 2, v16
	s_xor_b32 s24, vcc_lo, -1
	v_add_nc_u64_e32 v[18:19], 8, v[18:19]
	v_add_nc_u64_e32 v[20:21], 32, v[20:21]
	s_delay_alu instid0(VALU_DEP_3) | instskip(SKIP_1) | instid1(SALU_CYCLE_1)
	v_cmp_ge_i32_e64 s1, v16, v23
	s_or_b32 s1, s24, s1
	s_and_b32 s1, exec_lo, s1
	s_delay_alu instid0(SALU_CYCLE_1) | instskip(NEXT) | instid1(SALU_CYCLE_1)
	s_or_b32 s23, s1, s23
	s_and_not1_b32 exec_lo, exec_lo, s23
	s_cbranch_execz .LBB207_19
.LBB207_15:                             ;   Parent Loop BB207_10 Depth=1
                                        ; =>  This Inner Loop Header: Depth=2
	global_load_b32 v6, v[18:19], off
	s_wait_loadcnt 0x0
	v_subrev_nc_u32_e32 v39, s18, v6
	s_delay_alu instid0(VALU_DEP_1) | instskip(NEXT) | instid1(VALU_DEP_1)
	v_sub_nc_u32_e32 v6, 0, v39
	v_max_i32_e32 v6, v39, v6
	s_delay_alu instid0(VALU_DEP_1) | instskip(NEXT) | instid1(VALU_DEP_1)
	v_mul_u64_e32 v[40:41], s[2:3], v[6:7]
	v_mul_lo_u32 v40, v41, s14
	s_delay_alu instid0(VALU_DEP_1) | instskip(NEXT) | instid1(VALU_DEP_1)
	v_dual_sub_nc_u32 v6, v6, v40 :: v_dual_add_nc_u32 v40, 1, v41
	v_cmp_le_u32_e32 vcc_lo, s14, v6
	s_delay_alu instid0(VALU_DEP_2) | instskip(SKIP_1) | instid1(VALU_DEP_1)
	v_dual_cndmask_b32 v40, v41, v40 :: v_dual_ashrrev_i32 v41, 31, v39
	v_subrev_nc_u32_e32 v42, s14, v6
	v_dual_cndmask_b32 v6, v6, v42, vcc_lo :: v_dual_add_nc_u32 v42, 1, v40
	s_delay_alu instid0(VALU_DEP_1) | instskip(NEXT) | instid1(VALU_DEP_2)
	v_cmp_le_u32_e32 vcc_lo, s14, v6
	v_dual_cndmask_b32 v6, v40, v42, vcc_lo :: v_dual_bitop2_b32 v41, s15, v41 bitop3:0x14
	s_delay_alu instid0(VALU_DEP_1) | instskip(NEXT) | instid1(VALU_DEP_1)
	v_xor_b32_e32 v6, v6, v41
	v_dual_sub_nc_u32 v40, v6, v41 :: v_dual_mov_b32 v6, v17
	s_delay_alu instid0(VALU_DEP_1) | instskip(SKIP_3) | instid1(SALU_CYCLE_1)
	v_cmp_ne_u32_e64 s1, v40, v38
	v_cmp_eq_u32_e32 vcc_lo, v40, v38
	s_wait_xcnt 0x0
	s_and_saveexec_b32 s24, s1
	s_xor_b32 s1, exec_lo, s24
; %bb.16:                               ;   in Loop: Header=BB207_15 Depth=2
	v_min_i32_e32 v37, v40, v37
                                        ; implicit-def: $vgpr39
                                        ; implicit-def: $vgpr6
; %bb.17:                               ;   in Loop: Header=BB207_15 Depth=2
	s_or_saveexec_b32 s1, s1
	v_mov_b32_e32 v17, v16
	s_xor_b32 exec_lo, exec_lo, s1
	s_cbranch_execz .LBB207_14
; %bb.18:                               ;   in Loop: Header=BB207_15 Depth=2
	global_load_b128 v[40:43], v[20:21], off
	v_sub_nc_u32_e32 v17, v39, v5
	s_delay_alu instid0(VALU_DEP_1)
	v_lshl_add_u32 v39, v17, 4, v25
	v_mov_b32_e32 v17, v6
	ds_store_b8 v22, v36 offset:8192
	s_wait_loadcnt 0x0
	ds_store_2addr_b64 v39, v[40:41], v[42:43] offset1:1
	s_branch .LBB207_14
.LBB207_19:                             ;   in Loop: Header=BB207_10 Depth=1
	s_or_b32 exec_lo, exec_lo, s23
.LBB207_20:                             ;   in Loop: Header=BB207_10 Depth=1
	s_delay_alu instid0(SALU_CYCLE_1)
	s_or_b32 exec_lo, exec_lo, s22
	ds_bpermute_b32 v5, v26, v17
	s_wait_dscnt 0x0
	ds_load_u8 v6, v22 offset:8192
	v_min_i32_e32 v5, v5, v17
	ds_bpermute_b32 v20, v27, v5
	s_wait_dscnt 0x1
	v_and_b32_e32 v5, 1, v6
	s_delay_alu instid0(VALU_DEP_1)
	v_cmp_eq_u32_e32 vcc_lo, 1, v5
	v_mov_b32_e32 v5, 0
	s_and_saveexec_b32 s1, vcc_lo
	s_cbranch_execz .LBB207_9
; %bb.21:                               ;   in Loop: Header=BB207_10 Depth=1
	v_ashrrev_i32_e32 v5, 31, v4
	s_delay_alu instid0(VALU_DEP_1) | instskip(SKIP_3) | instid1(VALU_DEP_1)
	v_mul_u64_e32 v[16:17], s[16:17], v[4:5]
	v_add_nc_u32_e32 v5, s19, v38
	global_store_b32 v4, v5, s[8:9] scale_offset
	v_lshlrev_b64_e32 v[16:17], 4, v[16:17]
	v_add_nc_u64_e32 v[18:19], v[8:9], v[16:17]
	v_add_nc_u64_e32 v[16:17], v[10:11], v[16:17]
	s_wait_xcnt 0x0
	s_and_saveexec_b32 s22, s6
	s_cbranch_execz .LBB207_23
; %bb.22:                               ;   in Loop: Header=BB207_10 Depth=1
	ds_load_2addr_b64 v[38:41], v28 offset1:1
	v_lshl_add_u64 v[42:43], v[12:13], 4, v[18:19]
	s_delay_alu instid0(VALU_DEP_1)
	v_dual_cndmask_b32 v43, v43, v17, s0 :: v_dual_cndmask_b32 v42, v42, v16, s0
	s_wait_dscnt 0x0
	global_store_b128 v[42:43], v[38:41], off
.LBB207_23:                             ;   in Loop: Header=BB207_10 Depth=1
	s_wait_xcnt 0x0
	s_or_b32 exec_lo, exec_lo, s22
	s_and_saveexec_b32 s22, s20
	s_cbranch_execz .LBB207_8
; %bb.24:                               ;   in Loop: Header=BB207_10 Depth=1
	s_and_not1_b32 vcc_lo, exec_lo, s4
	s_mov_b32 s23, -1
	s_cbranch_vccnz .LBB207_26
; %bb.25:                               ;   in Loop: Header=BB207_10 Depth=1
	ds_load_2addr_b64 v[38:41], v34 offset1:1
	v_lshl_add_u64 v[18:19], v[14:15], 4, v[18:19]
	s_mov_b32 s23, 0
	s_wait_dscnt 0x0
	global_store_b128 v[18:19], v[38:41], off
.LBB207_26:                             ;   in Loop: Header=BB207_10 Depth=1
	s_and_not1_b32 vcc_lo, exec_lo, s23
	s_cbranch_vccnz .LBB207_8
; %bb.27:                               ;   in Loop: Header=BB207_10 Depth=1
	s_wait_xcnt 0x0
	ds_load_2addr_b64 v[38:41], v34 offset1:1
	s_wait_dscnt 0x0
	global_store_b128 v[16:17], v[38:41], off offset:32
	s_branch .LBB207_8
.LBB207_28:
	s_endpgm
	.section	.rodata,"a",@progbits
	.p2align	6, 0x0
	.amdhsa_kernel _ZN9rocsparseL44csr2gebsr_wavefront_per_row_multipass_kernelILi256ELi16ELi4ELi32E21rocsparse_complex_numIdEEEv20rocsparse_direction_iiiiii21rocsparse_index_base_PKT3_PKiS9_S4_PS5_PiSB_
		.amdhsa_group_segment_fixed_size 8200
		.amdhsa_private_segment_fixed_size 0
		.amdhsa_kernarg_size 88
		.amdhsa_user_sgpr_count 2
		.amdhsa_user_sgpr_dispatch_ptr 0
		.amdhsa_user_sgpr_queue_ptr 0
		.amdhsa_user_sgpr_kernarg_segment_ptr 1
		.amdhsa_user_sgpr_dispatch_id 0
		.amdhsa_user_sgpr_kernarg_preload_length 0
		.amdhsa_user_sgpr_kernarg_preload_offset 0
		.amdhsa_user_sgpr_private_segment_size 0
		.amdhsa_wavefront_size32 1
		.amdhsa_uses_dynamic_stack 0
		.amdhsa_enable_private_segment 0
		.amdhsa_system_sgpr_workgroup_id_x 1
		.amdhsa_system_sgpr_workgroup_id_y 0
		.amdhsa_system_sgpr_workgroup_id_z 0
		.amdhsa_system_sgpr_workgroup_info 0
		.amdhsa_system_vgpr_workitem_id 0
		.amdhsa_next_free_vgpr 44
		.amdhsa_next_free_sgpr 25
		.amdhsa_named_barrier_count 0
		.amdhsa_reserve_vcc 1
		.amdhsa_float_round_mode_32 0
		.amdhsa_float_round_mode_16_64 0
		.amdhsa_float_denorm_mode_32 3
		.amdhsa_float_denorm_mode_16_64 3
		.amdhsa_fp16_overflow 0
		.amdhsa_memory_ordered 1
		.amdhsa_forward_progress 1
		.amdhsa_inst_pref_size 13
		.amdhsa_round_robin_scheduling 0
		.amdhsa_exception_fp_ieee_invalid_op 0
		.amdhsa_exception_fp_denorm_src 0
		.amdhsa_exception_fp_ieee_div_zero 0
		.amdhsa_exception_fp_ieee_overflow 0
		.amdhsa_exception_fp_ieee_underflow 0
		.amdhsa_exception_fp_ieee_inexact 0
		.amdhsa_exception_int_div_zero 0
	.end_amdhsa_kernel
	.section	.text._ZN9rocsparseL44csr2gebsr_wavefront_per_row_multipass_kernelILi256ELi16ELi4ELi32E21rocsparse_complex_numIdEEEv20rocsparse_direction_iiiiii21rocsparse_index_base_PKT3_PKiS9_S4_PS5_PiSB_,"axG",@progbits,_ZN9rocsparseL44csr2gebsr_wavefront_per_row_multipass_kernelILi256ELi16ELi4ELi32E21rocsparse_complex_numIdEEEv20rocsparse_direction_iiiiii21rocsparse_index_base_PKT3_PKiS9_S4_PS5_PiSB_,comdat
.Lfunc_end207:
	.size	_ZN9rocsparseL44csr2gebsr_wavefront_per_row_multipass_kernelILi256ELi16ELi4ELi32E21rocsparse_complex_numIdEEEv20rocsparse_direction_iiiiii21rocsparse_index_base_PKT3_PKiS9_S4_PS5_PiSB_, .Lfunc_end207-_ZN9rocsparseL44csr2gebsr_wavefront_per_row_multipass_kernelILi256ELi16ELi4ELi32E21rocsparse_complex_numIdEEEv20rocsparse_direction_iiiiii21rocsparse_index_base_PKT3_PKiS9_S4_PS5_PiSB_
                                        ; -- End function
	.set _ZN9rocsparseL44csr2gebsr_wavefront_per_row_multipass_kernelILi256ELi16ELi4ELi32E21rocsparse_complex_numIdEEEv20rocsparse_direction_iiiiii21rocsparse_index_base_PKT3_PKiS9_S4_PS5_PiSB_.num_vgpr, 44
	.set _ZN9rocsparseL44csr2gebsr_wavefront_per_row_multipass_kernelILi256ELi16ELi4ELi32E21rocsparse_complex_numIdEEEv20rocsparse_direction_iiiiii21rocsparse_index_base_PKT3_PKiS9_S4_PS5_PiSB_.num_agpr, 0
	.set _ZN9rocsparseL44csr2gebsr_wavefront_per_row_multipass_kernelILi256ELi16ELi4ELi32E21rocsparse_complex_numIdEEEv20rocsparse_direction_iiiiii21rocsparse_index_base_PKT3_PKiS9_S4_PS5_PiSB_.numbered_sgpr, 25
	.set _ZN9rocsparseL44csr2gebsr_wavefront_per_row_multipass_kernelILi256ELi16ELi4ELi32E21rocsparse_complex_numIdEEEv20rocsparse_direction_iiiiii21rocsparse_index_base_PKT3_PKiS9_S4_PS5_PiSB_.num_named_barrier, 0
	.set _ZN9rocsparseL44csr2gebsr_wavefront_per_row_multipass_kernelILi256ELi16ELi4ELi32E21rocsparse_complex_numIdEEEv20rocsparse_direction_iiiiii21rocsparse_index_base_PKT3_PKiS9_S4_PS5_PiSB_.private_seg_size, 0
	.set _ZN9rocsparseL44csr2gebsr_wavefront_per_row_multipass_kernelILi256ELi16ELi4ELi32E21rocsparse_complex_numIdEEEv20rocsparse_direction_iiiiii21rocsparse_index_base_PKT3_PKiS9_S4_PS5_PiSB_.uses_vcc, 1
	.set _ZN9rocsparseL44csr2gebsr_wavefront_per_row_multipass_kernelILi256ELi16ELi4ELi32E21rocsparse_complex_numIdEEEv20rocsparse_direction_iiiiii21rocsparse_index_base_PKT3_PKiS9_S4_PS5_PiSB_.uses_flat_scratch, 0
	.set _ZN9rocsparseL44csr2gebsr_wavefront_per_row_multipass_kernelILi256ELi16ELi4ELi32E21rocsparse_complex_numIdEEEv20rocsparse_direction_iiiiii21rocsparse_index_base_PKT3_PKiS9_S4_PS5_PiSB_.has_dyn_sized_stack, 0
	.set _ZN9rocsparseL44csr2gebsr_wavefront_per_row_multipass_kernelILi256ELi16ELi4ELi32E21rocsparse_complex_numIdEEEv20rocsparse_direction_iiiiii21rocsparse_index_base_PKT3_PKiS9_S4_PS5_PiSB_.has_recursion, 0
	.set _ZN9rocsparseL44csr2gebsr_wavefront_per_row_multipass_kernelILi256ELi16ELi4ELi32E21rocsparse_complex_numIdEEEv20rocsparse_direction_iiiiii21rocsparse_index_base_PKT3_PKiS9_S4_PS5_PiSB_.has_indirect_call, 0
	.section	.AMDGPU.csdata,"",@progbits
; Kernel info:
; codeLenInByte = 1620
; TotalNumSgprs: 27
; NumVgprs: 44
; ScratchSize: 0
; MemoryBound: 0
; FloatMode: 240
; IeeeMode: 1
; LDSByteSize: 8200 bytes/workgroup (compile time only)
; SGPRBlocks: 0
; VGPRBlocks: 2
; NumSGPRsForWavesPerEU: 27
; NumVGPRsForWavesPerEU: 44
; NamedBarCnt: 0
; Occupancy: 16
; WaveLimiterHint : 0
; COMPUTE_PGM_RSRC2:SCRATCH_EN: 0
; COMPUTE_PGM_RSRC2:USER_SGPR: 2
; COMPUTE_PGM_RSRC2:TRAP_HANDLER: 0
; COMPUTE_PGM_RSRC2:TGID_X_EN: 1
; COMPUTE_PGM_RSRC2:TGID_Y_EN: 0
; COMPUTE_PGM_RSRC2:TGID_Z_EN: 0
; COMPUTE_PGM_RSRC2:TIDIG_COMP_CNT: 0
	.section	.text._ZN9rocsparseL44csr2gebsr_wavefront_per_row_multipass_kernelILi256ELi16ELi8ELi64E21rocsparse_complex_numIdEEEv20rocsparse_direction_iiiiii21rocsparse_index_base_PKT3_PKiS9_S4_PS5_PiSB_,"axG",@progbits,_ZN9rocsparseL44csr2gebsr_wavefront_per_row_multipass_kernelILi256ELi16ELi8ELi64E21rocsparse_complex_numIdEEEv20rocsparse_direction_iiiiii21rocsparse_index_base_PKT3_PKiS9_S4_PS5_PiSB_,comdat
	.globl	_ZN9rocsparseL44csr2gebsr_wavefront_per_row_multipass_kernelILi256ELi16ELi8ELi64E21rocsparse_complex_numIdEEEv20rocsparse_direction_iiiiii21rocsparse_index_base_PKT3_PKiS9_S4_PS5_PiSB_ ; -- Begin function _ZN9rocsparseL44csr2gebsr_wavefront_per_row_multipass_kernelILi256ELi16ELi8ELi64E21rocsparse_complex_numIdEEEv20rocsparse_direction_iiiiii21rocsparse_index_base_PKT3_PKiS9_S4_PS5_PiSB_
	.p2align	8
	.type	_ZN9rocsparseL44csr2gebsr_wavefront_per_row_multipass_kernelILi256ELi16ELi8ELi64E21rocsparse_complex_numIdEEEv20rocsparse_direction_iiiiii21rocsparse_index_base_PKT3_PKiS9_S4_PS5_PiSB_,@function
_ZN9rocsparseL44csr2gebsr_wavefront_per_row_multipass_kernelILi256ELi16ELi8ELi64E21rocsparse_complex_numIdEEEv20rocsparse_direction_iiiiii21rocsparse_index_base_PKT3_PKiS9_S4_PS5_PiSB_: ; @_ZN9rocsparseL44csr2gebsr_wavefront_per_row_multipass_kernelILi256ELi16ELi8ELi64E21rocsparse_complex_numIdEEEv20rocsparse_direction_iiiiii21rocsparse_index_base_PKT3_PKiS9_S4_PS5_PiSB_
; %bb.0:
	s_clause 0x1
	s_load_b128 s[4:7], s[0:1], 0xc
	s_load_b64 s[14:15], s[0:1], 0x0
	s_bfe_u32 s2, ttmp6, 0x4000c
	s_and_b32 s3, ttmp6, 15
	s_add_co_i32 s2, s2, 1
	s_getreg_b32 s8, hwreg(HW_REG_IB_STS2, 6, 4)
	s_mul_i32 s2, ttmp9, s2
	v_dual_lshrrev_b32 v22, 6, v0 :: v_dual_mov_b32 v4, 0
	s_add_co_i32 s3, s3, s2
	s_cmp_eq_u32 s8, 0
	v_bfe_u32 v1, v0, 2, 4
	s_cselect_b32 s2, ttmp9, s3
	s_clause 0x1
	s_load_b32 s18, s[0:1], 0x1c
	s_load_b64 s[8:9], s[0:1], 0x28
	v_lshl_or_b32 v2, s2, 2, v22
	v_mov_b32_e32 v20, 0
	s_wait_kmcnt 0x0
	s_delay_alu instid0(VALU_DEP_2) | instskip(SKIP_1) | instid1(VALU_DEP_2)
	v_mad_u32 v3, v2, s6, v1
	v_cmp_gt_i32_e32 vcc_lo, s6, v1
	v_cmp_gt_i32_e64 s2, s15, v3
	s_and_b32 s2, vcc_lo, s2
	s_delay_alu instid0(SALU_CYCLE_1)
	s_and_saveexec_b32 s3, s2
	s_cbranch_execz .LBB208_2
; %bb.1:
	global_load_b32 v5, v3, s[8:9] scale_offset
	s_wait_loadcnt 0x0
	v_subrev_nc_u32_e32 v20, s18, v5
.LBB208_2:
	s_or_b32 exec_lo, exec_lo, s3
	v_mov_b32_e32 v23, 0
	s_and_saveexec_b32 s3, s2
	s_cbranch_execz .LBB208_4
; %bb.3:
	global_load_b32 v3, v3, s[8:9] offset:4 scale_offset
	s_wait_loadcnt 0x0
	v_subrev_nc_u32_e32 v23, s18, v3
.LBB208_4:
	s_or_b32 exec_lo, exec_lo, s3
	s_load_b32 s19, s[0:1], 0x38
	s_mov_b32 s3, exec_lo
	v_cmpx_gt_i32_e64 s4, v2
	s_cbranch_execz .LBB208_6
; %bb.5:
	s_load_b64 s[8:9], s[0:1], 0x48
	s_wait_kmcnt 0x0
	global_load_b32 v2, v2, s[8:9] scale_offset
	s_wait_loadcnt 0x0
	v_subrev_nc_u32_e32 v4, s19, v2
.LBB208_6:
	s_or_b32 exec_lo, exec_lo, s3
	s_cmp_lt_i32 s5, 1
	s_cbranch_scc1 .LBB208_28
; %bb.7:
	v_mbcnt_lo_u32_b32 v5, -1, 0
	s_clause 0x3
	s_load_b64 s[8:9], s[0:1], 0x50
	s_load_b64 s[20:21], s[0:1], 0x40
	s_load_b64 s[10:11], s[0:1], 0x20
	s_load_b64 s[12:13], s[0:1], 0x30
	v_dual_lshlrev_b32 v0, 7, v1 :: v_dual_bitop2_b32 v24, 3, v0 bitop3:0x40
	s_cmp_eq_u32 s14, 0
	v_xor_b32_e32 v3, 1, v5
	v_xor_b32_e32 v2, 2, v5
	s_mov_b32 s3, 0
	v_lshl_or_b32 v25, v22, 11, v0
	s_mov_b32 s2, s6
	v_lshl_or_b32 v28, v5, 2, 12
	s_wait_xcnt 0x0
	v_cmp_gt_i32_e64 s0, 32, v2
	v_bfrev_b32_e32 v34, 0.5
	v_dual_mov_b32 v39, 0 :: v_dual_mov_b32 v7, 0
	s_delay_alu instid0(VALU_DEP_3) | instskip(SKIP_2) | instid1(VALU_DEP_4)
	v_dual_cndmask_b32 v6, v5, v2, s0 :: v_dual_bitop2_b32 v36, -4, v24 bitop3:0x54
	v_mul_lo_u32 v2, s7, v1
	v_cmp_gt_i32_e64 s0, 32, v3
	v_dual_mov_b32 v15, v7 :: v_dual_lshlrev_b32 v0, 4, v24
	v_dual_mov_b32 v13, v7 :: v_dual_mov_b32 v37, 1
	s_delay_alu instid0(VALU_DEP_3) | instskip(SKIP_2) | instid1(VALU_DEP_2)
	v_dual_cndmask_b32 v3, v5, v3, s0 :: v_dual_lshlrev_b32 v26, 2, v6
	v_dual_mov_b32 v1, v7 :: v_dual_lshlrev_b32 v6, 4, v1
	s_cselect_b32 s0, -1, 0
	v_dual_lshlrev_b32 v27, 2, v3 :: v_dual_ashrrev_i32 v3, 31, v2
	v_or_b32_e32 v29, v25, v0
	s_cmp_lg_u32 s14, 0
	s_mov_b32 s14, s7
	s_cselect_b32 s4, -1, 0
	s_wait_kmcnt 0x0
	v_lshl_add_u64 v[2:3], v[2:3], 4, s[20:21]
	s_ashr_i32 s15, s7, 31
	v_add_nc_u64_e32 v[8:9], s[20:21], v[6:7]
	s_mul_u64 s[16:17], s[14:15], s[2:3]
	s_abs_i32 s14, s7
	v_add_nc_u64_e32 v[10:11], v[2:3], v[0:1]
	v_xor_b32_e32 v0, 16, v5
	v_or_b32_e32 v12, 32, v5
	s_cvt_f32_u32 s2, s14
	v_xor_b32_e32 v3, 4, v5
	v_xor_b32_e32 v2, 8, v5
	v_or_b32_e32 v35, 64, v29
	v_cmp_gt_i32_e64 s1, 32, v12
	v_rcp_iflag_f32_e32 v6, s2
	s_delay_alu instid0(VALU_DEP_1) | instskip(SKIP_2) | instid1(TRANS32_DEP_1)
	v_cndmask_b32_e64 v1, v5, v12, s1
	v_cmp_gt_i32_e64 s1, 32, v0
	v_mul_lo_u32 v12, v24, s6
	v_readfirstlane_b32 s2, v6
	s_delay_alu instid0(VALU_DEP_3)
	v_cndmask_b32_e64 v0, v5, v0, s1
	v_cmp_gt_i32_e64 s1, 32, v2
	s_mul_f32 s20, s2, 0x4f7ffffe
	v_dual_lshlrev_b32 v30, 2, v1 :: v_dual_lshlrev_b32 v31, 2, v0
	v_cndmask_b32_e64 v2, v5, v2, s1
	v_cmp_gt_i32_e64 s1, 32, v3
	v_or_b32_e32 v0, 4, v24
	s_cvt_u32_f32 s21, s20
	v_lshl_add_u32 v14, s6, 2, v12
	s_sub_co_i32 s6, 0, s14
	v_cndmask_b32_e64 v1, v5, v3, s1
	v_cmp_gt_u32_e64 s1, s7, v24
	v_cmp_gt_u32_e64 s2, s7, v0
	s_mul_i32 s20, s6, s21
	v_dual_lshlrev_b32 v32, 2, v2 :: v_dual_lshlrev_b32 v33, 2, v1
	v_dual_mov_b32 v0, v7 :: v_dual_mov_b32 v1, v7
	v_dual_mov_b32 v2, v7 :: v_dual_mov_b32 v3, v7
	s_and_b32 s6, s1, vcc_lo
	s_mul_hi_u32 s1, s21, s20
	s_and_b32 s20, vcc_lo, s2
	s_add_co_i32 s2, s21, s1
	s_mov_b32 s21, s3
	s_branch .LBB208_10
.LBB208_8:                              ;   in Loop: Header=BB208_10 Depth=1
	s_wait_xcnt 0x0
	s_or_b32 exec_lo, exec_lo, s22
	v_mov_b32_e32 v5, 1
.LBB208_9:                              ;   in Loop: Header=BB208_10 Depth=1
	s_or_b32 exec_lo, exec_lo, s1
	ds_bpermute_b32 v6, v30, v38
	s_wait_storecnt_dscnt 0x0
	v_dual_add_nc_u32 v4, v5, v4 :: v_dual_min_i32 v6, v6, v38
	ds_bpermute_b32 v16, v31, v6
	s_wait_dscnt 0x0
	v_min_i32_e32 v6, v16, v6
	ds_bpermute_b32 v16, v32, v6
	s_wait_dscnt 0x0
	v_min_i32_e32 v6, v16, v6
	;; [unrolled: 3-line block ×5, first 2 shown]
	ds_bpermute_b32 v39, v34, v6
	s_wait_dscnt 0x0
	v_cmp_le_i32_e32 vcc_lo, s5, v39
	s_or_b32 s21, vcc_lo, s21
	s_delay_alu instid0(SALU_CYCLE_1)
	s_and_not1_b32 exec_lo, exec_lo, s21
	s_cbranch_execz .LBB208_28
.LBB208_10:                             ; =>This Loop Header: Depth=1
                                        ;     Child Loop BB208_11 Depth 2
                                        ;     Child Loop BB208_15 Depth 2
	v_dual_mov_b32 v5, v29 :: v_dual_mov_b32 v6, v36
	s_mov_b32 s1, 0
	ds_store_b8 v22, v7 offset:8192
.LBB208_11:                             ;   Parent Loop BB208_10 Depth=1
                                        ; =>  This Inner Loop Header: Depth=2
	v_add_co_u32 v6, s22, v6, 4
	s_xor_b32 s22, s22, -1
	ds_store_b128 v5, v[0:3]
	v_add_nc_u32_e32 v5, 64, v5
	s_and_b32 s22, exec_lo, s22
	s_delay_alu instid0(SALU_CYCLE_1) | instskip(NEXT) | instid1(SALU_CYCLE_1)
	s_or_b32 s1, s22, s1
	s_and_not1_b32 exec_lo, exec_lo, s1
	s_cbranch_execnz .LBB208_11
; %bb.12:                               ;   in Loop: Header=BB208_10 Depth=1
	s_or_b32 exec_lo, exec_lo, s1
	v_dual_add_nc_u32 v16, v20, v24 :: v_dual_mov_b32 v38, s5
	v_mov_b32_e32 v17, v23
	s_mov_b32 s22, exec_lo
	s_wait_dscnt 0x0
	s_delay_alu instid0(VALU_DEP_2)
	v_cmpx_lt_i32_e64 v16, v23
	s_cbranch_execz .LBB208_20
; %bb.13:                               ;   in Loop: Header=BB208_10 Depth=1
	v_mul_lo_u32 v5, v39, s7
	v_dual_mov_b32 v38, s5 :: v_dual_ashrrev_i32 v17, 31, v16
	s_mov_b32 s23, 0
	s_delay_alu instid0(VALU_DEP_1)
	v_lshl_add_u64 v[18:19], v[16:17], 2, s[12:13]
	v_lshl_add_u64 v[20:21], v[16:17], 4, s[10:11]
	v_mov_b32_e32 v17, v23
	s_branch .LBB208_15
.LBB208_14:                             ;   in Loop: Header=BB208_15 Depth=2
	s_wait_xcnt 0x0
	s_or_b32 exec_lo, exec_lo, s1
	v_add_nc_u32_e32 v16, 4, v16
	s_xor_b32 s24, vcc_lo, -1
	v_add_nc_u64_e32 v[18:19], 16, v[18:19]
	v_add_nc_u64_e32 v[20:21], 64, v[20:21]
	s_delay_alu instid0(VALU_DEP_3) | instskip(SKIP_1) | instid1(SALU_CYCLE_1)
	v_cmp_ge_i32_e64 s1, v16, v23
	s_or_b32 s1, s24, s1
	s_and_b32 s1, exec_lo, s1
	s_delay_alu instid0(SALU_CYCLE_1) | instskip(NEXT) | instid1(SALU_CYCLE_1)
	s_or_b32 s23, s1, s23
	s_and_not1_b32 exec_lo, exec_lo, s23
	s_cbranch_execz .LBB208_19
.LBB208_15:                             ;   Parent Loop BB208_10 Depth=1
                                        ; =>  This Inner Loop Header: Depth=2
	global_load_b32 v6, v[18:19], off
	s_wait_loadcnt 0x0
	v_subrev_nc_u32_e32 v40, s18, v6
	s_delay_alu instid0(VALU_DEP_1) | instskip(NEXT) | instid1(VALU_DEP_1)
	v_sub_nc_u32_e32 v6, 0, v40
	v_max_i32_e32 v6, v40, v6
	s_delay_alu instid0(VALU_DEP_1) | instskip(NEXT) | instid1(VALU_DEP_1)
	v_mul_u64_e32 v[42:43], s[2:3], v[6:7]
	v_mul_lo_u32 v41, v43, s14
	s_delay_alu instid0(VALU_DEP_1) | instskip(NEXT) | instid1(VALU_DEP_1)
	v_dual_sub_nc_u32 v6, v6, v41 :: v_dual_add_nc_u32 v41, 1, v43
	v_cmp_le_u32_e32 vcc_lo, s14, v6
	s_delay_alu instid0(VALU_DEP_2) | instskip(SKIP_1) | instid1(VALU_DEP_1)
	v_dual_cndmask_b32 v41, v43, v41, vcc_lo :: v_dual_ashrrev_i32 v43, 31, v40
	v_subrev_nc_u32_e32 v42, s14, v6
	v_dual_cndmask_b32 v6, v6, v42, vcc_lo :: v_dual_add_nc_u32 v42, 1, v41
	s_delay_alu instid0(VALU_DEP_1) | instskip(NEXT) | instid1(VALU_DEP_2)
	v_cmp_le_u32_e32 vcc_lo, s14, v6
	v_dual_cndmask_b32 v6, v41, v42, vcc_lo :: v_dual_bitop2_b32 v43, s15, v43 bitop3:0x14
	s_delay_alu instid0(VALU_DEP_1) | instskip(NEXT) | instid1(VALU_DEP_1)
	v_xor_b32_e32 v6, v6, v43
	v_dual_mov_b32 v6, v17 :: v_dual_sub_nc_u32 v41, v6, v43
	s_delay_alu instid0(VALU_DEP_1) | instskip(SKIP_3) | instid1(SALU_CYCLE_1)
	v_cmp_ne_u32_e64 s1, v41, v39
	v_cmp_eq_u32_e32 vcc_lo, v41, v39
	s_wait_xcnt 0x0
	s_and_saveexec_b32 s24, s1
	s_xor_b32 s1, exec_lo, s24
; %bb.16:                               ;   in Loop: Header=BB208_15 Depth=2
	v_min_i32_e32 v38, v41, v38
                                        ; implicit-def: $vgpr40
                                        ; implicit-def: $vgpr6
; %bb.17:                               ;   in Loop: Header=BB208_15 Depth=2
	s_or_saveexec_b32 s1, s1
	v_mov_b32_e32 v17, v16
	s_xor_b32 exec_lo, exec_lo, s1
	s_cbranch_execz .LBB208_14
; %bb.18:                               ;   in Loop: Header=BB208_15 Depth=2
	global_load_b128 v[42:45], v[20:21], off
	v_sub_nc_u32_e32 v17, v40, v5
	s_delay_alu instid0(VALU_DEP_1)
	v_lshl_add_u32 v40, v17, 4, v25
	v_mov_b32_e32 v17, v6
	ds_store_b8 v22, v37 offset:8192
	s_wait_loadcnt 0x0
	ds_store_2addr_b64 v40, v[42:43], v[44:45] offset1:1
	s_branch .LBB208_14
.LBB208_19:                             ;   in Loop: Header=BB208_10 Depth=1
	s_or_b32 exec_lo, exec_lo, s23
.LBB208_20:                             ;   in Loop: Header=BB208_10 Depth=1
	s_delay_alu instid0(SALU_CYCLE_1)
	s_or_b32 exec_lo, exec_lo, s22
	ds_bpermute_b32 v5, v26, v17
	s_wait_dscnt 0x0
	ds_load_u8 v16, v22 offset:8192
	v_min_i32_e32 v5, v5, v17
	ds_bpermute_b32 v6, v27, v5
	s_wait_dscnt 0x0
	v_min_i32_e32 v5, v6, v5
	ds_bpermute_b32 v20, v28, v5
	v_and_b32_e32 v5, 1, v16
	s_delay_alu instid0(VALU_DEP_1)
	v_cmp_eq_u32_e32 vcc_lo, 1, v5
	v_mov_b32_e32 v5, 0
	s_and_saveexec_b32 s1, vcc_lo
	s_cbranch_execz .LBB208_9
; %bb.21:                               ;   in Loop: Header=BB208_10 Depth=1
	v_ashrrev_i32_e32 v5, 31, v4
	s_delay_alu instid0(VALU_DEP_1) | instskip(SKIP_3) | instid1(VALU_DEP_1)
	v_mul_u64_e32 v[16:17], s[16:17], v[4:5]
	v_add_nc_u32_e32 v5, s19, v39
	global_store_b32 v4, v5, s[8:9] scale_offset
	v_lshlrev_b64_e32 v[16:17], 4, v[16:17]
	v_add_nc_u64_e32 v[18:19], v[8:9], v[16:17]
	v_add_nc_u64_e32 v[16:17], v[10:11], v[16:17]
	s_wait_xcnt 0x0
	s_and_saveexec_b32 s22, s6
	s_cbranch_execz .LBB208_23
; %bb.22:                               ;   in Loop: Header=BB208_10 Depth=1
	ds_load_2addr_b64 v[40:43], v29 offset1:1
	v_lshl_add_u64 v[44:45], v[12:13], 4, v[18:19]
	s_delay_alu instid0(VALU_DEP_1)
	v_dual_cndmask_b32 v45, v45, v17, s0 :: v_dual_cndmask_b32 v44, v44, v16, s0
	s_wait_dscnt 0x0
	global_store_b128 v[44:45], v[40:43], off
.LBB208_23:                             ;   in Loop: Header=BB208_10 Depth=1
	s_wait_xcnt 0x0
	s_or_b32 exec_lo, exec_lo, s22
	s_and_saveexec_b32 s22, s20
	s_cbranch_execz .LBB208_8
; %bb.24:                               ;   in Loop: Header=BB208_10 Depth=1
	s_and_not1_b32 vcc_lo, exec_lo, s4
	s_mov_b32 s23, -1
	s_cbranch_vccnz .LBB208_26
; %bb.25:                               ;   in Loop: Header=BB208_10 Depth=1
	ds_load_2addr_b64 v[40:43], v35 offset1:1
	v_lshl_add_u64 v[18:19], v[14:15], 4, v[18:19]
	s_mov_b32 s23, 0
	s_wait_dscnt 0x0
	global_store_b128 v[18:19], v[40:43], off
.LBB208_26:                             ;   in Loop: Header=BB208_10 Depth=1
	s_and_not1_b32 vcc_lo, exec_lo, s23
	s_cbranch_vccnz .LBB208_8
; %bb.27:                               ;   in Loop: Header=BB208_10 Depth=1
	s_wait_xcnt 0x0
	ds_load_2addr_b64 v[40:43], v35 offset1:1
	s_wait_dscnt 0x0
	global_store_b128 v[16:17], v[40:43], off offset:64
	s_branch .LBB208_8
.LBB208_28:
	s_endpgm
	.section	.rodata,"a",@progbits
	.p2align	6, 0x0
	.amdhsa_kernel _ZN9rocsparseL44csr2gebsr_wavefront_per_row_multipass_kernelILi256ELi16ELi8ELi64E21rocsparse_complex_numIdEEEv20rocsparse_direction_iiiiii21rocsparse_index_base_PKT3_PKiS9_S4_PS5_PiSB_
		.amdhsa_group_segment_fixed_size 8200
		.amdhsa_private_segment_fixed_size 0
		.amdhsa_kernarg_size 88
		.amdhsa_user_sgpr_count 2
		.amdhsa_user_sgpr_dispatch_ptr 0
		.amdhsa_user_sgpr_queue_ptr 0
		.amdhsa_user_sgpr_kernarg_segment_ptr 1
		.amdhsa_user_sgpr_dispatch_id 0
		.amdhsa_user_sgpr_kernarg_preload_length 0
		.amdhsa_user_sgpr_kernarg_preload_offset 0
		.amdhsa_user_sgpr_private_segment_size 0
		.amdhsa_wavefront_size32 1
		.amdhsa_uses_dynamic_stack 0
		.amdhsa_enable_private_segment 0
		.amdhsa_system_sgpr_workgroup_id_x 1
		.amdhsa_system_sgpr_workgroup_id_y 0
		.amdhsa_system_sgpr_workgroup_id_z 0
		.amdhsa_system_sgpr_workgroup_info 0
		.amdhsa_system_vgpr_workitem_id 0
		.amdhsa_next_free_vgpr 46
		.amdhsa_next_free_sgpr 25
		.amdhsa_named_barrier_count 0
		.amdhsa_reserve_vcc 1
		.amdhsa_float_round_mode_32 0
		.amdhsa_float_round_mode_16_64 0
		.amdhsa_float_denorm_mode_32 3
		.amdhsa_float_denorm_mode_16_64 3
		.amdhsa_fp16_overflow 0
		.amdhsa_memory_ordered 1
		.amdhsa_forward_progress 1
		.amdhsa_inst_pref_size 13
		.amdhsa_round_robin_scheduling 0
		.amdhsa_exception_fp_ieee_invalid_op 0
		.amdhsa_exception_fp_denorm_src 0
		.amdhsa_exception_fp_ieee_div_zero 0
		.amdhsa_exception_fp_ieee_overflow 0
		.amdhsa_exception_fp_ieee_underflow 0
		.amdhsa_exception_fp_ieee_inexact 0
		.amdhsa_exception_int_div_zero 0
	.end_amdhsa_kernel
	.section	.text._ZN9rocsparseL44csr2gebsr_wavefront_per_row_multipass_kernelILi256ELi16ELi8ELi64E21rocsparse_complex_numIdEEEv20rocsparse_direction_iiiiii21rocsparse_index_base_PKT3_PKiS9_S4_PS5_PiSB_,"axG",@progbits,_ZN9rocsparseL44csr2gebsr_wavefront_per_row_multipass_kernelILi256ELi16ELi8ELi64E21rocsparse_complex_numIdEEEv20rocsparse_direction_iiiiii21rocsparse_index_base_PKT3_PKiS9_S4_PS5_PiSB_,comdat
.Lfunc_end208:
	.size	_ZN9rocsparseL44csr2gebsr_wavefront_per_row_multipass_kernelILi256ELi16ELi8ELi64E21rocsparse_complex_numIdEEEv20rocsparse_direction_iiiiii21rocsparse_index_base_PKT3_PKiS9_S4_PS5_PiSB_, .Lfunc_end208-_ZN9rocsparseL44csr2gebsr_wavefront_per_row_multipass_kernelILi256ELi16ELi8ELi64E21rocsparse_complex_numIdEEEv20rocsparse_direction_iiiiii21rocsparse_index_base_PKT3_PKiS9_S4_PS5_PiSB_
                                        ; -- End function
	.set _ZN9rocsparseL44csr2gebsr_wavefront_per_row_multipass_kernelILi256ELi16ELi8ELi64E21rocsparse_complex_numIdEEEv20rocsparse_direction_iiiiii21rocsparse_index_base_PKT3_PKiS9_S4_PS5_PiSB_.num_vgpr, 46
	.set _ZN9rocsparseL44csr2gebsr_wavefront_per_row_multipass_kernelILi256ELi16ELi8ELi64E21rocsparse_complex_numIdEEEv20rocsparse_direction_iiiiii21rocsparse_index_base_PKT3_PKiS9_S4_PS5_PiSB_.num_agpr, 0
	.set _ZN9rocsparseL44csr2gebsr_wavefront_per_row_multipass_kernelILi256ELi16ELi8ELi64E21rocsparse_complex_numIdEEEv20rocsparse_direction_iiiiii21rocsparse_index_base_PKT3_PKiS9_S4_PS5_PiSB_.numbered_sgpr, 25
	.set _ZN9rocsparseL44csr2gebsr_wavefront_per_row_multipass_kernelILi256ELi16ELi8ELi64E21rocsparse_complex_numIdEEEv20rocsparse_direction_iiiiii21rocsparse_index_base_PKT3_PKiS9_S4_PS5_PiSB_.num_named_barrier, 0
	.set _ZN9rocsparseL44csr2gebsr_wavefront_per_row_multipass_kernelILi256ELi16ELi8ELi64E21rocsparse_complex_numIdEEEv20rocsparse_direction_iiiiii21rocsparse_index_base_PKT3_PKiS9_S4_PS5_PiSB_.private_seg_size, 0
	.set _ZN9rocsparseL44csr2gebsr_wavefront_per_row_multipass_kernelILi256ELi16ELi8ELi64E21rocsparse_complex_numIdEEEv20rocsparse_direction_iiiiii21rocsparse_index_base_PKT3_PKiS9_S4_PS5_PiSB_.uses_vcc, 1
	.set _ZN9rocsparseL44csr2gebsr_wavefront_per_row_multipass_kernelILi256ELi16ELi8ELi64E21rocsparse_complex_numIdEEEv20rocsparse_direction_iiiiii21rocsparse_index_base_PKT3_PKiS9_S4_PS5_PiSB_.uses_flat_scratch, 0
	.set _ZN9rocsparseL44csr2gebsr_wavefront_per_row_multipass_kernelILi256ELi16ELi8ELi64E21rocsparse_complex_numIdEEEv20rocsparse_direction_iiiiii21rocsparse_index_base_PKT3_PKiS9_S4_PS5_PiSB_.has_dyn_sized_stack, 0
	.set _ZN9rocsparseL44csr2gebsr_wavefront_per_row_multipass_kernelILi256ELi16ELi8ELi64E21rocsparse_complex_numIdEEEv20rocsparse_direction_iiiiii21rocsparse_index_base_PKT3_PKiS9_S4_PS5_PiSB_.has_recursion, 0
	.set _ZN9rocsparseL44csr2gebsr_wavefront_per_row_multipass_kernelILi256ELi16ELi8ELi64E21rocsparse_complex_numIdEEEv20rocsparse_direction_iiiiii21rocsparse_index_base_PKT3_PKiS9_S4_PS5_PiSB_.has_indirect_call, 0
	.section	.AMDGPU.csdata,"",@progbits
; Kernel info:
; codeLenInByte = 1664
; TotalNumSgprs: 27
; NumVgprs: 46
; ScratchSize: 0
; MemoryBound: 0
; FloatMode: 240
; IeeeMode: 1
; LDSByteSize: 8200 bytes/workgroup (compile time only)
; SGPRBlocks: 0
; VGPRBlocks: 2
; NumSGPRsForWavesPerEU: 27
; NumVGPRsForWavesPerEU: 46
; NamedBarCnt: 0
; Occupancy: 16
; WaveLimiterHint : 0
; COMPUTE_PGM_RSRC2:SCRATCH_EN: 0
; COMPUTE_PGM_RSRC2:USER_SGPR: 2
; COMPUTE_PGM_RSRC2:TRAP_HANDLER: 0
; COMPUTE_PGM_RSRC2:TGID_X_EN: 1
; COMPUTE_PGM_RSRC2:TGID_Y_EN: 0
; COMPUTE_PGM_RSRC2:TGID_Z_EN: 0
; COMPUTE_PGM_RSRC2:TIDIG_COMP_CNT: 0
	.section	.text._ZN9rocsparseL44csr2gebsr_wavefront_per_row_multipass_kernelILi256ELi16ELi8ELi32E21rocsparse_complex_numIdEEEv20rocsparse_direction_iiiiii21rocsparse_index_base_PKT3_PKiS9_S4_PS5_PiSB_,"axG",@progbits,_ZN9rocsparseL44csr2gebsr_wavefront_per_row_multipass_kernelILi256ELi16ELi8ELi32E21rocsparse_complex_numIdEEEv20rocsparse_direction_iiiiii21rocsparse_index_base_PKT3_PKiS9_S4_PS5_PiSB_,comdat
	.globl	_ZN9rocsparseL44csr2gebsr_wavefront_per_row_multipass_kernelILi256ELi16ELi8ELi32E21rocsparse_complex_numIdEEEv20rocsparse_direction_iiiiii21rocsparse_index_base_PKT3_PKiS9_S4_PS5_PiSB_ ; -- Begin function _ZN9rocsparseL44csr2gebsr_wavefront_per_row_multipass_kernelILi256ELi16ELi8ELi32E21rocsparse_complex_numIdEEEv20rocsparse_direction_iiiiii21rocsparse_index_base_PKT3_PKiS9_S4_PS5_PiSB_
	.p2align	8
	.type	_ZN9rocsparseL44csr2gebsr_wavefront_per_row_multipass_kernelILi256ELi16ELi8ELi32E21rocsparse_complex_numIdEEEv20rocsparse_direction_iiiiii21rocsparse_index_base_PKT3_PKiS9_S4_PS5_PiSB_,@function
_ZN9rocsparseL44csr2gebsr_wavefront_per_row_multipass_kernelILi256ELi16ELi8ELi32E21rocsparse_complex_numIdEEEv20rocsparse_direction_iiiiii21rocsparse_index_base_PKT3_PKiS9_S4_PS5_PiSB_: ; @_ZN9rocsparseL44csr2gebsr_wavefront_per_row_multipass_kernelILi256ELi16ELi8ELi32E21rocsparse_complex_numIdEEEv20rocsparse_direction_iiiiii21rocsparse_index_base_PKT3_PKiS9_S4_PS5_PiSB_
; %bb.0:
	s_clause 0x1
	s_load_b128 s[4:7], s[0:1], 0xc
	s_load_b64 s[14:15], s[0:1], 0x0
	s_bfe_u32 s2, ttmp6, 0x4000c
	s_and_b32 s3, ttmp6, 15
	s_add_co_i32 s2, s2, 1
	s_getreg_b32 s8, hwreg(HW_REG_IB_STS2, 6, 4)
	s_mul_i32 s2, ttmp9, s2
	v_dual_lshrrev_b32 v26, 5, v0 :: v_dual_mov_b32 v4, 0
	s_add_co_i32 s3, s3, s2
	s_cmp_eq_u32 s8, 0
	v_bfe_u32 v1, v0, 1, 4
	s_cselect_b32 s2, ttmp9, s3
	s_clause 0x1
	s_load_b32 s20, s[0:1], 0x1c
	s_load_b64 s[8:9], s[0:1], 0x28
	v_lshl_or_b32 v2, s2, 3, v26
	v_mov_b32_e32 v24, 0
	s_wait_kmcnt 0x0
	s_delay_alu instid0(VALU_DEP_2) | instskip(SKIP_1) | instid1(VALU_DEP_2)
	v_mad_u32 v3, v2, s6, v1
	v_cmp_gt_i32_e32 vcc_lo, s6, v1
	v_cmp_gt_i32_e64 s2, s15, v3
	s_and_b32 s2, vcc_lo, s2
	s_delay_alu instid0(SALU_CYCLE_1)
	s_and_saveexec_b32 s3, s2
	s_cbranch_execz .LBB209_2
; %bb.1:
	global_load_b32 v5, v3, s[8:9] scale_offset
	s_wait_loadcnt 0x0
	v_subrev_nc_u32_e32 v24, s20, v5
.LBB209_2:
	s_or_b32 exec_lo, exec_lo, s3
	v_mov_b32_e32 v27, 0
	s_and_saveexec_b32 s3, s2
	s_cbranch_execz .LBB209_4
; %bb.3:
	global_load_b32 v3, v3, s[8:9] offset:4 scale_offset
	s_wait_loadcnt 0x0
	v_subrev_nc_u32_e32 v27, s20, v3
.LBB209_4:
	s_or_b32 exec_lo, exec_lo, s3
	s_load_b32 s21, s[0:1], 0x38
	s_mov_b32 s3, exec_lo
	v_cmpx_gt_i32_e64 s4, v2
	s_cbranch_execz .LBB209_6
; %bb.5:
	s_load_b64 s[8:9], s[0:1], 0x48
	s_wait_kmcnt 0x0
	global_load_b32 v2, v2, s[8:9] scale_offset
	s_wait_loadcnt 0x0
	v_subrev_nc_u32_e32 v4, s21, v2
.LBB209_6:
	s_or_b32 exec_lo, exec_lo, s3
	s_cmp_lt_i32 s5, 1
	s_cbranch_scc1 .LBB209_38
; %bb.7:
	v_mbcnt_lo_u32_b32 v5, -1, 0
	s_clause 0x3
	s_load_b64 s[8:9], s[0:1], 0x50
	s_load_b64 s[2:3], s[0:1], 0x40
	;; [unrolled: 1-line block ×4, first 2 shown]
	v_dual_lshlrev_b32 v3, 7, v1 :: v_dual_bitop2_b32 v28, 1, v0 bitop3:0x40
	v_mul_lo_u32 v0, s7, v1
	v_dual_mov_b32 v7, 0 :: v_dual_bitop2_b32 v2, 1, v5 bitop3:0x14
	s_cmp_eq_u32 s14, 0
	s_delay_alu instid0(VALU_DEP_3)
	v_lshl_or_b32 v29, v26, 11, v3
	s_mov_b32 s15, 0
	s_wait_xcnt 0x0
	v_cmp_gt_i32_e64 s0, 32, v2
	s_mov_b32 s16, s7
	v_lshl_or_b32 v31, v5, 2, 4
	v_dual_mov_b32 v42, 1 :: v_dual_bitop2_b32 v41, -2, v28 bitop3:0x54
	v_dual_mov_b32 v44, 0 :: v_dual_cndmask_b32 v2, v5, v2, s0
	v_lshlrev_b32_e32 v6, 4, v1
	s_cselect_b32 s0, -1, 0
	s_cmp_lg_u32 s14, 0
	s_delay_alu instid0(VALU_DEP_2)
	v_dual_mov_b32 v3, v7 :: v_dual_lshlrev_b32 v30, 2, v2
	v_lshlrev_b32_e32 v2, 4, v28
	s_wait_kmcnt 0x0
	v_add_nc_u64_e32 v[8:9], s[2:3], v[6:7]
	v_dual_ashrrev_i32 v1, 31, v0 :: v_dual_bitop2_b32 v6, 16, v5 bitop3:0x14
	s_cselect_b32 s22, -1, 0
	s_mov_b32 s14, s6
	s_ashr_i32 s17, s7, 31
	s_delay_alu instid0(VALU_DEP_1)
	v_cmp_gt_i32_e64 s1, 32, v6
	v_xor_b32_e32 v10, 8, v5
	s_mul_u64 s[18:19], s[16:17], s[14:15]
	s_abs_i32 s16, s7
	v_or_b32_e32 v32, v29, v2
	v_cndmask_b32_e64 v6, v5, v6, s1
	v_cmp_gt_i32_e64 s1, 32, v10
	v_xor_b32_e32 v11, 4, v5
	v_lshl_add_u64 v[0:1], v[0:1], 4, s[2:3]
	s_cvt_f32_u32 s3, s16
	v_dual_cndmask_b32 v13, v5, v10, s1 :: v_dual_bitop2_b32 v39, 64, v32 bitop3:0x54
	s_delay_alu instid0(VALU_DEP_3) | instskip(SKIP_4) | instid1(VALU_DEP_3)
	v_cmp_gt_i32_e64 s1, 32, v11
	v_xor_b32_e32 v12, 2, v5
	v_or_b32_e32 v40, 0x60, v32
	s_mov_b32 s23, s15
	v_dual_mov_b32 v15, v7 :: v_dual_cndmask_b32 v14, v5, v11, s1
	v_cmp_gt_i32_e64 s1, 32, v12
	v_add_nc_u64_e32 v[10:11], v[0:1], v[2:3]
	v_rcp_iflag_f32_e32 v1, s3
	v_dual_lshlrev_b32 v34, 2, v13 :: v_dual_bitop2_b32 v0, 2, v28 bitop3:0x54
	s_delay_alu instid0(VALU_DEP_3) | instskip(SKIP_3) | instid1(TRANS32_DEP_1)
	v_dual_lshlrev_b32 v35, 2, v14 :: v_dual_cndmask_b32 v5, v5, v12, s1
	v_lshlrev_b32_e32 v33, 2, v6
	v_mul_lo_u32 v12, v28, s6
	s_lshl_b32 s6, s6, 1
	v_readfirstlane_b32 s14, v1
	v_mov_b32_e32 v13, v7
	v_cmp_gt_u32_e64 s2, s7, v0
	v_or_b32_e32 v0, 4, v28
	v_cmp_gt_u32_e64 s1, s7, v28
	s_mul_f32 s14, s14, 0x4f7ffffe
	v_dual_mov_b32 v17, v7 :: v_dual_mov_b32 v19, v7
	v_cmp_gt_u32_e64 s3, s7, v0
	v_add_nc_u32_e32 v14, s6, v12
	v_or_b32_e32 v38, 32, v32
	v_or_b32_e32 v0, 6, v28
	s_cvt_u32_f32 s14, s14
	v_dual_mov_b32 v37, 0x7c :: v_dual_lshlrev_b32 v36, 2, v5
	v_add_nc_u32_e32 v16, s6, v14
	s_delay_alu instid0(VALU_DEP_3) | instskip(SKIP_1) | instid1(VALU_DEP_3)
	v_cmp_gt_u32_e64 s4, s7, v0
	v_dual_mov_b32 v0, v7 :: v_dual_mov_b32 v1, v7
	v_dual_mov_b32 v2, v7 :: v_dual_add_nc_u32 v18, s6, v16
	s_and_b32 s6, s1, vcc_lo
	s_sub_co_i32 s1, 0, s16
	s_and_b32 s2, vcc_lo, s2
	s_mul_i32 s1, s1, s14
	s_and_b32 s3, vcc_lo, s3
	s_mul_hi_u32 s1, s14, s1
	s_and_b32 s4, vcc_lo, s4
	s_add_co_i32 s14, s14, s1
	s_branch .LBB209_10
.LBB209_8:                              ;   in Loop: Header=BB209_10 Depth=1
	s_wait_xcnt 0x0
	s_or_b32 exec_lo, exec_lo, s24
	v_mov_b32_e32 v5, 1
.LBB209_9:                              ;   in Loop: Header=BB209_10 Depth=1
	s_or_b32 exec_lo, exec_lo, s1
	ds_bpermute_b32 v6, v33, v43
	s_wait_storecnt_dscnt 0x0
	v_dual_add_nc_u32 v4, v5, v4 :: v_dual_min_i32 v6, v6, v43
	ds_bpermute_b32 v20, v34, v6
	s_wait_dscnt 0x0
	v_min_i32_e32 v6, v20, v6
	ds_bpermute_b32 v20, v35, v6
	s_wait_dscnt 0x0
	v_min_i32_e32 v6, v20, v6
	;; [unrolled: 3-line block ×4, first 2 shown]
	ds_bpermute_b32 v44, v37, v6
	s_wait_dscnt 0x0
	v_cmp_le_i32_e32 vcc_lo, s5, v44
	s_or_b32 s23, vcc_lo, s23
	s_delay_alu instid0(SALU_CYCLE_1)
	s_and_not1_b32 exec_lo, exec_lo, s23
	s_cbranch_execz .LBB209_38
.LBB209_10:                             ; =>This Loop Header: Depth=1
                                        ;     Child Loop BB209_11 Depth 2
                                        ;     Child Loop BB209_15 Depth 2
	v_dual_mov_b32 v5, v32 :: v_dual_mov_b32 v6, v41
	s_mov_b32 s1, 0
	ds_store_b8 v26, v7 offset:16384
.LBB209_11:                             ;   Parent Loop BB209_10 Depth=1
                                        ; =>  This Inner Loop Header: Depth=2
	v_add_nc_u32_e32 v6, 2, v6
	ds_store_b128 v5, v[0:3]
	v_add_nc_u32_e32 v5, 32, v5
	v_cmp_lt_u32_e32 vcc_lo, 5, v6
	s_or_b32 s1, vcc_lo, s1
	s_delay_alu instid0(SALU_CYCLE_1)
	s_and_not1_b32 exec_lo, exec_lo, s1
	s_cbranch_execnz .LBB209_11
; %bb.12:                               ;   in Loop: Header=BB209_10 Depth=1
	s_or_b32 exec_lo, exec_lo, s1
	v_dual_mov_b32 v43, s5 :: v_dual_add_nc_u32 v20, v24, v28
	v_mov_b32_e32 v21, v27
	s_mov_b32 s24, exec_lo
	s_wait_dscnt 0x0
	s_delay_alu instid0(VALU_DEP_2)
	v_cmpx_lt_i32_e64 v20, v27
	s_cbranch_execz .LBB209_20
; %bb.13:                               ;   in Loop: Header=BB209_10 Depth=1
	v_mul_lo_u32 v5, v44, s7
	v_dual_ashrrev_i32 v21, 31, v20 :: v_dual_mov_b32 v43, s5
	s_mov_b32 s25, 0
	s_delay_alu instid0(VALU_DEP_1)
	v_lshl_add_u64 v[22:23], v[20:21], 2, s[12:13]
	v_lshl_add_u64 v[24:25], v[20:21], 4, s[10:11]
	v_mov_b32_e32 v21, v27
	s_branch .LBB209_15
.LBB209_14:                             ;   in Loop: Header=BB209_15 Depth=2
	s_wait_xcnt 0x0
	s_or_b32 exec_lo, exec_lo, s1
	v_add_nc_u32_e32 v20, 2, v20
	s_xor_b32 s26, vcc_lo, -1
	v_add_nc_u64_e32 v[22:23], 8, v[22:23]
	v_add_nc_u64_e32 v[24:25], 32, v[24:25]
	s_delay_alu instid0(VALU_DEP_3) | instskip(SKIP_1) | instid1(SALU_CYCLE_1)
	v_cmp_ge_i32_e64 s1, v20, v27
	s_or_b32 s1, s26, s1
	s_and_b32 s1, exec_lo, s1
	s_delay_alu instid0(SALU_CYCLE_1) | instskip(NEXT) | instid1(SALU_CYCLE_1)
	s_or_b32 s25, s1, s25
	s_and_not1_b32 exec_lo, exec_lo, s25
	s_cbranch_execz .LBB209_19
.LBB209_15:                             ;   Parent Loop BB209_10 Depth=1
                                        ; =>  This Inner Loop Header: Depth=2
	global_load_b32 v6, v[22:23], off
	s_wait_loadcnt 0x0
	v_subrev_nc_u32_e32 v45, s20, v6
	s_delay_alu instid0(VALU_DEP_1) | instskip(NEXT) | instid1(VALU_DEP_1)
	v_sub_nc_u32_e32 v6, 0, v45
	v_max_i32_e32 v6, v45, v6
	s_delay_alu instid0(VALU_DEP_1) | instskip(NEXT) | instid1(VALU_DEP_1)
	v_mul_u64_e32 v[46:47], s[14:15], v[6:7]
	v_mul_lo_u32 v46, v47, s16
	s_delay_alu instid0(VALU_DEP_1) | instskip(NEXT) | instid1(VALU_DEP_1)
	v_dual_sub_nc_u32 v6, v6, v46 :: v_dual_add_nc_u32 v46, 1, v47
	v_cmp_le_u32_e32 vcc_lo, s16, v6
	s_delay_alu instid0(VALU_DEP_2) | instskip(SKIP_1) | instid1(VALU_DEP_1)
	v_cndmask_b32_e32 v46, v47, v46, vcc_lo
	v_subrev_nc_u32_e32 v48, s16, v6
	v_dual_cndmask_b32 v6, v6, v48 :: v_dual_ashrrev_i32 v47, 31, v45
	s_delay_alu instid0(VALU_DEP_3) | instskip(NEXT) | instid1(VALU_DEP_2)
	v_add_nc_u32_e32 v48, 1, v46
	v_cmp_le_u32_e32 vcc_lo, s16, v6
	s_delay_alu instid0(VALU_DEP_2) | instskip(NEXT) | instid1(VALU_DEP_1)
	v_dual_cndmask_b32 v6, v46, v48, vcc_lo :: v_dual_bitop2_b32 v47, s17, v47 bitop3:0x14
	v_xor_b32_e32 v6, v6, v47
	s_delay_alu instid0(VALU_DEP_1) | instskip(NEXT) | instid1(VALU_DEP_1)
	v_dual_sub_nc_u32 v46, v6, v47 :: v_dual_mov_b32 v6, v21
	v_cmp_ne_u32_e64 s1, v46, v44
	v_cmp_eq_u32_e32 vcc_lo, v46, v44
	s_wait_xcnt 0x0
	s_and_saveexec_b32 s26, s1
	s_delay_alu instid0(SALU_CYCLE_1)
	s_xor_b32 s1, exec_lo, s26
; %bb.16:                               ;   in Loop: Header=BB209_15 Depth=2
	v_min_i32_e32 v43, v46, v43
                                        ; implicit-def: $vgpr45
                                        ; implicit-def: $vgpr6
; %bb.17:                               ;   in Loop: Header=BB209_15 Depth=2
	s_or_saveexec_b32 s1, s1
	v_mov_b32_e32 v21, v20
	s_xor_b32 exec_lo, exec_lo, s1
	s_cbranch_execz .LBB209_14
; %bb.18:                               ;   in Loop: Header=BB209_15 Depth=2
	global_load_b128 v[46:49], v[24:25], off
	v_sub_nc_u32_e32 v21, v45, v5
	s_delay_alu instid0(VALU_DEP_1)
	v_lshl_add_u32 v45, v21, 4, v29
	v_mov_b32_e32 v21, v6
	ds_store_b8 v26, v42 offset:16384
	s_wait_loadcnt 0x0
	ds_store_2addr_b64 v45, v[46:47], v[48:49] offset1:1
	s_branch .LBB209_14
.LBB209_19:                             ;   in Loop: Header=BB209_10 Depth=1
	s_or_b32 exec_lo, exec_lo, s25
.LBB209_20:                             ;   in Loop: Header=BB209_10 Depth=1
	s_delay_alu instid0(SALU_CYCLE_1)
	s_or_b32 exec_lo, exec_lo, s24
	ds_bpermute_b32 v5, v30, v21
	s_wait_dscnt 0x0
	ds_load_u8 v6, v26 offset:16384
	v_min_i32_e32 v5, v5, v21
	ds_bpermute_b32 v24, v31, v5
	s_wait_dscnt 0x1
	v_and_b32_e32 v5, 1, v6
	s_delay_alu instid0(VALU_DEP_1)
	v_cmp_eq_u32_e32 vcc_lo, 1, v5
	v_mov_b32_e32 v5, 0
	s_and_saveexec_b32 s1, vcc_lo
	s_cbranch_execz .LBB209_9
; %bb.21:                               ;   in Loop: Header=BB209_10 Depth=1
	v_ashrrev_i32_e32 v5, 31, v4
	s_delay_alu instid0(VALU_DEP_1) | instskip(SKIP_3) | instid1(VALU_DEP_1)
	v_mul_u64_e32 v[20:21], s[18:19], v[4:5]
	v_add_nc_u32_e32 v5, s21, v44
	global_store_b32 v4, v5, s[8:9] scale_offset
	v_lshlrev_b64_e32 v[20:21], 4, v[20:21]
	v_add_nc_u64_e32 v[22:23], v[8:9], v[20:21]
	v_add_nc_u64_e32 v[20:21], v[10:11], v[20:21]
	s_wait_xcnt 0x0
	s_and_saveexec_b32 s24, s6
	s_cbranch_execz .LBB209_23
; %bb.22:                               ;   in Loop: Header=BB209_10 Depth=1
	ds_load_2addr_b64 v[44:47], v32 offset1:1
	v_lshl_add_u64 v[48:49], v[12:13], 4, v[22:23]
	s_delay_alu instid0(VALU_DEP_1)
	v_dual_cndmask_b32 v49, v49, v21, s0 :: v_dual_cndmask_b32 v48, v48, v20, s0
	s_wait_dscnt 0x0
	global_store_b128 v[48:49], v[44:47], off
.LBB209_23:                             ;   in Loop: Header=BB209_10 Depth=1
	s_wait_xcnt 0x0
	s_or_b32 exec_lo, exec_lo, s24
	s_and_saveexec_b32 s24, s2
	s_cbranch_execz .LBB209_28
; %bb.24:                               ;   in Loop: Header=BB209_10 Depth=1
	s_and_not1_b32 vcc_lo, exec_lo, s22
	s_mov_b32 s25, -1
	s_cbranch_vccnz .LBB209_26
; %bb.25:                               ;   in Loop: Header=BB209_10 Depth=1
	ds_load_2addr_b64 v[44:47], v38 offset1:1
	v_lshl_add_u64 v[48:49], v[14:15], 4, v[22:23]
	s_mov_b32 s25, 0
	s_wait_dscnt 0x0
	global_store_b128 v[48:49], v[44:47], off
.LBB209_26:                             ;   in Loop: Header=BB209_10 Depth=1
	s_and_not1_b32 vcc_lo, exec_lo, s25
	s_cbranch_vccnz .LBB209_28
; %bb.27:                               ;   in Loop: Header=BB209_10 Depth=1
	s_wait_xcnt 0x0
	ds_load_2addr_b64 v[44:47], v38 offset1:1
	s_wait_dscnt 0x0
	global_store_b128 v[20:21], v[44:47], off offset:32
.LBB209_28:                             ;   in Loop: Header=BB209_10 Depth=1
	s_wait_xcnt 0x0
	s_or_b32 exec_lo, exec_lo, s24
	s_and_saveexec_b32 s24, s3
	s_cbranch_execz .LBB209_33
; %bb.29:                               ;   in Loop: Header=BB209_10 Depth=1
	s_and_not1_b32 vcc_lo, exec_lo, s22
	s_mov_b32 s25, -1
	s_cbranch_vccnz .LBB209_31
; %bb.30:                               ;   in Loop: Header=BB209_10 Depth=1
	ds_load_2addr_b64 v[44:47], v39 offset1:1
	v_lshl_add_u64 v[48:49], v[16:17], 4, v[22:23]
	s_mov_b32 s25, 0
	s_wait_dscnt 0x0
	global_store_b128 v[48:49], v[44:47], off
.LBB209_31:                             ;   in Loop: Header=BB209_10 Depth=1
	s_and_not1_b32 vcc_lo, exec_lo, s25
	s_cbranch_vccnz .LBB209_33
; %bb.32:                               ;   in Loop: Header=BB209_10 Depth=1
	s_wait_xcnt 0x0
	ds_load_2addr_b64 v[44:47], v39 offset1:1
	s_wait_dscnt 0x0
	global_store_b128 v[20:21], v[44:47], off offset:64
.LBB209_33:                             ;   in Loop: Header=BB209_10 Depth=1
	s_wait_xcnt 0x0
	s_or_b32 exec_lo, exec_lo, s24
	s_and_saveexec_b32 s24, s4
	s_cbranch_execz .LBB209_8
; %bb.34:                               ;   in Loop: Header=BB209_10 Depth=1
	s_and_not1_b32 vcc_lo, exec_lo, s22
	s_mov_b32 s25, -1
	s_cbranch_vccnz .LBB209_36
; %bb.35:                               ;   in Loop: Header=BB209_10 Depth=1
	ds_load_2addr_b64 v[44:47], v40 offset1:1
	v_lshl_add_u64 v[22:23], v[18:19], 4, v[22:23]
	s_mov_b32 s25, 0
	s_wait_dscnt 0x0
	global_store_b128 v[22:23], v[44:47], off
.LBB209_36:                             ;   in Loop: Header=BB209_10 Depth=1
	s_and_not1_b32 vcc_lo, exec_lo, s25
	s_cbranch_vccnz .LBB209_8
; %bb.37:                               ;   in Loop: Header=BB209_10 Depth=1
	s_wait_xcnt 0x0
	ds_load_2addr_b64 v[44:47], v40 offset1:1
	s_wait_dscnt 0x0
	global_store_b128 v[20:21], v[44:47], off offset:96
	s_branch .LBB209_8
.LBB209_38:
	s_endpgm
	.section	.rodata,"a",@progbits
	.p2align	6, 0x0
	.amdhsa_kernel _ZN9rocsparseL44csr2gebsr_wavefront_per_row_multipass_kernelILi256ELi16ELi8ELi32E21rocsparse_complex_numIdEEEv20rocsparse_direction_iiiiii21rocsparse_index_base_PKT3_PKiS9_S4_PS5_PiSB_
		.amdhsa_group_segment_fixed_size 16392
		.amdhsa_private_segment_fixed_size 0
		.amdhsa_kernarg_size 88
		.amdhsa_user_sgpr_count 2
		.amdhsa_user_sgpr_dispatch_ptr 0
		.amdhsa_user_sgpr_queue_ptr 0
		.amdhsa_user_sgpr_kernarg_segment_ptr 1
		.amdhsa_user_sgpr_dispatch_id 0
		.amdhsa_user_sgpr_kernarg_preload_length 0
		.amdhsa_user_sgpr_kernarg_preload_offset 0
		.amdhsa_user_sgpr_private_segment_size 0
		.amdhsa_wavefront_size32 1
		.amdhsa_uses_dynamic_stack 0
		.amdhsa_enable_private_segment 0
		.amdhsa_system_sgpr_workgroup_id_x 1
		.amdhsa_system_sgpr_workgroup_id_y 0
		.amdhsa_system_sgpr_workgroup_id_z 0
		.amdhsa_system_sgpr_workgroup_info 0
		.amdhsa_system_vgpr_workitem_id 0
		.amdhsa_next_free_vgpr 50
		.amdhsa_next_free_sgpr 27
		.amdhsa_named_barrier_count 0
		.amdhsa_reserve_vcc 1
		.amdhsa_float_round_mode_32 0
		.amdhsa_float_round_mode_16_64 0
		.amdhsa_float_denorm_mode_32 3
		.amdhsa_float_denorm_mode_16_64 3
		.amdhsa_fp16_overflow 0
		.amdhsa_memory_ordered 1
		.amdhsa_forward_progress 1
		.amdhsa_inst_pref_size 15
		.amdhsa_round_robin_scheduling 0
		.amdhsa_exception_fp_ieee_invalid_op 0
		.amdhsa_exception_fp_denorm_src 0
		.amdhsa_exception_fp_ieee_div_zero 0
		.amdhsa_exception_fp_ieee_overflow 0
		.amdhsa_exception_fp_ieee_underflow 0
		.amdhsa_exception_fp_ieee_inexact 0
		.amdhsa_exception_int_div_zero 0
	.end_amdhsa_kernel
	.section	.text._ZN9rocsparseL44csr2gebsr_wavefront_per_row_multipass_kernelILi256ELi16ELi8ELi32E21rocsparse_complex_numIdEEEv20rocsparse_direction_iiiiii21rocsparse_index_base_PKT3_PKiS9_S4_PS5_PiSB_,"axG",@progbits,_ZN9rocsparseL44csr2gebsr_wavefront_per_row_multipass_kernelILi256ELi16ELi8ELi32E21rocsparse_complex_numIdEEEv20rocsparse_direction_iiiiii21rocsparse_index_base_PKT3_PKiS9_S4_PS5_PiSB_,comdat
.Lfunc_end209:
	.size	_ZN9rocsparseL44csr2gebsr_wavefront_per_row_multipass_kernelILi256ELi16ELi8ELi32E21rocsparse_complex_numIdEEEv20rocsparse_direction_iiiiii21rocsparse_index_base_PKT3_PKiS9_S4_PS5_PiSB_, .Lfunc_end209-_ZN9rocsparseL44csr2gebsr_wavefront_per_row_multipass_kernelILi256ELi16ELi8ELi32E21rocsparse_complex_numIdEEEv20rocsparse_direction_iiiiii21rocsparse_index_base_PKT3_PKiS9_S4_PS5_PiSB_
                                        ; -- End function
	.set _ZN9rocsparseL44csr2gebsr_wavefront_per_row_multipass_kernelILi256ELi16ELi8ELi32E21rocsparse_complex_numIdEEEv20rocsparse_direction_iiiiii21rocsparse_index_base_PKT3_PKiS9_S4_PS5_PiSB_.num_vgpr, 50
	.set _ZN9rocsparseL44csr2gebsr_wavefront_per_row_multipass_kernelILi256ELi16ELi8ELi32E21rocsparse_complex_numIdEEEv20rocsparse_direction_iiiiii21rocsparse_index_base_PKT3_PKiS9_S4_PS5_PiSB_.num_agpr, 0
	.set _ZN9rocsparseL44csr2gebsr_wavefront_per_row_multipass_kernelILi256ELi16ELi8ELi32E21rocsparse_complex_numIdEEEv20rocsparse_direction_iiiiii21rocsparse_index_base_PKT3_PKiS9_S4_PS5_PiSB_.numbered_sgpr, 27
	.set _ZN9rocsparseL44csr2gebsr_wavefront_per_row_multipass_kernelILi256ELi16ELi8ELi32E21rocsparse_complex_numIdEEEv20rocsparse_direction_iiiiii21rocsparse_index_base_PKT3_PKiS9_S4_PS5_PiSB_.num_named_barrier, 0
	.set _ZN9rocsparseL44csr2gebsr_wavefront_per_row_multipass_kernelILi256ELi16ELi8ELi32E21rocsparse_complex_numIdEEEv20rocsparse_direction_iiiiii21rocsparse_index_base_PKT3_PKiS9_S4_PS5_PiSB_.private_seg_size, 0
	.set _ZN9rocsparseL44csr2gebsr_wavefront_per_row_multipass_kernelILi256ELi16ELi8ELi32E21rocsparse_complex_numIdEEEv20rocsparse_direction_iiiiii21rocsparse_index_base_PKT3_PKiS9_S4_PS5_PiSB_.uses_vcc, 1
	.set _ZN9rocsparseL44csr2gebsr_wavefront_per_row_multipass_kernelILi256ELi16ELi8ELi32E21rocsparse_complex_numIdEEEv20rocsparse_direction_iiiiii21rocsparse_index_base_PKT3_PKiS9_S4_PS5_PiSB_.uses_flat_scratch, 0
	.set _ZN9rocsparseL44csr2gebsr_wavefront_per_row_multipass_kernelILi256ELi16ELi8ELi32E21rocsparse_complex_numIdEEEv20rocsparse_direction_iiiiii21rocsparse_index_base_PKT3_PKiS9_S4_PS5_PiSB_.has_dyn_sized_stack, 0
	.set _ZN9rocsparseL44csr2gebsr_wavefront_per_row_multipass_kernelILi256ELi16ELi8ELi32E21rocsparse_complex_numIdEEEv20rocsparse_direction_iiiiii21rocsparse_index_base_PKT3_PKiS9_S4_PS5_PiSB_.has_recursion, 0
	.set _ZN9rocsparseL44csr2gebsr_wavefront_per_row_multipass_kernelILi256ELi16ELi8ELi32E21rocsparse_complex_numIdEEEv20rocsparse_direction_iiiiii21rocsparse_index_base_PKT3_PKiS9_S4_PS5_PiSB_.has_indirect_call, 0
	.section	.AMDGPU.csdata,"",@progbits
; Kernel info:
; codeLenInByte = 1876
; TotalNumSgprs: 29
; NumVgprs: 50
; ScratchSize: 0
; MemoryBound: 0
; FloatMode: 240
; IeeeMode: 1
; LDSByteSize: 16392 bytes/workgroup (compile time only)
; SGPRBlocks: 0
; VGPRBlocks: 3
; NumSGPRsForWavesPerEU: 29
; NumVGPRsForWavesPerEU: 50
; NamedBarCnt: 0
; Occupancy: 16
; WaveLimiterHint : 0
; COMPUTE_PGM_RSRC2:SCRATCH_EN: 0
; COMPUTE_PGM_RSRC2:USER_SGPR: 2
; COMPUTE_PGM_RSRC2:TRAP_HANDLER: 0
; COMPUTE_PGM_RSRC2:TGID_X_EN: 1
; COMPUTE_PGM_RSRC2:TGID_Y_EN: 0
; COMPUTE_PGM_RSRC2:TGID_Z_EN: 0
; COMPUTE_PGM_RSRC2:TIDIG_COMP_CNT: 0
	.section	.text._ZN9rocsparseL44csr2gebsr_wavefront_per_row_multipass_kernelILi256ELi16ELi16ELi64E21rocsparse_complex_numIdEEEv20rocsparse_direction_iiiiii21rocsparse_index_base_PKT3_PKiS9_S4_PS5_PiSB_,"axG",@progbits,_ZN9rocsparseL44csr2gebsr_wavefront_per_row_multipass_kernelILi256ELi16ELi16ELi64E21rocsparse_complex_numIdEEEv20rocsparse_direction_iiiiii21rocsparse_index_base_PKT3_PKiS9_S4_PS5_PiSB_,comdat
	.globl	_ZN9rocsparseL44csr2gebsr_wavefront_per_row_multipass_kernelILi256ELi16ELi16ELi64E21rocsparse_complex_numIdEEEv20rocsparse_direction_iiiiii21rocsparse_index_base_PKT3_PKiS9_S4_PS5_PiSB_ ; -- Begin function _ZN9rocsparseL44csr2gebsr_wavefront_per_row_multipass_kernelILi256ELi16ELi16ELi64E21rocsparse_complex_numIdEEEv20rocsparse_direction_iiiiii21rocsparse_index_base_PKT3_PKiS9_S4_PS5_PiSB_
	.p2align	8
	.type	_ZN9rocsparseL44csr2gebsr_wavefront_per_row_multipass_kernelILi256ELi16ELi16ELi64E21rocsparse_complex_numIdEEEv20rocsparse_direction_iiiiii21rocsparse_index_base_PKT3_PKiS9_S4_PS5_PiSB_,@function
_ZN9rocsparseL44csr2gebsr_wavefront_per_row_multipass_kernelILi256ELi16ELi16ELi64E21rocsparse_complex_numIdEEEv20rocsparse_direction_iiiiii21rocsparse_index_base_PKT3_PKiS9_S4_PS5_PiSB_: ; @_ZN9rocsparseL44csr2gebsr_wavefront_per_row_multipass_kernelILi256ELi16ELi16ELi64E21rocsparse_complex_numIdEEEv20rocsparse_direction_iiiiii21rocsparse_index_base_PKT3_PKiS9_S4_PS5_PiSB_
; %bb.0:
	s_clause 0x1
	s_load_b128 s[4:7], s[0:1], 0xc
	s_load_b64 s[14:15], s[0:1], 0x0
	s_bfe_u32 s2, ttmp6, 0x4000c
	s_and_b32 s3, ttmp6, 15
	s_add_co_i32 s2, s2, 1
	s_getreg_b32 s8, hwreg(HW_REG_IB_STS2, 6, 4)
	s_mul_i32 s2, ttmp9, s2
	v_dual_lshrrev_b32 v26, 6, v0 :: v_dual_mov_b32 v4, 0
	s_add_co_i32 s3, s3, s2
	s_cmp_eq_u32 s8, 0
	v_bfe_u32 v1, v0, 2, 4
	s_cselect_b32 s2, ttmp9, s3
	s_clause 0x1
	s_load_b32 s20, s[0:1], 0x1c
	s_load_b64 s[8:9], s[0:1], 0x28
	v_lshl_or_b32 v2, s2, 2, v26
	v_mov_b32_e32 v24, 0
	s_wait_kmcnt 0x0
	s_delay_alu instid0(VALU_DEP_2) | instskip(SKIP_1) | instid1(VALU_DEP_2)
	v_mad_u32 v3, v2, s6, v1
	v_cmp_gt_i32_e32 vcc_lo, s6, v1
	v_cmp_gt_i32_e64 s2, s15, v3
	s_and_b32 s2, vcc_lo, s2
	s_delay_alu instid0(SALU_CYCLE_1)
	s_and_saveexec_b32 s3, s2
	s_cbranch_execz .LBB210_2
; %bb.1:
	global_load_b32 v5, v3, s[8:9] scale_offset
	s_wait_loadcnt 0x0
	v_subrev_nc_u32_e32 v24, s20, v5
.LBB210_2:
	s_or_b32 exec_lo, exec_lo, s3
	v_mov_b32_e32 v27, 0
	s_and_saveexec_b32 s3, s2
	s_cbranch_execz .LBB210_4
; %bb.3:
	global_load_b32 v3, v3, s[8:9] offset:4 scale_offset
	s_wait_loadcnt 0x0
	v_subrev_nc_u32_e32 v27, s20, v3
.LBB210_4:
	s_or_b32 exec_lo, exec_lo, s3
	s_load_b32 s21, s[0:1], 0x38
	s_mov_b32 s3, exec_lo
	v_cmpx_gt_i32_e64 s4, v2
	s_cbranch_execz .LBB210_6
; %bb.5:
	s_load_b64 s[8:9], s[0:1], 0x48
	s_wait_kmcnt 0x0
	global_load_b32 v2, v2, s[8:9] scale_offset
	s_wait_loadcnt 0x0
	v_subrev_nc_u32_e32 v4, s21, v2
.LBB210_6:
	s_or_b32 exec_lo, exec_lo, s3
	s_cmp_lt_i32 s5, 1
	s_cbranch_scc1 .LBB210_38
; %bb.7:
	v_mbcnt_lo_u32_b32 v5, -1, 0
	s_clause 0x3
	s_load_b64 s[8:9], s[0:1], 0x50
	s_load_b64 s[2:3], s[0:1], 0x40
	;; [unrolled: 1-line block ×4, first 2 shown]
	v_dual_lshlrev_b32 v6, 8, v1 :: v_dual_bitop2_b32 v28, 3, v0 bitop3:0x40
	v_mul_lo_u32 v0, s7, v1
	v_xor_b32_e32 v3, 1, v5
	v_xor_b32_e32 v2, 2, v5
	s_delay_alu instid0(VALU_DEP_4)
	v_lshl_or_b32 v29, v26, 12, v6
	v_dual_mov_b32 v7, 0 :: v_dual_bitop2_b32 v10, 16, v5 bitop3:0x14
	v_xor_b32_e32 v12, 4, v5
	s_wait_xcnt 0x0
	v_cmp_gt_i32_e64 s0, 32, v2
	v_xor_b32_e32 v11, 8, v5
	s_cmp_eq_u32 s14, 0
	s_mov_b32 s15, 0
	s_mov_b32 s16, s7
	v_cndmask_b32_e64 v2, v5, v2, s0
	v_cmp_gt_i32_e64 s0, 32, v3
	v_lshl_or_b32 v32, v5, 2, 12
	v_bfrev_b32_e32 v38, 0.5
	v_dual_lshlrev_b32 v6, 4, v1 :: v_dual_ashrrev_i32 v1, 31, v0
	s_delay_alu instid0(VALU_DEP_4) | instskip(SKIP_2) | instid1(VALU_DEP_3)
	v_dual_cndmask_b32 v3, v5, v3, s0 :: v_dual_lshlrev_b32 v30, 2, v2
	v_lshlrev_b32_e32 v2, 4, v28
	s_wait_kmcnt 0x0
	v_add_nc_u64_e32 v[8:9], s[2:3], v[6:7]
	v_or_b32_e32 v6, 32, v5
	s_cselect_b32 s0, -1, 0
	s_cmp_lg_u32 s14, 0
	s_mov_b32 s14, s6
	s_cselect_b32 s22, -1, 0
	v_cmp_gt_i32_e64 s1, 32, v6
	s_ashr_i32 s17, s7, 31
	v_lshlrev_b32_e32 v31, 2, v3
	s_mul_u64 s[18:19], s[16:17], s[14:15]
	s_abs_i32 s16, s7
	v_cndmask_b32_e64 v6, v5, v6, s1
	v_cmp_gt_i32_e64 s1, 32, v10
	v_dual_mov_b32 v3, v7 :: v_dual_bitop2_b32 v33, v29, v2 bitop3:0x54
	v_lshl_add_u64 v[0:1], v[0:1], 4, s[2:3]
	s_cvt_f32_u32 s3, s16
	v_cndmask_b32_e64 v13, v5, v10, s1
	v_cmp_gt_i32_e64 s1, 32, v11
	v_lshlrev_b32_e32 v34, 2, v6
	v_or_b32_e32 v40, 0x80, v33
	v_or_b32_e32 v41, 0xc0, v33
	s_delay_alu instid0(VALU_DEP_4) | instskip(SKIP_4) | instid1(VALU_DEP_3)
	v_dual_lshlrev_b32 v35, 2, v13 :: v_dual_cndmask_b32 v14, v5, v11, s1
	v_cmp_gt_i32_e64 s1, 32, v12
	v_add_nc_u64_e32 v[10:11], v[0:1], v[2:3]
	v_rcp_iflag_f32_e32 v1, s3
	v_dual_mov_b32 v13, v7 :: v_dual_bitop2_b32 v0, 4, v28 bitop3:0x54
	v_cndmask_b32_e64 v5, v5, v12, s1
	v_mul_lo_u32 v12, v28, s6
	s_lshl_b32 s6, s6, 2
	v_lshlrev_b32_e32 v36, 2, v14
	s_delay_alu instid0(TRANS32_DEP_1)
	v_readfirstlane_b32 s14, v1
	v_cmp_gt_u32_e64 s2, s7, v0
	v_dual_mov_b32 v15, v7 :: v_dual_bitop2_b32 v0, 8, v28 bitop3:0x54
	v_or_b32_e32 v39, 64, v33
	s_mul_f32 s14, s14, 0x4f7ffffe
	v_cmp_gt_u32_e64 s1, s7, v28
	s_delay_alu instid0(VALU_DEP_3) | instskip(SKIP_4) | instid1(VALU_DEP_3)
	v_cmp_gt_u32_e64 s3, s7, v0
	v_add_nc_u32_e32 v14, s6, v12
	v_or_b32_e32 v0, 12, v28
	s_cvt_u32_f32 s14, s14
	v_dual_lshlrev_b32 v37, 2, v5 :: v_dual_mov_b32 v19, v7
	v_dual_add_nc_u32 v16, s6, v14 :: v_dual_bitop2_b32 v42, -4, v28 bitop3:0x54
	v_mov_b32_e32 v17, v7
	v_cmp_gt_u32_e64 s4, s7, v0
	v_dual_mov_b32 v0, v7 :: v_dual_mov_b32 v1, v7
	s_delay_alu instid0(VALU_DEP_4)
	v_add_nc_u32_e32 v18, s6, v16
	s_and_b32 s6, s1, vcc_lo
	s_sub_co_i32 s1, 0, s16
	v_dual_mov_b32 v2, v7 :: v_dual_mov_b32 v43, 1
	s_mul_i32 s1, s1, s14
	v_mov_b32_e32 v45, 0
	s_mul_hi_u32 s1, s14, s1
	s_and_b32 s2, vcc_lo, s2
	s_and_b32 s3, vcc_lo, s3
	s_and_b32 s4, vcc_lo, s4
	s_add_co_i32 s14, s14, s1
	s_mov_b32 s23, s15
	s_branch .LBB210_10
.LBB210_8:                              ;   in Loop: Header=BB210_10 Depth=1
	s_wait_xcnt 0x0
	s_or_b32 exec_lo, exec_lo, s24
	v_mov_b32_e32 v5, 1
.LBB210_9:                              ;   in Loop: Header=BB210_10 Depth=1
	s_or_b32 exec_lo, exec_lo, s1
	ds_bpermute_b32 v6, v34, v44
	s_wait_storecnt_dscnt 0x0
	v_add_nc_u32_e32 v4, v5, v4
	v_min_i32_e32 v6, v6, v44
	ds_bpermute_b32 v20, v35, v6
	s_wait_dscnt 0x0
	v_min_i32_e32 v6, v20, v6
	ds_bpermute_b32 v20, v36, v6
	s_wait_dscnt 0x0
	;; [unrolled: 3-line block ×6, first 2 shown]
	v_cmp_le_i32_e32 vcc_lo, s5, v45
	s_or_b32 s23, vcc_lo, s23
	s_delay_alu instid0(SALU_CYCLE_1)
	s_and_not1_b32 exec_lo, exec_lo, s23
	s_cbranch_execz .LBB210_38
.LBB210_10:                             ; =>This Loop Header: Depth=1
                                        ;     Child Loop BB210_11 Depth 2
                                        ;     Child Loop BB210_15 Depth 2
	v_dual_mov_b32 v5, v33 :: v_dual_mov_b32 v6, v42
	s_mov_b32 s1, 0
	ds_store_b8 v26, v7 offset:16384
.LBB210_11:                             ;   Parent Loop BB210_10 Depth=1
                                        ; =>  This Inner Loop Header: Depth=2
	v_add_nc_u32_e32 v6, 4, v6
	ds_store_b128 v5, v[0:3]
	v_add_nc_u32_e32 v5, 64, v5
	v_cmp_lt_u32_e32 vcc_lo, 11, v6
	s_or_b32 s1, vcc_lo, s1
	s_delay_alu instid0(SALU_CYCLE_1)
	s_and_not1_b32 exec_lo, exec_lo, s1
	s_cbranch_execnz .LBB210_11
; %bb.12:                               ;   in Loop: Header=BB210_10 Depth=1
	s_or_b32 exec_lo, exec_lo, s1
	v_dual_add_nc_u32 v20, v24, v28 :: v_dual_mov_b32 v44, s5
	v_mov_b32_e32 v21, v27
	s_mov_b32 s24, exec_lo
	s_wait_dscnt 0x0
	s_delay_alu instid0(VALU_DEP_2)
	v_cmpx_lt_i32_e64 v20, v27
	s_cbranch_execz .LBB210_20
; %bb.13:                               ;   in Loop: Header=BB210_10 Depth=1
	v_mul_lo_u32 v5, v45, s7
	v_dual_mov_b32 v44, s5 :: v_dual_ashrrev_i32 v21, 31, v20
	s_mov_b32 s25, 0
	s_delay_alu instid0(VALU_DEP_1)
	v_lshl_add_u64 v[22:23], v[20:21], 2, s[12:13]
	v_lshl_add_u64 v[24:25], v[20:21], 4, s[10:11]
	v_mov_b32_e32 v21, v27
	s_branch .LBB210_15
.LBB210_14:                             ;   in Loop: Header=BB210_15 Depth=2
	s_wait_xcnt 0x0
	s_or_b32 exec_lo, exec_lo, s1
	v_add_nc_u32_e32 v20, 4, v20
	s_xor_b32 s26, vcc_lo, -1
	v_add_nc_u64_e32 v[22:23], 16, v[22:23]
	v_add_nc_u64_e32 v[24:25], 64, v[24:25]
	s_delay_alu instid0(VALU_DEP_3) | instskip(SKIP_1) | instid1(SALU_CYCLE_1)
	v_cmp_ge_i32_e64 s1, v20, v27
	s_or_b32 s1, s26, s1
	s_and_b32 s1, exec_lo, s1
	s_delay_alu instid0(SALU_CYCLE_1) | instskip(NEXT) | instid1(SALU_CYCLE_1)
	s_or_b32 s25, s1, s25
	s_and_not1_b32 exec_lo, exec_lo, s25
	s_cbranch_execz .LBB210_19
.LBB210_15:                             ;   Parent Loop BB210_10 Depth=1
                                        ; =>  This Inner Loop Header: Depth=2
	global_load_b32 v6, v[22:23], off
	s_wait_loadcnt 0x0
	v_subrev_nc_u32_e32 v46, s20, v6
	s_delay_alu instid0(VALU_DEP_1) | instskip(NEXT) | instid1(VALU_DEP_1)
	v_sub_nc_u32_e32 v6, 0, v46
	v_max_i32_e32 v6, v46, v6
	s_delay_alu instid0(VALU_DEP_1) | instskip(NEXT) | instid1(VALU_DEP_1)
	v_mul_u64_e32 v[48:49], s[14:15], v[6:7]
	v_mul_lo_u32 v47, v49, s16
	s_delay_alu instid0(VALU_DEP_1) | instskip(NEXT) | instid1(VALU_DEP_1)
	v_dual_sub_nc_u32 v6, v6, v47 :: v_dual_add_nc_u32 v47, 1, v49
	v_cmp_le_u32_e32 vcc_lo, s16, v6
	s_delay_alu instid0(VALU_DEP_2) | instskip(SKIP_1) | instid1(VALU_DEP_1)
	v_dual_cndmask_b32 v47, v49, v47, vcc_lo :: v_dual_ashrrev_i32 v49, 31, v46
	v_subrev_nc_u32_e32 v48, s16, v6
	v_dual_cndmask_b32 v6, v6, v48, vcc_lo :: v_dual_add_nc_u32 v48, 1, v47
	s_delay_alu instid0(VALU_DEP_1) | instskip(NEXT) | instid1(VALU_DEP_2)
	v_cmp_le_u32_e32 vcc_lo, s16, v6
	v_dual_cndmask_b32 v6, v47, v48, vcc_lo :: v_dual_bitop2_b32 v49, s17, v49 bitop3:0x14
	s_delay_alu instid0(VALU_DEP_1) | instskip(NEXT) | instid1(VALU_DEP_1)
	v_xor_b32_e32 v6, v6, v49
	v_dual_mov_b32 v6, v21 :: v_dual_sub_nc_u32 v47, v6, v49
	s_delay_alu instid0(VALU_DEP_1) | instskip(SKIP_3) | instid1(SALU_CYCLE_1)
	v_cmp_ne_u32_e64 s1, v47, v45
	v_cmp_eq_u32_e32 vcc_lo, v47, v45
	s_wait_xcnt 0x0
	s_and_saveexec_b32 s26, s1
	s_xor_b32 s1, exec_lo, s26
; %bb.16:                               ;   in Loop: Header=BB210_15 Depth=2
	v_min_i32_e32 v44, v47, v44
                                        ; implicit-def: $vgpr46
                                        ; implicit-def: $vgpr6
; %bb.17:                               ;   in Loop: Header=BB210_15 Depth=2
	s_or_saveexec_b32 s1, s1
	v_mov_b32_e32 v21, v20
	s_xor_b32 exec_lo, exec_lo, s1
	s_cbranch_execz .LBB210_14
; %bb.18:                               ;   in Loop: Header=BB210_15 Depth=2
	global_load_b128 v[48:51], v[24:25], off
	v_sub_nc_u32_e32 v21, v46, v5
	s_delay_alu instid0(VALU_DEP_1)
	v_lshl_add_u32 v46, v21, 4, v29
	v_mov_b32_e32 v21, v6
	ds_store_b8 v26, v43 offset:16384
	s_wait_loadcnt 0x0
	ds_store_2addr_b64 v46, v[48:49], v[50:51] offset1:1
	s_branch .LBB210_14
.LBB210_19:                             ;   in Loop: Header=BB210_10 Depth=1
	s_or_b32 exec_lo, exec_lo, s25
.LBB210_20:                             ;   in Loop: Header=BB210_10 Depth=1
	s_delay_alu instid0(SALU_CYCLE_1)
	s_or_b32 exec_lo, exec_lo, s24
	ds_bpermute_b32 v5, v30, v21
	s_wait_dscnt 0x0
	ds_load_u8 v20, v26 offset:16384
	v_min_i32_e32 v5, v5, v21
	ds_bpermute_b32 v6, v31, v5
	s_wait_dscnt 0x0
	v_min_i32_e32 v5, v6, v5
	ds_bpermute_b32 v24, v32, v5
	v_and_b32_e32 v5, 1, v20
	s_delay_alu instid0(VALU_DEP_1)
	v_cmp_eq_u32_e32 vcc_lo, 1, v5
	v_mov_b32_e32 v5, 0
	s_and_saveexec_b32 s1, vcc_lo
	s_cbranch_execz .LBB210_9
; %bb.21:                               ;   in Loop: Header=BB210_10 Depth=1
	v_ashrrev_i32_e32 v5, 31, v4
	s_delay_alu instid0(VALU_DEP_1) | instskip(SKIP_3) | instid1(VALU_DEP_1)
	v_mul_u64_e32 v[20:21], s[18:19], v[4:5]
	v_add_nc_u32_e32 v5, s21, v45
	global_store_b32 v4, v5, s[8:9] scale_offset
	v_lshlrev_b64_e32 v[20:21], 4, v[20:21]
	v_add_nc_u64_e32 v[22:23], v[8:9], v[20:21]
	v_add_nc_u64_e32 v[20:21], v[10:11], v[20:21]
	s_wait_xcnt 0x0
	s_and_saveexec_b32 s24, s6
	s_cbranch_execz .LBB210_23
; %bb.22:                               ;   in Loop: Header=BB210_10 Depth=1
	ds_load_2addr_b64 v[46:49], v33 offset1:1
	v_lshl_add_u64 v[50:51], v[12:13], 4, v[22:23]
	s_delay_alu instid0(VALU_DEP_1)
	v_dual_cndmask_b32 v51, v51, v21, s0 :: v_dual_cndmask_b32 v50, v50, v20, s0
	s_wait_dscnt 0x0
	global_store_b128 v[50:51], v[46:49], off
.LBB210_23:                             ;   in Loop: Header=BB210_10 Depth=1
	s_wait_xcnt 0x0
	s_or_b32 exec_lo, exec_lo, s24
	s_and_saveexec_b32 s24, s2
	s_cbranch_execz .LBB210_28
; %bb.24:                               ;   in Loop: Header=BB210_10 Depth=1
	s_and_not1_b32 vcc_lo, exec_lo, s22
	s_mov_b32 s25, -1
	s_cbranch_vccnz .LBB210_26
; %bb.25:                               ;   in Loop: Header=BB210_10 Depth=1
	ds_load_2addr_b64 v[46:49], v39 offset1:1
	v_lshl_add_u64 v[50:51], v[14:15], 4, v[22:23]
	s_mov_b32 s25, 0
	s_wait_dscnt 0x0
	global_store_b128 v[50:51], v[46:49], off
.LBB210_26:                             ;   in Loop: Header=BB210_10 Depth=1
	s_and_not1_b32 vcc_lo, exec_lo, s25
	s_cbranch_vccnz .LBB210_28
; %bb.27:                               ;   in Loop: Header=BB210_10 Depth=1
	s_wait_xcnt 0x0
	ds_load_2addr_b64 v[46:49], v39 offset1:1
	s_wait_dscnt 0x0
	global_store_b128 v[20:21], v[46:49], off offset:64
.LBB210_28:                             ;   in Loop: Header=BB210_10 Depth=1
	s_wait_xcnt 0x0
	s_or_b32 exec_lo, exec_lo, s24
	s_and_saveexec_b32 s24, s3
	s_cbranch_execz .LBB210_33
; %bb.29:                               ;   in Loop: Header=BB210_10 Depth=1
	s_and_not1_b32 vcc_lo, exec_lo, s22
	s_mov_b32 s25, -1
	s_cbranch_vccnz .LBB210_31
; %bb.30:                               ;   in Loop: Header=BB210_10 Depth=1
	ds_load_2addr_b64 v[46:49], v40 offset1:1
	v_lshl_add_u64 v[50:51], v[16:17], 4, v[22:23]
	s_mov_b32 s25, 0
	s_wait_dscnt 0x0
	global_store_b128 v[50:51], v[46:49], off
.LBB210_31:                             ;   in Loop: Header=BB210_10 Depth=1
	s_and_not1_b32 vcc_lo, exec_lo, s25
	s_cbranch_vccnz .LBB210_33
; %bb.32:                               ;   in Loop: Header=BB210_10 Depth=1
	s_wait_xcnt 0x0
	ds_load_2addr_b64 v[46:49], v40 offset1:1
	s_wait_dscnt 0x0
	global_store_b128 v[20:21], v[46:49], off offset:128
.LBB210_33:                             ;   in Loop: Header=BB210_10 Depth=1
	s_wait_xcnt 0x0
	s_or_b32 exec_lo, exec_lo, s24
	s_and_saveexec_b32 s24, s4
	s_cbranch_execz .LBB210_8
; %bb.34:                               ;   in Loop: Header=BB210_10 Depth=1
	s_and_not1_b32 vcc_lo, exec_lo, s22
	s_mov_b32 s25, -1
	s_cbranch_vccnz .LBB210_36
; %bb.35:                               ;   in Loop: Header=BB210_10 Depth=1
	ds_load_2addr_b64 v[46:49], v41 offset1:1
	v_lshl_add_u64 v[22:23], v[18:19], 4, v[22:23]
	s_mov_b32 s25, 0
	s_wait_dscnt 0x0
	global_store_b128 v[22:23], v[46:49], off
.LBB210_36:                             ;   in Loop: Header=BB210_10 Depth=1
	s_and_not1_b32 vcc_lo, exec_lo, s25
	s_cbranch_vccnz .LBB210_8
; %bb.37:                               ;   in Loop: Header=BB210_10 Depth=1
	s_wait_xcnt 0x0
	ds_load_2addr_b64 v[46:49], v41 offset1:1
	s_wait_dscnt 0x0
	global_store_b128 v[20:21], v[46:49], off offset:192
	s_branch .LBB210_8
.LBB210_38:
	s_endpgm
	.section	.rodata,"a",@progbits
	.p2align	6, 0x0
	.amdhsa_kernel _ZN9rocsparseL44csr2gebsr_wavefront_per_row_multipass_kernelILi256ELi16ELi16ELi64E21rocsparse_complex_numIdEEEv20rocsparse_direction_iiiiii21rocsparse_index_base_PKT3_PKiS9_S4_PS5_PiSB_
		.amdhsa_group_segment_fixed_size 16392
		.amdhsa_private_segment_fixed_size 0
		.amdhsa_kernarg_size 88
		.amdhsa_user_sgpr_count 2
		.amdhsa_user_sgpr_dispatch_ptr 0
		.amdhsa_user_sgpr_queue_ptr 0
		.amdhsa_user_sgpr_kernarg_segment_ptr 1
		.amdhsa_user_sgpr_dispatch_id 0
		.amdhsa_user_sgpr_kernarg_preload_length 0
		.amdhsa_user_sgpr_kernarg_preload_offset 0
		.amdhsa_user_sgpr_private_segment_size 0
		.amdhsa_wavefront_size32 1
		.amdhsa_uses_dynamic_stack 0
		.amdhsa_enable_private_segment 0
		.amdhsa_system_sgpr_workgroup_id_x 1
		.amdhsa_system_sgpr_workgroup_id_y 0
		.amdhsa_system_sgpr_workgroup_id_z 0
		.amdhsa_system_sgpr_workgroup_info 0
		.amdhsa_system_vgpr_workitem_id 0
		.amdhsa_next_free_vgpr 52
		.amdhsa_next_free_sgpr 27
		.amdhsa_named_barrier_count 0
		.amdhsa_reserve_vcc 1
		.amdhsa_float_round_mode_32 0
		.amdhsa_float_round_mode_16_64 0
		.amdhsa_float_denorm_mode_32 3
		.amdhsa_float_denorm_mode_16_64 3
		.amdhsa_fp16_overflow 0
		.amdhsa_memory_ordered 1
		.amdhsa_forward_progress 1
		.amdhsa_inst_pref_size 16
		.amdhsa_round_robin_scheduling 0
		.amdhsa_exception_fp_ieee_invalid_op 0
		.amdhsa_exception_fp_denorm_src 0
		.amdhsa_exception_fp_ieee_div_zero 0
		.amdhsa_exception_fp_ieee_overflow 0
		.amdhsa_exception_fp_ieee_underflow 0
		.amdhsa_exception_fp_ieee_inexact 0
		.amdhsa_exception_int_div_zero 0
	.end_amdhsa_kernel
	.section	.text._ZN9rocsparseL44csr2gebsr_wavefront_per_row_multipass_kernelILi256ELi16ELi16ELi64E21rocsparse_complex_numIdEEEv20rocsparse_direction_iiiiii21rocsparse_index_base_PKT3_PKiS9_S4_PS5_PiSB_,"axG",@progbits,_ZN9rocsparseL44csr2gebsr_wavefront_per_row_multipass_kernelILi256ELi16ELi16ELi64E21rocsparse_complex_numIdEEEv20rocsparse_direction_iiiiii21rocsparse_index_base_PKT3_PKiS9_S4_PS5_PiSB_,comdat
.Lfunc_end210:
	.size	_ZN9rocsparseL44csr2gebsr_wavefront_per_row_multipass_kernelILi256ELi16ELi16ELi64E21rocsparse_complex_numIdEEEv20rocsparse_direction_iiiiii21rocsparse_index_base_PKT3_PKiS9_S4_PS5_PiSB_, .Lfunc_end210-_ZN9rocsparseL44csr2gebsr_wavefront_per_row_multipass_kernelILi256ELi16ELi16ELi64E21rocsparse_complex_numIdEEEv20rocsparse_direction_iiiiii21rocsparse_index_base_PKT3_PKiS9_S4_PS5_PiSB_
                                        ; -- End function
	.set _ZN9rocsparseL44csr2gebsr_wavefront_per_row_multipass_kernelILi256ELi16ELi16ELi64E21rocsparse_complex_numIdEEEv20rocsparse_direction_iiiiii21rocsparse_index_base_PKT3_PKiS9_S4_PS5_PiSB_.num_vgpr, 52
	.set _ZN9rocsparseL44csr2gebsr_wavefront_per_row_multipass_kernelILi256ELi16ELi16ELi64E21rocsparse_complex_numIdEEEv20rocsparse_direction_iiiiii21rocsparse_index_base_PKT3_PKiS9_S4_PS5_PiSB_.num_agpr, 0
	.set _ZN9rocsparseL44csr2gebsr_wavefront_per_row_multipass_kernelILi256ELi16ELi16ELi64E21rocsparse_complex_numIdEEEv20rocsparse_direction_iiiiii21rocsparse_index_base_PKT3_PKiS9_S4_PS5_PiSB_.numbered_sgpr, 27
	.set _ZN9rocsparseL44csr2gebsr_wavefront_per_row_multipass_kernelILi256ELi16ELi16ELi64E21rocsparse_complex_numIdEEEv20rocsparse_direction_iiiiii21rocsparse_index_base_PKT3_PKiS9_S4_PS5_PiSB_.num_named_barrier, 0
	.set _ZN9rocsparseL44csr2gebsr_wavefront_per_row_multipass_kernelILi256ELi16ELi16ELi64E21rocsparse_complex_numIdEEEv20rocsparse_direction_iiiiii21rocsparse_index_base_PKT3_PKiS9_S4_PS5_PiSB_.private_seg_size, 0
	.set _ZN9rocsparseL44csr2gebsr_wavefront_per_row_multipass_kernelILi256ELi16ELi16ELi64E21rocsparse_complex_numIdEEEv20rocsparse_direction_iiiiii21rocsparse_index_base_PKT3_PKiS9_S4_PS5_PiSB_.uses_vcc, 1
	.set _ZN9rocsparseL44csr2gebsr_wavefront_per_row_multipass_kernelILi256ELi16ELi16ELi64E21rocsparse_complex_numIdEEEv20rocsparse_direction_iiiiii21rocsparse_index_base_PKT3_PKiS9_S4_PS5_PiSB_.uses_flat_scratch, 0
	.set _ZN9rocsparseL44csr2gebsr_wavefront_per_row_multipass_kernelILi256ELi16ELi16ELi64E21rocsparse_complex_numIdEEEv20rocsparse_direction_iiiiii21rocsparse_index_base_PKT3_PKiS9_S4_PS5_PiSB_.has_dyn_sized_stack, 0
	.set _ZN9rocsparseL44csr2gebsr_wavefront_per_row_multipass_kernelILi256ELi16ELi16ELi64E21rocsparse_complex_numIdEEEv20rocsparse_direction_iiiiii21rocsparse_index_base_PKT3_PKiS9_S4_PS5_PiSB_.has_recursion, 0
	.set _ZN9rocsparseL44csr2gebsr_wavefront_per_row_multipass_kernelILi256ELi16ELi16ELi64E21rocsparse_complex_numIdEEEv20rocsparse_direction_iiiiii21rocsparse_index_base_PKT3_PKiS9_S4_PS5_PiSB_.has_indirect_call, 0
	.section	.AMDGPU.csdata,"",@progbits
; Kernel info:
; codeLenInByte = 1928
; TotalNumSgprs: 29
; NumVgprs: 52
; ScratchSize: 0
; MemoryBound: 0
; FloatMode: 240
; IeeeMode: 1
; LDSByteSize: 16392 bytes/workgroup (compile time only)
; SGPRBlocks: 0
; VGPRBlocks: 3
; NumSGPRsForWavesPerEU: 29
; NumVGPRsForWavesPerEU: 52
; NamedBarCnt: 0
; Occupancy: 16
; WaveLimiterHint : 0
; COMPUTE_PGM_RSRC2:SCRATCH_EN: 0
; COMPUTE_PGM_RSRC2:USER_SGPR: 2
; COMPUTE_PGM_RSRC2:TRAP_HANDLER: 0
; COMPUTE_PGM_RSRC2:TGID_X_EN: 1
; COMPUTE_PGM_RSRC2:TGID_Y_EN: 0
; COMPUTE_PGM_RSRC2:TGID_Z_EN: 0
; COMPUTE_PGM_RSRC2:TIDIG_COMP_CNT: 0
	.section	.text._ZN9rocsparseL44csr2gebsr_wavefront_per_row_multipass_kernelILi256ELi16ELi16ELi32E21rocsparse_complex_numIdEEEv20rocsparse_direction_iiiiii21rocsparse_index_base_PKT3_PKiS9_S4_PS5_PiSB_,"axG",@progbits,_ZN9rocsparseL44csr2gebsr_wavefront_per_row_multipass_kernelILi256ELi16ELi16ELi32E21rocsparse_complex_numIdEEEv20rocsparse_direction_iiiiii21rocsparse_index_base_PKT3_PKiS9_S4_PS5_PiSB_,comdat
	.globl	_ZN9rocsparseL44csr2gebsr_wavefront_per_row_multipass_kernelILi256ELi16ELi16ELi32E21rocsparse_complex_numIdEEEv20rocsparse_direction_iiiiii21rocsparse_index_base_PKT3_PKiS9_S4_PS5_PiSB_ ; -- Begin function _ZN9rocsparseL44csr2gebsr_wavefront_per_row_multipass_kernelILi256ELi16ELi16ELi32E21rocsparse_complex_numIdEEEv20rocsparse_direction_iiiiii21rocsparse_index_base_PKT3_PKiS9_S4_PS5_PiSB_
	.p2align	8
	.type	_ZN9rocsparseL44csr2gebsr_wavefront_per_row_multipass_kernelILi256ELi16ELi16ELi32E21rocsparse_complex_numIdEEEv20rocsparse_direction_iiiiii21rocsparse_index_base_PKT3_PKiS9_S4_PS5_PiSB_,@function
_ZN9rocsparseL44csr2gebsr_wavefront_per_row_multipass_kernelILi256ELi16ELi16ELi32E21rocsparse_complex_numIdEEEv20rocsparse_direction_iiiiii21rocsparse_index_base_PKT3_PKiS9_S4_PS5_PiSB_: ; @_ZN9rocsparseL44csr2gebsr_wavefront_per_row_multipass_kernelILi256ELi16ELi16ELi32E21rocsparse_complex_numIdEEEv20rocsparse_direction_iiiiii21rocsparse_index_base_PKT3_PKiS9_S4_PS5_PiSB_
; %bb.0:
	s_clause 0x1
	s_load_b128 s[8:11], s[0:1], 0xc
	s_load_b64 s[4:5], s[0:1], 0x0
	s_bfe_u32 s2, ttmp6, 0x4000c
	s_and_b32 s3, ttmp6, 15
	s_add_co_i32 s2, s2, 1
	s_getreg_b32 s6, hwreg(HW_REG_IB_STS2, 6, 4)
	s_mul_i32 s2, ttmp9, s2
	v_dual_lshrrev_b32 v34, 5, v0 :: v_dual_mov_b32 v4, 0
	s_add_co_i32 s3, s3, s2
	s_cmp_eq_u32 s6, 0
	v_bfe_u32 v1, v0, 1, 4
	s_cselect_b32 s2, ttmp9, s3
	s_clause 0x1
	s_load_b32 s24, s[0:1], 0x1c
	s_load_b64 s[6:7], s[0:1], 0x28
	v_lshl_or_b32 v2, s2, 3, v34
	v_mov_b32_e32 v32, 0
	s_wait_kmcnt 0x0
	s_delay_alu instid0(VALU_DEP_2) | instskip(SKIP_1) | instid1(VALU_DEP_2)
	v_mad_u32 v3, v2, s10, v1
	v_cmp_gt_i32_e32 vcc_lo, s10, v1
	v_cmp_gt_i32_e64 s2, s5, v3
	s_and_b32 s2, vcc_lo, s2
	s_delay_alu instid0(SALU_CYCLE_1)
	s_and_saveexec_b32 s3, s2
	s_cbranch_execz .LBB211_2
; %bb.1:
	global_load_b32 v5, v3, s[6:7] scale_offset
	s_wait_loadcnt 0x0
	v_subrev_nc_u32_e32 v32, s24, v5
.LBB211_2:
	s_or_b32 exec_lo, exec_lo, s3
	v_mov_b32_e32 v35, 0
	s_and_saveexec_b32 s3, s2
	s_cbranch_execz .LBB211_4
; %bb.3:
	global_load_b32 v3, v3, s[6:7] offset:4 scale_offset
	s_wait_loadcnt 0x0
	v_subrev_nc_u32_e32 v35, s24, v3
.LBB211_4:
	s_or_b32 exec_lo, exec_lo, s3
	s_load_b32 s25, s[0:1], 0x38
	s_mov_b32 s3, exec_lo
	v_cmpx_gt_i32_e64 s8, v2
	s_cbranch_execz .LBB211_6
; %bb.5:
	s_load_b64 s[6:7], s[0:1], 0x48
	s_wait_kmcnt 0x0
	global_load_b32 v2, v2, s[6:7] scale_offset
	s_wait_loadcnt 0x0
	v_subrev_nc_u32_e32 v4, s25, v2
.LBB211_6:
	s_or_b32 exec_lo, exec_lo, s3
	s_cmp_lt_i32 s9, 1
	s_cbranch_scc1 .LBB211_58
; %bb.7:
	v_mbcnt_lo_u32_b32 v5, -1, 0
	v_dual_lshlrev_b32 v0, 8, v1 :: v_dual_bitop2_b32 v36, 1, v0 bitop3:0x40
	s_clause 0x3
	s_load_b64 s[12:13], s[0:1], 0x50
	s_load_b64 s[2:3], s[0:1], 0x40
	;; [unrolled: 1-line block ×4, first 2 shown]
	s_cmp_eq_u32 s4, 0
	v_xor_b32_e32 v2, 1, v5
	s_mov_b32 s19, 0
	v_lshl_or_b32 v37, v34, 12, v0
	v_lshlrev_b32_e32 v0, 4, v36
	s_mov_b32 s18, s10
	s_wait_xcnt 0x0
	v_cmp_gt_i32_e64 s0, 32, v2
	s_mov_b32 s20, s11
	v_lshl_or_b32 v39, v5, 2, 4
	v_dual_mov_b32 v56, 0 :: v_dual_mov_b32 v7, 0
	v_cndmask_b32_e64 v3, v5, v2, s0
	v_mul_lo_u32 v2, s11, v1
	v_lshlrev_b32_e32 v6, 4, v1
	s_cselect_b32 s0, -1, 0
	s_cmp_lg_u32 s4, 0
	v_dual_lshlrev_b32 v38, 2, v3 :: v_dual_bitop2_b32 v40, v37, v0 bitop3:0x54
	v_mov_b32_e32 v1, v7
	s_cselect_b32 s26, -1, 0
	s_ashr_i32 s21, s11, 31
	v_dual_mov_b32 v13, v7 :: v_dual_bitop2_b32 v8, 16, v5 bitop3:0x14
	v_ashrrev_i32_e32 v3, 31, v2
	s_mul_u64 s[22:23], s[20:21], s[18:19]
	s_lshl_b32 s18, s10, 1
	v_dual_mov_b32 v15, v7 :: v_dual_bitop2_b32 v46, 32, v40 bitop3:0x54
	v_cmp_gt_i32_e64 s1, 32, v8
	s_wait_kmcnt 0x0
	v_lshl_add_u64 v[2:3], v[2:3], 4, s[2:3]
	v_dual_mov_b32 v17, v7 :: v_dual_bitop2_b32 v47, 64, v40 bitop3:0x54
	v_or_b32_e32 v48, 0x60, v40
	v_cndmask_b32_e64 v12, v5, v8, s1
	v_add_nc_u64_e32 v[8:9], s[2:3], v[6:7]
	v_xor_b32_e32 v6, 8, v5
	v_add_nc_u64_e32 v[10:11], v[2:3], v[0:1]
	s_delay_alu instid0(VALU_DEP_4) | instskip(SKIP_1) | instid1(VALU_DEP_4)
	v_dual_lshlrev_b32 v41, 2, v12 :: v_dual_bitop2_b32 v0, 4, v5 bitop3:0x14
	v_mul_lo_u32 v12, v36, s10
	v_cmp_gt_i32_e64 s1, 32, v6
	v_xor_b32_e32 v1, 2, v5
	v_mov_b32_e32 v45, 0x7c
	s_abs_i32 s10, s11
	v_or_b32_e32 v49, 0x80, v40
	v_cndmask_b32_e64 v2, v5, v6, s1
	v_cmp_gt_i32_e64 s1, 32, v0
	s_cvt_f32_u32 s7, s10
	v_or_b32_e32 v50, 0xa0, v40
	v_or_b32_e32 v51, 0xc0, v40
	v_add_nc_u32_e32 v14, s18, v12
	v_cndmask_b32_e64 v0, v5, v0, s1
	v_cmp_gt_i32_e64 s1, 32, v1
	v_or_b32_e32 v52, 0xe0, v40
	v_dual_mov_b32 v3, v7 :: v_dual_bitop2_b32 v53, -2, v36 bitop3:0x54
	s_delay_alu instid0(VALU_DEP_3) | instskip(SKIP_2) | instid1(VALU_DEP_3)
	v_dual_mov_b32 v54, 1 :: v_dual_cndmask_b32 v1, v5, v1, s1
	v_dual_lshlrev_b32 v42, 2, v2 :: v_dual_lshlrev_b32 v43, 2, v0
	v_dual_add_nc_u32 v16, s18, v14 :: v_dual_bitop2_b32 v0, 2, v36 bitop3:0x54
	v_dual_lshlrev_b32 v44, 2, v1 :: v_dual_bitop2_b32 v1, 6, v36 bitop3:0x54
	v_mov_b32_e32 v21, v7
	s_delay_alu instid0(VALU_DEP_3) | instskip(NEXT) | instid1(VALU_DEP_4)
	v_cmp_gt_u32_e64 s2, s11, v0
	v_add_nc_u32_e32 v18, s18, v16
	v_or_b32_e32 v0, 4, v36
	v_cmp_gt_u32_e64 s4, s11, v1
	v_or_b32_e32 v1, 10, v36
	v_cmp_gt_u32_e64 s1, s11, v36
	v_add_nc_u32_e32 v20, s18, v18
	v_cmp_gt_u32_e64 s3, s11, v0
	v_dual_mov_b32 v19, v7 :: v_dual_bitop2_b32 v0, 8, v36 bitop3:0x54
	v_cmp_gt_u32_e64 s6, s11, v1
	v_rcp_iflag_f32_e32 v1, s7
	v_dual_mov_b32 v25, v7 :: v_dual_add_nc_u32 v22, s18, v20
	s_and_b32 s20, s1, vcc_lo
	v_or_b32_e32 v2, 14, v36
	v_cmp_gt_u32_e64 s5, s11, v0
	s_delay_alu instid0(VALU_DEP_3) | instskip(NEXT) | instid1(TRANS32_DEP_1)
	v_add_nc_u32_e32 v24, s18, v22
	v_readfirstlane_b32 s27, v1
	v_dual_mov_b32 v23, v7 :: v_dual_bitop2_b32 v0, 12, v36 bitop3:0x54
	v_cmp_gt_u32_e64 s8, s11, v2
	s_delay_alu instid0(VALU_DEP_4)
	v_dual_mov_b32 v27, v7 :: v_dual_add_nc_u32 v26, s18, v24
	s_mul_f32 s1, s27, 0x4f7ffffe
	s_sub_co_i32 s18, 0, s10
	v_cmp_gt_u32_e64 s7, s11, v0
	v_mov_b32_e32 v0, v7
	s_cvt_u32_f32 s1, s1
	v_dual_mov_b32 v1, v7 :: v_dual_mov_b32 v2, v7
	s_and_b32 s2, vcc_lo, s2
	s_delay_alu instid0(SALU_CYCLE_1)
	s_mul_i32 s18, s18, s1
	s_and_b32 s3, vcc_lo, s3
	s_mul_hi_u32 s18, s1, s18
	s_and_b32 s4, vcc_lo, s4
	s_and_b32 s5, vcc_lo, s5
	;; [unrolled: 1-line block ×5, first 2 shown]
	s_add_co_i32 s18, s1, s18
	s_mov_b32 s27, s19
	s_branch .LBB211_10
.LBB211_8:                              ;   in Loop: Header=BB211_10 Depth=1
	s_wait_xcnt 0x0
	s_or_b32 exec_lo, exec_lo, s28
	v_mov_b32_e32 v5, 1
.LBB211_9:                              ;   in Loop: Header=BB211_10 Depth=1
	s_or_b32 exec_lo, exec_lo, s1
	ds_bpermute_b32 v6, v41, v55
	s_wait_storecnt_dscnt 0x0
	v_dual_add_nc_u32 v4, v5, v4 :: v_dual_min_i32 v6, v6, v55
	ds_bpermute_b32 v28, v42, v6
	s_wait_dscnt 0x0
	v_min_i32_e32 v6, v28, v6
	ds_bpermute_b32 v28, v43, v6
	s_wait_dscnt 0x0
	v_min_i32_e32 v6, v28, v6
	;; [unrolled: 3-line block ×4, first 2 shown]
	ds_bpermute_b32 v56, v45, v6
	s_wait_dscnt 0x0
	v_cmp_le_i32_e32 vcc_lo, s9, v56
	s_or_b32 s27, vcc_lo, s27
	s_delay_alu instid0(SALU_CYCLE_1)
	s_and_not1_b32 exec_lo, exec_lo, s27
	s_cbranch_execz .LBB211_58
.LBB211_10:                             ; =>This Loop Header: Depth=1
                                        ;     Child Loop BB211_11 Depth 2
                                        ;     Child Loop BB211_15 Depth 2
	v_dual_mov_b32 v5, v40 :: v_dual_mov_b32 v6, v53
	s_mov_b32 s1, 0
	ds_store_b8 v34, v7 offset:32768
.LBB211_11:                             ;   Parent Loop BB211_10 Depth=1
                                        ; =>  This Inner Loop Header: Depth=2
	v_add_nc_u32_e32 v6, 2, v6
	ds_store_b128 v5, v[0:3]
	v_add_nc_u32_e32 v5, 32, v5
	v_cmp_lt_u32_e32 vcc_lo, 13, v6
	s_or_b32 s1, vcc_lo, s1
	s_delay_alu instid0(SALU_CYCLE_1)
	s_and_not1_b32 exec_lo, exec_lo, s1
	s_cbranch_execnz .LBB211_11
; %bb.12:                               ;   in Loop: Header=BB211_10 Depth=1
	s_or_b32 exec_lo, exec_lo, s1
	v_dual_mov_b32 v55, s9 :: v_dual_add_nc_u32 v28, v32, v36
	v_mov_b32_e32 v29, v35
	s_mov_b32 s28, exec_lo
	s_wait_dscnt 0x0
	s_delay_alu instid0(VALU_DEP_2)
	v_cmpx_lt_i32_e64 v28, v35
	s_cbranch_execz .LBB211_20
; %bb.13:                               ;   in Loop: Header=BB211_10 Depth=1
	v_mul_lo_u32 v5, v56, s11
	v_dual_ashrrev_i32 v29, 31, v28 :: v_dual_mov_b32 v55, s9
	s_mov_b32 s29, 0
	s_delay_alu instid0(VALU_DEP_1)
	v_lshl_add_u64 v[30:31], v[28:29], 2, s[16:17]
	v_lshl_add_u64 v[32:33], v[28:29], 4, s[14:15]
	v_mov_b32_e32 v29, v35
	s_branch .LBB211_15
.LBB211_14:                             ;   in Loop: Header=BB211_15 Depth=2
	s_wait_xcnt 0x0
	s_or_b32 exec_lo, exec_lo, s1
	v_add_nc_u32_e32 v28, 2, v28
	s_xor_b32 s30, vcc_lo, -1
	v_add_nc_u64_e32 v[30:31], 8, v[30:31]
	v_add_nc_u64_e32 v[32:33], 32, v[32:33]
	s_delay_alu instid0(VALU_DEP_3) | instskip(SKIP_1) | instid1(SALU_CYCLE_1)
	v_cmp_ge_i32_e64 s1, v28, v35
	s_or_b32 s1, s30, s1
	s_and_b32 s1, exec_lo, s1
	s_delay_alu instid0(SALU_CYCLE_1) | instskip(NEXT) | instid1(SALU_CYCLE_1)
	s_or_b32 s29, s1, s29
	s_and_not1_b32 exec_lo, exec_lo, s29
	s_cbranch_execz .LBB211_19
.LBB211_15:                             ;   Parent Loop BB211_10 Depth=1
                                        ; =>  This Inner Loop Header: Depth=2
	global_load_b32 v6, v[30:31], off
	s_wait_loadcnt 0x0
	v_subrev_nc_u32_e32 v57, s24, v6
	s_delay_alu instid0(VALU_DEP_1) | instskip(NEXT) | instid1(VALU_DEP_1)
	v_sub_nc_u32_e32 v6, 0, v57
	v_max_i32_e32 v6, v57, v6
	s_delay_alu instid0(VALU_DEP_1) | instskip(NEXT) | instid1(VALU_DEP_1)
	v_mul_u64_e32 v[58:59], s[18:19], v[6:7]
	v_mul_lo_u32 v58, v59, s10
	s_delay_alu instid0(VALU_DEP_1) | instskip(NEXT) | instid1(VALU_DEP_1)
	v_dual_sub_nc_u32 v6, v6, v58 :: v_dual_add_nc_u32 v58, 1, v59
	v_cmp_le_u32_e32 vcc_lo, s10, v6
	s_delay_alu instid0(VALU_DEP_2) | instskip(SKIP_1) | instid1(VALU_DEP_1)
	v_cndmask_b32_e32 v58, v59, v58, vcc_lo
	v_subrev_nc_u32_e32 v60, s10, v6
	v_dual_cndmask_b32 v6, v6, v60 :: v_dual_ashrrev_i32 v59, 31, v57
	s_delay_alu instid0(VALU_DEP_3) | instskip(NEXT) | instid1(VALU_DEP_2)
	v_add_nc_u32_e32 v60, 1, v58
	v_cmp_le_u32_e32 vcc_lo, s10, v6
	s_delay_alu instid0(VALU_DEP_2) | instskip(NEXT) | instid1(VALU_DEP_1)
	v_dual_cndmask_b32 v6, v58, v60, vcc_lo :: v_dual_bitop2_b32 v59, s21, v59 bitop3:0x14
	v_xor_b32_e32 v6, v6, v59
	s_delay_alu instid0(VALU_DEP_1) | instskip(NEXT) | instid1(VALU_DEP_1)
	v_dual_sub_nc_u32 v58, v6, v59 :: v_dual_mov_b32 v6, v29
	v_cmp_ne_u32_e64 s1, v58, v56
	v_cmp_eq_u32_e32 vcc_lo, v58, v56
	s_wait_xcnt 0x0
	s_and_saveexec_b32 s30, s1
	s_delay_alu instid0(SALU_CYCLE_1)
	s_xor_b32 s1, exec_lo, s30
; %bb.16:                               ;   in Loop: Header=BB211_15 Depth=2
	v_min_i32_e32 v55, v58, v55
                                        ; implicit-def: $vgpr57
                                        ; implicit-def: $vgpr6
; %bb.17:                               ;   in Loop: Header=BB211_15 Depth=2
	s_or_saveexec_b32 s1, s1
	v_mov_b32_e32 v29, v28
	s_xor_b32 exec_lo, exec_lo, s1
	s_cbranch_execz .LBB211_14
; %bb.18:                               ;   in Loop: Header=BB211_15 Depth=2
	global_load_b128 v[58:61], v[32:33], off
	v_sub_nc_u32_e32 v29, v57, v5
	s_delay_alu instid0(VALU_DEP_1)
	v_lshl_add_u32 v57, v29, 4, v37
	v_mov_b32_e32 v29, v6
	ds_store_b8 v34, v54 offset:32768
	s_wait_loadcnt 0x0
	ds_store_2addr_b64 v57, v[58:59], v[60:61] offset1:1
	s_branch .LBB211_14
.LBB211_19:                             ;   in Loop: Header=BB211_10 Depth=1
	s_or_b32 exec_lo, exec_lo, s29
.LBB211_20:                             ;   in Loop: Header=BB211_10 Depth=1
	s_delay_alu instid0(SALU_CYCLE_1)
	s_or_b32 exec_lo, exec_lo, s28
	ds_bpermute_b32 v5, v38, v29
	s_wait_dscnt 0x0
	ds_load_u8 v6, v34 offset:32768
	v_min_i32_e32 v5, v5, v29
	ds_bpermute_b32 v32, v39, v5
	s_wait_dscnt 0x1
	v_and_b32_e32 v5, 1, v6
	s_delay_alu instid0(VALU_DEP_1)
	v_cmp_eq_u32_e32 vcc_lo, 1, v5
	v_mov_b32_e32 v5, 0
	s_and_saveexec_b32 s1, vcc_lo
	s_cbranch_execz .LBB211_9
; %bb.21:                               ;   in Loop: Header=BB211_10 Depth=1
	v_ashrrev_i32_e32 v5, 31, v4
	s_delay_alu instid0(VALU_DEP_1) | instskip(SKIP_3) | instid1(VALU_DEP_1)
	v_mul_u64_e32 v[28:29], s[22:23], v[4:5]
	v_add_nc_u32_e32 v5, s25, v56
	global_store_b32 v4, v5, s[12:13] scale_offset
	v_lshlrev_b64_e32 v[28:29], 4, v[28:29]
	v_add_nc_u64_e32 v[30:31], v[8:9], v[28:29]
	v_add_nc_u64_e32 v[28:29], v[10:11], v[28:29]
	s_wait_xcnt 0x0
	s_and_saveexec_b32 s28, s20
	s_cbranch_execz .LBB211_23
; %bb.22:                               ;   in Loop: Header=BB211_10 Depth=1
	ds_load_2addr_b64 v[56:59], v40 offset1:1
	v_lshl_add_u64 v[60:61], v[12:13], 4, v[30:31]
	s_delay_alu instid0(VALU_DEP_1)
	v_dual_cndmask_b32 v61, v61, v29, s0 :: v_dual_cndmask_b32 v60, v60, v28, s0
	s_wait_dscnt 0x0
	global_store_b128 v[60:61], v[56:59], off
.LBB211_23:                             ;   in Loop: Header=BB211_10 Depth=1
	s_wait_xcnt 0x0
	s_or_b32 exec_lo, exec_lo, s28
	s_and_saveexec_b32 s28, s2
	s_cbranch_execz .LBB211_28
; %bb.24:                               ;   in Loop: Header=BB211_10 Depth=1
	s_and_not1_b32 vcc_lo, exec_lo, s26
	s_mov_b32 s29, -1
	s_cbranch_vccnz .LBB211_26
; %bb.25:                               ;   in Loop: Header=BB211_10 Depth=1
	ds_load_2addr_b64 v[56:59], v46 offset1:1
	v_lshl_add_u64 v[60:61], v[14:15], 4, v[30:31]
	s_mov_b32 s29, 0
	s_wait_dscnt 0x0
	global_store_b128 v[60:61], v[56:59], off
.LBB211_26:                             ;   in Loop: Header=BB211_10 Depth=1
	s_and_not1_b32 vcc_lo, exec_lo, s29
	s_cbranch_vccnz .LBB211_28
; %bb.27:                               ;   in Loop: Header=BB211_10 Depth=1
	s_wait_xcnt 0x0
	ds_load_2addr_b64 v[56:59], v46 offset1:1
	s_wait_dscnt 0x0
	global_store_b128 v[28:29], v[56:59], off offset:32
.LBB211_28:                             ;   in Loop: Header=BB211_10 Depth=1
	s_wait_xcnt 0x0
	s_or_b32 exec_lo, exec_lo, s28
	s_and_saveexec_b32 s28, s3
	s_cbranch_execz .LBB211_33
; %bb.29:                               ;   in Loop: Header=BB211_10 Depth=1
	s_and_not1_b32 vcc_lo, exec_lo, s26
	s_mov_b32 s29, -1
	s_cbranch_vccnz .LBB211_31
; %bb.30:                               ;   in Loop: Header=BB211_10 Depth=1
	ds_load_2addr_b64 v[56:59], v47 offset1:1
	v_lshl_add_u64 v[60:61], v[16:17], 4, v[30:31]
	s_mov_b32 s29, 0
	s_wait_dscnt 0x0
	global_store_b128 v[60:61], v[56:59], off
.LBB211_31:                             ;   in Loop: Header=BB211_10 Depth=1
	s_and_not1_b32 vcc_lo, exec_lo, s29
	s_cbranch_vccnz .LBB211_33
; %bb.32:                               ;   in Loop: Header=BB211_10 Depth=1
	s_wait_xcnt 0x0
	ds_load_2addr_b64 v[56:59], v47 offset1:1
	s_wait_dscnt 0x0
	global_store_b128 v[28:29], v[56:59], off offset:64
.LBB211_33:                             ;   in Loop: Header=BB211_10 Depth=1
	;; [unrolled: 23-line block ×6, first 2 shown]
	s_wait_xcnt 0x0
	s_or_b32 exec_lo, exec_lo, s28
	s_and_saveexec_b32 s28, s8
	s_cbranch_execz .LBB211_8
; %bb.54:                               ;   in Loop: Header=BB211_10 Depth=1
	s_and_not1_b32 vcc_lo, exec_lo, s26
	s_mov_b32 s29, -1
	s_cbranch_vccnz .LBB211_56
; %bb.55:                               ;   in Loop: Header=BB211_10 Depth=1
	ds_load_2addr_b64 v[56:59], v52 offset1:1
	v_lshl_add_u64 v[30:31], v[26:27], 4, v[30:31]
	s_mov_b32 s29, 0
	s_wait_dscnt 0x0
	global_store_b128 v[30:31], v[56:59], off
.LBB211_56:                             ;   in Loop: Header=BB211_10 Depth=1
	s_and_not1_b32 vcc_lo, exec_lo, s29
	s_cbranch_vccnz .LBB211_8
; %bb.57:                               ;   in Loop: Header=BB211_10 Depth=1
	s_wait_xcnt 0x0
	ds_load_2addr_b64 v[56:59], v52 offset1:1
	s_wait_dscnt 0x0
	global_store_b128 v[28:29], v[56:59], off offset:224
	s_branch .LBB211_8
.LBB211_58:
	s_endpgm
	.section	.rodata,"a",@progbits
	.p2align	6, 0x0
	.amdhsa_kernel _ZN9rocsparseL44csr2gebsr_wavefront_per_row_multipass_kernelILi256ELi16ELi16ELi32E21rocsparse_complex_numIdEEEv20rocsparse_direction_iiiiii21rocsparse_index_base_PKT3_PKiS9_S4_PS5_PiSB_
		.amdhsa_group_segment_fixed_size 32776
		.amdhsa_private_segment_fixed_size 0
		.amdhsa_kernarg_size 88
		.amdhsa_user_sgpr_count 2
		.amdhsa_user_sgpr_dispatch_ptr 0
		.amdhsa_user_sgpr_queue_ptr 0
		.amdhsa_user_sgpr_kernarg_segment_ptr 1
		.amdhsa_user_sgpr_dispatch_id 0
		.amdhsa_user_sgpr_kernarg_preload_length 0
		.amdhsa_user_sgpr_kernarg_preload_offset 0
		.amdhsa_user_sgpr_private_segment_size 0
		.amdhsa_wavefront_size32 1
		.amdhsa_uses_dynamic_stack 0
		.amdhsa_enable_private_segment 0
		.amdhsa_system_sgpr_workgroup_id_x 1
		.amdhsa_system_sgpr_workgroup_id_y 0
		.amdhsa_system_sgpr_workgroup_id_z 0
		.amdhsa_system_sgpr_workgroup_info 0
		.amdhsa_system_vgpr_workitem_id 0
		.amdhsa_next_free_vgpr 62
		.amdhsa_next_free_sgpr 31
		.amdhsa_named_barrier_count 0
		.amdhsa_reserve_vcc 1
		.amdhsa_float_round_mode_32 0
		.amdhsa_float_round_mode_16_64 0
		.amdhsa_float_denorm_mode_32 3
		.amdhsa_float_denorm_mode_16_64 3
		.amdhsa_fp16_overflow 0
		.amdhsa_memory_ordered 1
		.amdhsa_forward_progress 1
		.amdhsa_inst_pref_size 19
		.amdhsa_round_robin_scheduling 0
		.amdhsa_exception_fp_ieee_invalid_op 0
		.amdhsa_exception_fp_denorm_src 0
		.amdhsa_exception_fp_ieee_div_zero 0
		.amdhsa_exception_fp_ieee_overflow 0
		.amdhsa_exception_fp_ieee_underflow 0
		.amdhsa_exception_fp_ieee_inexact 0
		.amdhsa_exception_int_div_zero 0
	.end_amdhsa_kernel
	.section	.text._ZN9rocsparseL44csr2gebsr_wavefront_per_row_multipass_kernelILi256ELi16ELi16ELi32E21rocsparse_complex_numIdEEEv20rocsparse_direction_iiiiii21rocsparse_index_base_PKT3_PKiS9_S4_PS5_PiSB_,"axG",@progbits,_ZN9rocsparseL44csr2gebsr_wavefront_per_row_multipass_kernelILi256ELi16ELi16ELi32E21rocsparse_complex_numIdEEEv20rocsparse_direction_iiiiii21rocsparse_index_base_PKT3_PKiS9_S4_PS5_PiSB_,comdat
.Lfunc_end211:
	.size	_ZN9rocsparseL44csr2gebsr_wavefront_per_row_multipass_kernelILi256ELi16ELi16ELi32E21rocsparse_complex_numIdEEEv20rocsparse_direction_iiiiii21rocsparse_index_base_PKT3_PKiS9_S4_PS5_PiSB_, .Lfunc_end211-_ZN9rocsparseL44csr2gebsr_wavefront_per_row_multipass_kernelILi256ELi16ELi16ELi32E21rocsparse_complex_numIdEEEv20rocsparse_direction_iiiiii21rocsparse_index_base_PKT3_PKiS9_S4_PS5_PiSB_
                                        ; -- End function
	.set _ZN9rocsparseL44csr2gebsr_wavefront_per_row_multipass_kernelILi256ELi16ELi16ELi32E21rocsparse_complex_numIdEEEv20rocsparse_direction_iiiiii21rocsparse_index_base_PKT3_PKiS9_S4_PS5_PiSB_.num_vgpr, 62
	.set _ZN9rocsparseL44csr2gebsr_wavefront_per_row_multipass_kernelILi256ELi16ELi16ELi32E21rocsparse_complex_numIdEEEv20rocsparse_direction_iiiiii21rocsparse_index_base_PKT3_PKiS9_S4_PS5_PiSB_.num_agpr, 0
	.set _ZN9rocsparseL44csr2gebsr_wavefront_per_row_multipass_kernelILi256ELi16ELi16ELi32E21rocsparse_complex_numIdEEEv20rocsparse_direction_iiiiii21rocsparse_index_base_PKT3_PKiS9_S4_PS5_PiSB_.numbered_sgpr, 31
	.set _ZN9rocsparseL44csr2gebsr_wavefront_per_row_multipass_kernelILi256ELi16ELi16ELi32E21rocsparse_complex_numIdEEEv20rocsparse_direction_iiiiii21rocsparse_index_base_PKT3_PKiS9_S4_PS5_PiSB_.num_named_barrier, 0
	.set _ZN9rocsparseL44csr2gebsr_wavefront_per_row_multipass_kernelILi256ELi16ELi16ELi32E21rocsparse_complex_numIdEEEv20rocsparse_direction_iiiiii21rocsparse_index_base_PKT3_PKiS9_S4_PS5_PiSB_.private_seg_size, 0
	.set _ZN9rocsparseL44csr2gebsr_wavefront_per_row_multipass_kernelILi256ELi16ELi16ELi32E21rocsparse_complex_numIdEEEv20rocsparse_direction_iiiiii21rocsparse_index_base_PKT3_PKiS9_S4_PS5_PiSB_.uses_vcc, 1
	.set _ZN9rocsparseL44csr2gebsr_wavefront_per_row_multipass_kernelILi256ELi16ELi16ELi32E21rocsparse_complex_numIdEEEv20rocsparse_direction_iiiiii21rocsparse_index_base_PKT3_PKiS9_S4_PS5_PiSB_.uses_flat_scratch, 0
	.set _ZN9rocsparseL44csr2gebsr_wavefront_per_row_multipass_kernelILi256ELi16ELi16ELi32E21rocsparse_complex_numIdEEEv20rocsparse_direction_iiiiii21rocsparse_index_base_PKT3_PKiS9_S4_PS5_PiSB_.has_dyn_sized_stack, 0
	.set _ZN9rocsparseL44csr2gebsr_wavefront_per_row_multipass_kernelILi256ELi16ELi16ELi32E21rocsparse_complex_numIdEEEv20rocsparse_direction_iiiiii21rocsparse_index_base_PKT3_PKiS9_S4_PS5_PiSB_.has_recursion, 0
	.set _ZN9rocsparseL44csr2gebsr_wavefront_per_row_multipass_kernelILi256ELi16ELi16ELi32E21rocsparse_complex_numIdEEEv20rocsparse_direction_iiiiii21rocsparse_index_base_PKT3_PKiS9_S4_PS5_PiSB_.has_indirect_call, 0
	.section	.AMDGPU.csdata,"",@progbits
; Kernel info:
; codeLenInByte = 2428
; TotalNumSgprs: 33
; NumVgprs: 62
; ScratchSize: 0
; MemoryBound: 0
; FloatMode: 240
; IeeeMode: 1
; LDSByteSize: 32776 bytes/workgroup (compile time only)
; SGPRBlocks: 0
; VGPRBlocks: 3
; NumSGPRsForWavesPerEU: 33
; NumVGPRsForWavesPerEU: 62
; NamedBarCnt: 0
; Occupancy: 16
; WaveLimiterHint : 0
; COMPUTE_PGM_RSRC2:SCRATCH_EN: 0
; COMPUTE_PGM_RSRC2:USER_SGPR: 2
; COMPUTE_PGM_RSRC2:TRAP_HANDLER: 0
; COMPUTE_PGM_RSRC2:TGID_X_EN: 1
; COMPUTE_PGM_RSRC2:TGID_Y_EN: 0
; COMPUTE_PGM_RSRC2:TGID_Z_EN: 0
; COMPUTE_PGM_RSRC2:TIDIG_COMP_CNT: 0
	.section	.text._ZN9rocsparseL40csr2gebsr_block_per_row_multipass_kernelILj128ELj16ELj32E21rocsparse_complex_numIdEEEv20rocsparse_direction_iiiiii21rocsparse_index_base_PKT2_PKiS9_S4_PS5_PiSB_,"axG",@progbits,_ZN9rocsparseL40csr2gebsr_block_per_row_multipass_kernelILj128ELj16ELj32E21rocsparse_complex_numIdEEEv20rocsparse_direction_iiiiii21rocsparse_index_base_PKT2_PKiS9_S4_PS5_PiSB_,comdat
	.globl	_ZN9rocsparseL40csr2gebsr_block_per_row_multipass_kernelILj128ELj16ELj32E21rocsparse_complex_numIdEEEv20rocsparse_direction_iiiiii21rocsparse_index_base_PKT2_PKiS9_S4_PS5_PiSB_ ; -- Begin function _ZN9rocsparseL40csr2gebsr_block_per_row_multipass_kernelILj128ELj16ELj32E21rocsparse_complex_numIdEEEv20rocsparse_direction_iiiiii21rocsparse_index_base_PKT2_PKiS9_S4_PS5_PiSB_
	.p2align	8
	.type	_ZN9rocsparseL40csr2gebsr_block_per_row_multipass_kernelILj128ELj16ELj32E21rocsparse_complex_numIdEEEv20rocsparse_direction_iiiiii21rocsparse_index_base_PKT2_PKiS9_S4_PS5_PiSB_,@function
_ZN9rocsparseL40csr2gebsr_block_per_row_multipass_kernelILj128ELj16ELj32E21rocsparse_complex_numIdEEEv20rocsparse_direction_iiiiii21rocsparse_index_base_PKT2_PKiS9_S4_PS5_PiSB_: ; @_ZN9rocsparseL40csr2gebsr_block_per_row_multipass_kernelILj128ELj16ELj32E21rocsparse_complex_numIdEEEv20rocsparse_direction_iiiiii21rocsparse_index_base_PKT2_PKiS9_S4_PS5_PiSB_
; %bb.0:
	s_clause 0x1
	s_load_b128 s[12:15], s[0:1], 0x10
	s_load_b64 s[6:7], s[0:1], 0x0
	s_bfe_u32 s2, ttmp6, 0x4000c
	s_and_b32 s3, ttmp6, 15
	s_add_co_i32 s2, s2, 1
	s_getreg_b32 s4, hwreg(HW_REG_IB_STS2, 6, 4)
	s_mul_i32 s2, ttmp9, s2
	v_dual_mov_b32 v22, 0 :: v_dual_lshrrev_b32 v1, 3, v0
	s_add_co_i32 s3, s3, s2
	s_cmp_eq_u32 s4, 0
	s_load_b64 s[8:9], s[0:1], 0x28
	s_cselect_b32 s4, ttmp9, s3
	v_mov_b32_e32 v34, 0
	s_wait_kmcnt 0x0
	v_mad_u32 v2, s13, s4, v1
	v_cmp_gt_i32_e32 vcc_lo, s13, v1
	s_delay_alu instid0(VALU_DEP_2) | instskip(SKIP_1) | instid1(SALU_CYCLE_1)
	v_cmp_gt_i32_e64 s2, s7, v2
	s_and_b32 s2, vcc_lo, s2
	s_and_saveexec_b32 s3, s2
	s_cbranch_execnz .LBB212_3
; %bb.1:
	s_or_b32 exec_lo, exec_lo, s3
	s_and_saveexec_b32 s3, s2
	s_cbranch_execnz .LBB212_4
.LBB212_2:
	s_or_b32 exec_lo, exec_lo, s3
	s_cmp_lt_i32 s12, 1
	s_cbranch_scc0 .LBB212_5
	s_branch .LBB212_39
.LBB212_3:
	global_load_b32 v3, v2, s[8:9] scale_offset
	s_wait_loadcnt 0x0
	v_subrev_nc_u32_e32 v34, s15, v3
	s_or_b32 exec_lo, exec_lo, s3
	s_and_saveexec_b32 s3, s2
	s_cbranch_execz .LBB212_2
.LBB212_4:
	global_load_b32 v2, v2, s[8:9] offset:4 scale_offset
	s_wait_loadcnt 0x0
	v_subrev_nc_u32_e32 v22, s15, v2
	s_or_b32 exec_lo, exec_lo, s3
	s_cmp_lt_i32 s12, 1
	s_cbranch_scc1 .LBB212_39
.LBB212_5:
	s_clause 0x3
	s_load_b128 s[8:11], s[0:1], 0x40
	s_load_b64 s[20:21], s[0:1], 0x50
	s_load_b96 s[16:18], s[0:1], 0x30
	s_load_b64 s[22:23], s[0:1], 0x20
	v_mbcnt_lo_u32_b32 v3, -1, 0
	s_ashr_i32 s5, s4, 31
	v_dual_lshlrev_b32 v24, 9, v1 :: v_dual_bitop2_b32 v23, 7, v0 bitop3:0x40
	s_lshl_b64 s[4:5], s[4:5], 2
	v_dual_mov_b32 v5, 0 :: v_dual_lshlrev_b32 v4, 4, v1
	v_mul_lo_u32 v2, s14, v1
	v_xor_b32_e32 v1, 4, v3
	v_lshl_or_b32 v26, v3, 2, 28
	v_dual_lshlrev_b32 v25, 2, v0 :: v_dual_lshlrev_b32 v8, 4, v23
	v_mov_b32_e32 v9, v5
	v_mul_lo_u32 v10, v23, s13
	s_wait_xcnt 0x0
	v_cmp_gt_u32_e64 s0, 64, v0
	v_cmp_gt_u32_e64 s1, 32, v0
	s_wait_kmcnt 0x0
	s_add_nc_u64 s[4:5], s[10:11], s[4:5]
	v_cmp_gt_u32_e64 s2, 16, v0
	s_load_b32 s7, s[4:5], 0x0
	s_wait_xcnt 0x0
	v_cmp_gt_i32_e64 s5, 32, v1
	v_xor_b32_e32 v6, 2, v3
	v_cmp_gt_u32_e64 s3, 8, v0
	v_cmp_gt_u32_e64 s4, 4, v0
	s_mov_b32 s25, 0
	v_cndmask_b32_e64 v1, v3, v1, s5
	v_cmp_gt_i32_e64 s5, 32, v6
	v_xor_b32_e32 v7, 1, v3
	v_or_b32_e32 v27, v24, v8
	s_mov_b32 s24, s13
	v_dual_lshlrev_b32 v28, 2, v1 :: v_dual_cndmask_b32 v6, v3, v6, s5
	s_delay_alu instid0(VALU_DEP_3)
	v_cmp_gt_i32_e64 s5, 32, v7
	s_mov_b32 s26, s14
	v_mov_b32_e32 v13, v5
	s_mov_b32 s36, s25
	s_mov_b32 s37, s25
	v_dual_cndmask_b32 v7, v3, v7, s5 :: v_dual_ashrrev_i32 v3, 31, v2
	s_wait_kmcnt 0x0
	s_sub_co_i32 s10, s7, s18
	s_cmp_eq_u32 s6, 0
	s_delay_alu instid0(VALU_DEP_1)
	v_dual_lshlrev_b32 v29, 2, v6 :: v_dual_lshlrev_b32 v30, 2, v7
	v_lshl_add_u64 v[2:3], v[2:3], 4, s[8:9]
	v_add_nc_u64_e32 v[6:7], s[8:9], v[4:5]
	s_cselect_b32 s5, -1, 0
	s_abs_i32 s9, s14
	v_cmp_gt_u32_e64 s6, 2, v0
	s_cvt_f32_u32 s11, s9
	v_cmp_eq_u32_e64 s7, 0, v0
	v_cmp_gt_u32_e64 s8, s14, v23
	v_dual_mov_b32 v11, v5 :: v_dual_bitop2_b32 v0, 8, v23 bitop3:0x54
	v_rcp_iflag_f32_e32 v1, s11
	s_lshl_b32 s11, s13, 3
	s_ashr_i32 s27, s14, 31
	s_and_b32 s19, vcc_lo, s8
	v_cmp_gt_u32_e64 s8, s14, v0
	v_dual_add_nc_u32 v12, s11, v10 :: v_dual_bitop2_b32 v0, 16, v23 bitop3:0x54
	s_mul_u64 s[28:29], s[26:27], s[24:25]
	v_readfirstlane_b32 s24, v1
	s_and_b32 s13, vcc_lo, s8
	v_cmp_gt_u32_e64 s8, s14, v0
	v_dual_mov_b32 v15, v5 :: v_dual_add_nc_u32 v14, s11, v12
	s_mul_f32 s24, s24, 0x4f7ffffe
	v_or_b32_e32 v0, 24, v23
	s_mov_b32 s38, s25
	s_delay_alu instid0(VALU_DEP_2)
	v_dual_mov_b32 v17, v5 :: v_dual_add_nc_u32 v16, s11, v14
	s_cvt_u32_f32 s11, s24
	s_mov_b32 s39, s25
	v_add_nc_u64_e32 v[8:9], v[2:3], v[8:9]
	s_and_b32 s26, vcc_lo, s8
	v_cmp_gt_u32_e64 s8, s14, v0
	s_sub_co_i32 s24, 0, s9
	v_mov_b64_e32 v[0:1], s[36:37]
	v_mov_b64_e32 v[2:3], s[38:39]
	s_mul_i32 s24, s24, s11
	v_or_b32_e32 v31, 0x80, v27
	v_or_b32_e32 v32, 0x100, v27
	;; [unrolled: 1-line block ×3, first 2 shown]
	v_dual_mov_b32 v35, 1 :: v_dual_mov_b32 v20, 0
	s_mul_hi_u32 s24, s11, s24
	s_and_b32 s30, vcc_lo, s8
	s_add_co_i32 s24, s11, s24
	s_branch .LBB212_7
.LBB212_6:                              ;   in Loop: Header=BB212_7 Depth=1
	s_or_b32 exec_lo, exec_lo, s11
	s_wait_dscnt 0x0
	s_barrier_signal -1
	s_barrier_wait -1
	ds_load_b32 v20, v5
	s_add_co_i32 s10, s8, s10
	s_wait_dscnt 0x0
	s_barrier_signal -1
	s_barrier_wait -1
	v_cmp_gt_i32_e32 vcc_lo, s12, v20
	s_cbranch_vccz .LBB212_39
.LBB212_7:                              ; =>This Loop Header: Depth=1
                                        ;     Child Loop BB212_10 Depth 2
	v_dual_add_nc_u32 v18, v34, v23 :: v_dual_mov_b32 v36, s12
	v_mov_b32_e32 v19, v22
	s_mov_b32 s11, exec_lo
	ds_store_b8 v5, v5 offset:8192
	ds_store_b128 v27, v[0:3]
	ds_store_b128 v27, v[0:3] offset:128
	ds_store_b128 v27, v[0:3] offset:256
	;; [unrolled: 1-line block ×3, first 2 shown]
	s_wait_dscnt 0x0
	s_barrier_signal -1
	s_barrier_wait -1
	v_cmpx_lt_i32_e64 v18, v22
	s_cbranch_execz .LBB212_15
; %bb.8:                                ;   in Loop: Header=BB212_7 Depth=1
	v_mul_lo_u32 v21, v20, s14
	v_dual_mov_b32 v36, s12 :: v_dual_mov_b32 v19, v22
	s_mov_b32 s31, 0
	s_branch .LBB212_10
.LBB212_9:                              ;   in Loop: Header=BB212_10 Depth=2
	s_wait_xcnt 0x0
	s_or_b32 exec_lo, exec_lo, s8
	v_add_nc_u32_e32 v18, 8, v18
	s_xor_b32 s33, vcc_lo, -1
	s_delay_alu instid0(VALU_DEP_1) | instskip(SKIP_1) | instid1(SALU_CYCLE_1)
	v_cmp_ge_i32_e64 s8, v18, v22
	s_or_b32 s8, s33, s8
	s_and_b32 s8, exec_lo, s8
	s_delay_alu instid0(SALU_CYCLE_1) | instskip(NEXT) | instid1(SALU_CYCLE_1)
	s_or_b32 s31, s8, s31
	s_and_not1_b32 exec_lo, exec_lo, s31
	s_cbranch_execz .LBB212_14
.LBB212_10:                             ;   Parent Loop BB212_7 Depth=1
                                        ; =>  This Inner Loop Header: Depth=2
	global_load_b32 v4, v18, s[16:17] scale_offset
	s_wait_loadcnt 0x0
	v_subrev_nc_u32_e32 v34, s15, v4
	s_delay_alu instid0(VALU_DEP_1) | instskip(NEXT) | instid1(VALU_DEP_1)
	v_sub_nc_u32_e32 v4, 0, v34
	v_max_i32_e32 v4, v34, v4
	s_delay_alu instid0(VALU_DEP_1) | instskip(NEXT) | instid1(VALU_DEP_1)
	v_mul_u64_e32 v[38:39], s[24:25], v[4:5]
	v_mul_lo_u32 v37, v39, s9
	s_delay_alu instid0(VALU_DEP_1) | instskip(NEXT) | instid1(VALU_DEP_1)
	v_dual_sub_nc_u32 v4, v4, v37 :: v_dual_add_nc_u32 v37, 1, v39
	v_cmp_le_u32_e32 vcc_lo, s9, v4
	s_delay_alu instid0(VALU_DEP_2) | instskip(SKIP_1) | instid1(VALU_DEP_1)
	v_dual_cndmask_b32 v37, v39, v37, vcc_lo :: v_dual_ashrrev_i32 v39, 31, v34
	v_subrev_nc_u32_e32 v38, s9, v4
	v_dual_cndmask_b32 v4, v4, v38, vcc_lo :: v_dual_add_nc_u32 v38, 1, v37
	s_delay_alu instid0(VALU_DEP_1) | instskip(NEXT) | instid1(VALU_DEP_2)
	v_cmp_le_u32_e32 vcc_lo, s9, v4
	v_dual_cndmask_b32 v4, v37, v38, vcc_lo :: v_dual_bitop2_b32 v39, s27, v39 bitop3:0x14
	s_delay_alu instid0(VALU_DEP_1) | instskip(NEXT) | instid1(VALU_DEP_1)
	v_xor_b32_e32 v4, v4, v39
	v_dual_mov_b32 v4, v19 :: v_dual_sub_nc_u32 v37, v4, v39
	s_delay_alu instid0(VALU_DEP_1) | instskip(SKIP_3) | instid1(SALU_CYCLE_1)
	v_cmp_ne_u32_e64 s8, v37, v20
	v_cmp_eq_u32_e32 vcc_lo, v37, v20
	s_wait_xcnt 0x0
	s_and_saveexec_b32 s33, s8
	s_xor_b32 s8, exec_lo, s33
; %bb.11:                               ;   in Loop: Header=BB212_10 Depth=2
	v_min_i32_e32 v36, v37, v36
                                        ; implicit-def: $vgpr34
                                        ; implicit-def: $vgpr4
; %bb.12:                               ;   in Loop: Header=BB212_10 Depth=2
	s_or_saveexec_b32 s8, s8
	v_mov_b32_e32 v19, v18
	s_xor_b32 exec_lo, exec_lo, s8
	s_cbranch_execz .LBB212_9
; %bb.13:                               ;   in Loop: Header=BB212_10 Depth=2
	v_ashrrev_i32_e32 v19, 31, v18
	s_delay_alu instid0(VALU_DEP_1)
	v_lshl_add_u64 v[38:39], v[18:19], 4, s[22:23]
	v_sub_nc_u32_e32 v19, v34, v21
	global_load_b128 v[38:41], v[38:39], off
	v_lshl_add_u32 v34, v19, 4, v24
	v_mov_b32_e32 v19, v4
	ds_store_b8 v5, v35 offset:8192
	s_wait_loadcnt 0x0
	ds_store_2addr_b64 v34, v[38:39], v[40:41] offset1:1
	s_branch .LBB212_9
.LBB212_14:                             ;   in Loop: Header=BB212_7 Depth=1
	s_or_b32 exec_lo, exec_lo, s31
.LBB212_15:                             ;   in Loop: Header=BB212_7 Depth=1
	s_delay_alu instid0(SALU_CYCLE_1)
	s_or_b32 exec_lo, exec_lo, s11
	ds_bpermute_b32 v4, v28, v19
	s_wait_dscnt 0x0
	s_barrier_signal -1
	s_barrier_wait -1
	s_mov_b32 s8, 0
	v_min_i32_e32 v4, v4, v19
	ds_load_u8 v19, v5 offset:8192
	ds_bpermute_b32 v18, v29, v4
	s_wait_dscnt 0x0
	v_min_i32_e32 v4, v18, v4
	ds_bpermute_b32 v18, v30, v4
	s_wait_dscnt 0x0
	v_min_i32_e32 v4, v18, v4
	ds_bpermute_b32 v34, v26, v4
	v_and_b32_e32 v4, 1, v19
	s_delay_alu instid0(VALU_DEP_1)
	v_cmp_eq_u32_e32 vcc_lo, 0, v4
	s_cbranch_vccnz .LBB212_22
; %bb.16:                               ;   in Loop: Header=BB212_7 Depth=1
	s_ashr_i32 s11, s10, 31
	v_dual_mov_b32 v37, s10 :: v_dual_add_nc_u32 v4, s18, v20
	s_mul_u64 s[34:35], s[28:29], s[10:11]
	s_delay_alu instid0(SALU_CYCLE_1) | instskip(NEXT) | instid1(SALU_CYCLE_1)
	s_lshl_b64 s[34:35], s[34:35], 4
	v_add_nc_u64_e32 v[18:19], s[34:35], v[6:7]
	v_add_nc_u64_e32 v[20:21], s[34:35], v[8:9]
	global_store_b32 v37, v4, s[20:21] scale_offset
	s_wait_xcnt 0x0
	s_and_saveexec_b32 s8, s19
	s_cbranch_execnz .LBB212_36
; %bb.17:                               ;   in Loop: Header=BB212_7 Depth=1
	s_or_b32 exec_lo, exec_lo, s8
	s_and_saveexec_b32 s8, s13
	s_cbranch_execnz .LBB212_37
.LBB212_18:                             ;   in Loop: Header=BB212_7 Depth=1
	s_or_b32 exec_lo, exec_lo, s8
	s_and_saveexec_b32 s8, s26
	s_cbranch_execnz .LBB212_38
.LBB212_19:                             ;   in Loop: Header=BB212_7 Depth=1
	s_or_b32 exec_lo, exec_lo, s8
	s_and_saveexec_b32 s8, s30
	s_cbranch_execz .LBB212_21
.LBB212_20:                             ;   in Loop: Header=BB212_7 Depth=1
	ds_load_2addr_b64 v[38:41], v33 offset1:1
	v_add_nc_u64_e32 v[20:21], 0x180, v[20:21]
	v_lshl_add_u64 v[18:19], v[16:17], 4, v[18:19]
	s_delay_alu instid0(VALU_DEP_1)
	v_dual_cndmask_b32 v19, v19, v21, s5 :: v_dual_cndmask_b32 v18, v18, v20, s5
	s_wait_dscnt 0x0
	global_store_b128 v[18:19], v[38:41], off
.LBB212_21:                             ;   in Loop: Header=BB212_7 Depth=1
	s_wait_xcnt 0x0
	s_or_b32 exec_lo, exec_lo, s8
	s_mov_b32 s8, 1
.LBB212_22:                             ;   in Loop: Header=BB212_7 Depth=1
	s_wait_storecnt_dscnt 0x0
	s_barrier_signal -1
	s_barrier_wait -1
	ds_store_b32 v25, v36
	s_wait_dscnt 0x0
	s_barrier_signal -1
	s_barrier_wait -1
	s_and_saveexec_b32 s11, s0
	s_cbranch_execz .LBB212_24
; %bb.23:                               ;   in Loop: Header=BB212_7 Depth=1
	ds_load_2addr_stride64_b32 v[18:19], v25 offset1:1
	s_wait_dscnt 0x0
	v_min_i32_e32 v4, v19, v18
	ds_store_b32 v25, v4
.LBB212_24:                             ;   in Loop: Header=BB212_7 Depth=1
	s_or_b32 exec_lo, exec_lo, s11
	s_wait_dscnt 0x0
	s_barrier_signal -1
	s_barrier_wait -1
	s_and_saveexec_b32 s11, s1
	s_cbranch_execz .LBB212_26
; %bb.25:                               ;   in Loop: Header=BB212_7 Depth=1
	ds_load_2addr_b32 v[18:19], v25 offset1:32
	s_wait_dscnt 0x0
	v_min_i32_e32 v4, v19, v18
	ds_store_b32 v25, v4
.LBB212_26:                             ;   in Loop: Header=BB212_7 Depth=1
	s_or_b32 exec_lo, exec_lo, s11
	s_wait_dscnt 0x0
	s_barrier_signal -1
	s_barrier_wait -1
	s_and_saveexec_b32 s11, s2
	s_cbranch_execz .LBB212_28
; %bb.27:                               ;   in Loop: Header=BB212_7 Depth=1
	ds_load_2addr_b32 v[18:19], v25 offset1:16
	s_wait_dscnt 0x0
	v_min_i32_e32 v4, v19, v18
	ds_store_b32 v25, v4
.LBB212_28:                             ;   in Loop: Header=BB212_7 Depth=1
	;; [unrolled: 12-line block ×5, first 2 shown]
	s_or_b32 exec_lo, exec_lo, s11
	s_wait_dscnt 0x0
	s_barrier_signal -1
	s_barrier_wait -1
	s_and_saveexec_b32 s11, s7
	s_cbranch_execz .LBB212_6
; %bb.35:                               ;   in Loop: Header=BB212_7 Depth=1
	ds_load_b64 v[18:19], v5
	s_wait_dscnt 0x0
	v_min_i32_e32 v4, v19, v18
	ds_store_b32 v5, v4
	s_branch .LBB212_6
.LBB212_36:                             ;   in Loop: Header=BB212_7 Depth=1
	ds_load_2addr_b64 v[38:41], v27 offset1:1
	v_lshl_add_u64 v[42:43], v[10:11], 4, v[18:19]
	s_delay_alu instid0(VALU_DEP_1)
	v_dual_cndmask_b32 v43, v43, v21, s5 :: v_dual_cndmask_b32 v42, v42, v20, s5
	s_wait_dscnt 0x0
	global_store_b128 v[42:43], v[38:41], off
	s_wait_xcnt 0x0
	s_or_b32 exec_lo, exec_lo, s8
	s_and_saveexec_b32 s8, s13
	s_cbranch_execz .LBB212_18
.LBB212_37:                             ;   in Loop: Header=BB212_7 Depth=1
	ds_load_2addr_b64 v[38:41], v31 offset1:1
	v_add_nc_u64_e32 v[42:43], 0x80, v[20:21]
	v_lshl_add_u64 v[44:45], v[12:13], 4, v[18:19]
	s_delay_alu instid0(VALU_DEP_1)
	v_dual_cndmask_b32 v43, v45, v43, s5 :: v_dual_cndmask_b32 v42, v44, v42, s5
	s_wait_dscnt 0x0
	global_store_b128 v[42:43], v[38:41], off
	s_wait_xcnt 0x0
	s_or_b32 exec_lo, exec_lo, s8
	s_and_saveexec_b32 s8, s26
	s_cbranch_execz .LBB212_19
.LBB212_38:                             ;   in Loop: Header=BB212_7 Depth=1
	ds_load_2addr_b64 v[38:41], v32 offset1:1
	v_add_nc_u64_e32 v[42:43], 0x100, v[20:21]
	v_lshl_add_u64 v[44:45], v[14:15], 4, v[18:19]
	s_delay_alu instid0(VALU_DEP_1)
	v_dual_cndmask_b32 v43, v45, v43, s5 :: v_dual_cndmask_b32 v42, v44, v42, s5
	s_wait_dscnt 0x0
	global_store_b128 v[42:43], v[38:41], off
	s_wait_xcnt 0x0
	s_or_b32 exec_lo, exec_lo, s8
	s_and_saveexec_b32 s8, s30
	s_cbranch_execnz .LBB212_20
	s_branch .LBB212_21
.LBB212_39:
	s_endpgm
	.section	.rodata,"a",@progbits
	.p2align	6, 0x0
	.amdhsa_kernel _ZN9rocsparseL40csr2gebsr_block_per_row_multipass_kernelILj128ELj16ELj32E21rocsparse_complex_numIdEEEv20rocsparse_direction_iiiiii21rocsparse_index_base_PKT2_PKiS9_S4_PS5_PiSB_
		.amdhsa_group_segment_fixed_size 8200
		.amdhsa_private_segment_fixed_size 0
		.amdhsa_kernarg_size 88
		.amdhsa_user_sgpr_count 2
		.amdhsa_user_sgpr_dispatch_ptr 0
		.amdhsa_user_sgpr_queue_ptr 0
		.amdhsa_user_sgpr_kernarg_segment_ptr 1
		.amdhsa_user_sgpr_dispatch_id 0
		.amdhsa_user_sgpr_kernarg_preload_length 0
		.amdhsa_user_sgpr_kernarg_preload_offset 0
		.amdhsa_user_sgpr_private_segment_size 0
		.amdhsa_wavefront_size32 1
		.amdhsa_uses_dynamic_stack 0
		.amdhsa_enable_private_segment 0
		.amdhsa_system_sgpr_workgroup_id_x 1
		.amdhsa_system_sgpr_workgroup_id_y 0
		.amdhsa_system_sgpr_workgroup_id_z 0
		.amdhsa_system_sgpr_workgroup_info 0
		.amdhsa_system_vgpr_workitem_id 0
		.amdhsa_next_free_vgpr 46
		.amdhsa_next_free_sgpr 40
		.amdhsa_named_barrier_count 0
		.amdhsa_reserve_vcc 1
		.amdhsa_float_round_mode_32 0
		.amdhsa_float_round_mode_16_64 0
		.amdhsa_float_denorm_mode_32 3
		.amdhsa_float_denorm_mode_16_64 3
		.amdhsa_fp16_overflow 0
		.amdhsa_memory_ordered 1
		.amdhsa_forward_progress 1
		.amdhsa_inst_pref_size 16
		.amdhsa_round_robin_scheduling 0
		.amdhsa_exception_fp_ieee_invalid_op 0
		.amdhsa_exception_fp_denorm_src 0
		.amdhsa_exception_fp_ieee_div_zero 0
		.amdhsa_exception_fp_ieee_overflow 0
		.amdhsa_exception_fp_ieee_underflow 0
		.amdhsa_exception_fp_ieee_inexact 0
		.amdhsa_exception_int_div_zero 0
	.end_amdhsa_kernel
	.section	.text._ZN9rocsparseL40csr2gebsr_block_per_row_multipass_kernelILj128ELj16ELj32E21rocsparse_complex_numIdEEEv20rocsparse_direction_iiiiii21rocsparse_index_base_PKT2_PKiS9_S4_PS5_PiSB_,"axG",@progbits,_ZN9rocsparseL40csr2gebsr_block_per_row_multipass_kernelILj128ELj16ELj32E21rocsparse_complex_numIdEEEv20rocsparse_direction_iiiiii21rocsparse_index_base_PKT2_PKiS9_S4_PS5_PiSB_,comdat
.Lfunc_end212:
	.size	_ZN9rocsparseL40csr2gebsr_block_per_row_multipass_kernelILj128ELj16ELj32E21rocsparse_complex_numIdEEEv20rocsparse_direction_iiiiii21rocsparse_index_base_PKT2_PKiS9_S4_PS5_PiSB_, .Lfunc_end212-_ZN9rocsparseL40csr2gebsr_block_per_row_multipass_kernelILj128ELj16ELj32E21rocsparse_complex_numIdEEEv20rocsparse_direction_iiiiii21rocsparse_index_base_PKT2_PKiS9_S4_PS5_PiSB_
                                        ; -- End function
	.set _ZN9rocsparseL40csr2gebsr_block_per_row_multipass_kernelILj128ELj16ELj32E21rocsparse_complex_numIdEEEv20rocsparse_direction_iiiiii21rocsparse_index_base_PKT2_PKiS9_S4_PS5_PiSB_.num_vgpr, 46
	.set _ZN9rocsparseL40csr2gebsr_block_per_row_multipass_kernelILj128ELj16ELj32E21rocsparse_complex_numIdEEEv20rocsparse_direction_iiiiii21rocsparse_index_base_PKT2_PKiS9_S4_PS5_PiSB_.num_agpr, 0
	.set _ZN9rocsparseL40csr2gebsr_block_per_row_multipass_kernelILj128ELj16ELj32E21rocsparse_complex_numIdEEEv20rocsparse_direction_iiiiii21rocsparse_index_base_PKT2_PKiS9_S4_PS5_PiSB_.numbered_sgpr, 40
	.set _ZN9rocsparseL40csr2gebsr_block_per_row_multipass_kernelILj128ELj16ELj32E21rocsparse_complex_numIdEEEv20rocsparse_direction_iiiiii21rocsparse_index_base_PKT2_PKiS9_S4_PS5_PiSB_.num_named_barrier, 0
	.set _ZN9rocsparseL40csr2gebsr_block_per_row_multipass_kernelILj128ELj16ELj32E21rocsparse_complex_numIdEEEv20rocsparse_direction_iiiiii21rocsparse_index_base_PKT2_PKiS9_S4_PS5_PiSB_.private_seg_size, 0
	.set _ZN9rocsparseL40csr2gebsr_block_per_row_multipass_kernelILj128ELj16ELj32E21rocsparse_complex_numIdEEEv20rocsparse_direction_iiiiii21rocsparse_index_base_PKT2_PKiS9_S4_PS5_PiSB_.uses_vcc, 1
	.set _ZN9rocsparseL40csr2gebsr_block_per_row_multipass_kernelILj128ELj16ELj32E21rocsparse_complex_numIdEEEv20rocsparse_direction_iiiiii21rocsparse_index_base_PKT2_PKiS9_S4_PS5_PiSB_.uses_flat_scratch, 0
	.set _ZN9rocsparseL40csr2gebsr_block_per_row_multipass_kernelILj128ELj16ELj32E21rocsparse_complex_numIdEEEv20rocsparse_direction_iiiiii21rocsparse_index_base_PKT2_PKiS9_S4_PS5_PiSB_.has_dyn_sized_stack, 0
	.set _ZN9rocsparseL40csr2gebsr_block_per_row_multipass_kernelILj128ELj16ELj32E21rocsparse_complex_numIdEEEv20rocsparse_direction_iiiiii21rocsparse_index_base_PKT2_PKiS9_S4_PS5_PiSB_.has_recursion, 0
	.set _ZN9rocsparseL40csr2gebsr_block_per_row_multipass_kernelILj128ELj16ELj32E21rocsparse_complex_numIdEEEv20rocsparse_direction_iiiiii21rocsparse_index_base_PKT2_PKiS9_S4_PS5_PiSB_.has_indirect_call, 0
	.section	.AMDGPU.csdata,"",@progbits
; Kernel info:
; codeLenInByte = 2048
; TotalNumSgprs: 42
; NumVgprs: 46
; ScratchSize: 0
; MemoryBound: 0
; FloatMode: 240
; IeeeMode: 1
; LDSByteSize: 8200 bytes/workgroup (compile time only)
; SGPRBlocks: 0
; VGPRBlocks: 2
; NumSGPRsForWavesPerEU: 42
; NumVGPRsForWavesPerEU: 46
; NamedBarCnt: 0
; Occupancy: 16
; WaveLimiterHint : 0
; COMPUTE_PGM_RSRC2:SCRATCH_EN: 0
; COMPUTE_PGM_RSRC2:USER_SGPR: 2
; COMPUTE_PGM_RSRC2:TRAP_HANDLER: 0
; COMPUTE_PGM_RSRC2:TGID_X_EN: 1
; COMPUTE_PGM_RSRC2:TGID_Y_EN: 0
; COMPUTE_PGM_RSRC2:TGID_Z_EN: 0
; COMPUTE_PGM_RSRC2:TIDIG_COMP_CNT: 0
	.section	.text._ZN9rocsparseL40csr2gebsr_block_per_row_multipass_kernelILj128ELj16ELj64E21rocsparse_complex_numIdEEEv20rocsparse_direction_iiiiii21rocsparse_index_base_PKT2_PKiS9_S4_PS5_PiSB_,"axG",@progbits,_ZN9rocsparseL40csr2gebsr_block_per_row_multipass_kernelILj128ELj16ELj64E21rocsparse_complex_numIdEEEv20rocsparse_direction_iiiiii21rocsparse_index_base_PKT2_PKiS9_S4_PS5_PiSB_,comdat
	.globl	_ZN9rocsparseL40csr2gebsr_block_per_row_multipass_kernelILj128ELj16ELj64E21rocsparse_complex_numIdEEEv20rocsparse_direction_iiiiii21rocsparse_index_base_PKT2_PKiS9_S4_PS5_PiSB_ ; -- Begin function _ZN9rocsparseL40csr2gebsr_block_per_row_multipass_kernelILj128ELj16ELj64E21rocsparse_complex_numIdEEEv20rocsparse_direction_iiiiii21rocsparse_index_base_PKT2_PKiS9_S4_PS5_PiSB_
	.p2align	8
	.type	_ZN9rocsparseL40csr2gebsr_block_per_row_multipass_kernelILj128ELj16ELj64E21rocsparse_complex_numIdEEEv20rocsparse_direction_iiiiii21rocsparse_index_base_PKT2_PKiS9_S4_PS5_PiSB_,@function
_ZN9rocsparseL40csr2gebsr_block_per_row_multipass_kernelILj128ELj16ELj64E21rocsparse_complex_numIdEEEv20rocsparse_direction_iiiiii21rocsparse_index_base_PKT2_PKiS9_S4_PS5_PiSB_: ; @_ZN9rocsparseL40csr2gebsr_block_per_row_multipass_kernelILj128ELj16ELj64E21rocsparse_complex_numIdEEEv20rocsparse_direction_iiiiii21rocsparse_index_base_PKT2_PKiS9_S4_PS5_PiSB_
; %bb.0:
	s_clause 0x1
	s_load_b128 s[12:15], s[0:1], 0x10
	s_load_b64 s[6:7], s[0:1], 0x0
	s_bfe_u32 s2, ttmp6, 0x4000c
	s_and_b32 s3, ttmp6, 15
	s_add_co_i32 s2, s2, 1
	s_getreg_b32 s4, hwreg(HW_REG_IB_STS2, 6, 4)
	s_mul_i32 s2, ttmp9, s2
	v_dual_mov_b32 v30, 0 :: v_dual_lshrrev_b32 v1, 3, v0
	s_add_co_i32 s3, s3, s2
	s_cmp_eq_u32 s4, 0
	s_load_b64 s[8:9], s[0:1], 0x28
	s_cselect_b32 s4, ttmp9, s3
	v_mov_b32_e32 v46, 0
	s_wait_kmcnt 0x0
	v_mad_u32 v2, s13, s4, v1
	v_cmp_gt_i32_e32 vcc_lo, s13, v1
	s_delay_alu instid0(VALU_DEP_2) | instskip(SKIP_1) | instid1(SALU_CYCLE_1)
	v_cmp_gt_i32_e64 s2, s7, v2
	s_and_b32 s2, vcc_lo, s2
	s_and_saveexec_b32 s3, s2
	s_cbranch_execnz .LBB213_3
; %bb.1:
	s_or_b32 exec_lo, exec_lo, s3
	s_and_saveexec_b32 s3, s2
	s_cbranch_execnz .LBB213_4
.LBB213_2:
	s_or_b32 exec_lo, exec_lo, s3
	s_cmp_lt_i32 s12, 1
	s_cbranch_scc0 .LBB213_5
	s_branch .LBB213_47
.LBB213_3:
	global_load_b32 v3, v2, s[8:9] scale_offset
	s_wait_loadcnt 0x0
	v_subrev_nc_u32_e32 v46, s15, v3
	s_or_b32 exec_lo, exec_lo, s3
	s_and_saveexec_b32 s3, s2
	s_cbranch_execz .LBB213_2
.LBB213_4:
	global_load_b32 v2, v2, s[8:9] offset:4 scale_offset
	s_wait_loadcnt 0x0
	v_subrev_nc_u32_e32 v30, s15, v2
	s_or_b32 exec_lo, exec_lo, s3
	s_cmp_lt_i32 s12, 1
	s_cbranch_scc1 .LBB213_47
.LBB213_5:
	s_clause 0x3
	s_load_b128 s[8:11], s[0:1], 0x40
	s_load_b64 s[20:21], s[0:1], 0x50
	s_load_b96 s[16:18], s[0:1], 0x30
	s_load_b64 s[22:23], s[0:1], 0x20
	v_mbcnt_lo_u32_b32 v3, -1, 0
	s_ashr_i32 s5, s4, 31
	v_dual_lshlrev_b32 v32, 10, v1 :: v_dual_bitop2_b32 v31, 7, v0 bitop3:0x40
	v_dual_mov_b32 v5, 0 :: v_dual_lshlrev_b32 v4, 4, v1
	v_mul_lo_u32 v2, s14, v1
	s_lshl_b64 s[4:5], s[4:5], 2
	v_xor_b32_e32 v1, 4, v3
	v_mul_lo_u32 v10, v31, s13
	v_mov_b32_e32 v9, v5
	v_lshl_or_b32 v34, v3, 2, 28
	v_dual_lshlrev_b32 v33, 2, v0 :: v_dual_lshlrev_b32 v8, 4, v31
	s_wait_xcnt 0x0
	v_cmp_gt_u32_e64 s0, 64, v0
	v_cmp_gt_u32_e64 s1, 32, v0
	s_wait_kmcnt 0x0
	s_add_nc_u64 s[4:5], s[10:11], s[4:5]
	v_cmp_gt_u32_e64 s2, 16, v0
	s_load_b32 s7, s[4:5], 0x0
	s_wait_xcnt 0x0
	v_cmp_gt_i32_e64 s5, 32, v1
	v_xor_b32_e32 v6, 2, v3
	v_cmp_gt_u32_e64 s3, 8, v0
	v_cmp_gt_u32_e64 s4, 4, v0
	s_mov_b32 s25, 0
	v_cndmask_b32_e64 v1, v3, v1, s5
	v_cmp_gt_i32_e64 s5, 32, v6
	v_xor_b32_e32 v7, 1, v3
	v_or_b32_e32 v35, v32, v8
	s_mov_b32 s24, s13
	v_dual_lshlrev_b32 v36, 2, v1 :: v_dual_cndmask_b32 v6, v3, v6, s5
	s_delay_alu instid0(VALU_DEP_3)
	v_cmp_gt_i32_e64 s5, 32, v7
	v_dual_mov_b32 v13, v5 :: v_dual_bitop2_b32 v1, 24, v31 bitop3:0x54
	s_mov_b32 s26, s14
	v_dual_mov_b32 v17, v5 :: v_dual_cndmask_b32 v7, v3, v7, s5
	v_ashrrev_i32_e32 v3, 31, v2
	s_wait_kmcnt 0x0
	s_sub_co_i32 s10, s7, s18
	v_lshlrev_b32_e32 v37, 2, v6
	s_cmp_eq_u32 s6, 0
	v_lshlrev_b32_e32 v38, 2, v7
	v_lshl_add_u64 v[2:3], v[2:3], 4, s[8:9]
	v_add_nc_u64_e32 v[6:7], s[8:9], v[4:5]
	v_cmp_gt_u32_e64 s6, 2, v0
	v_cmp_eq_u32_e64 s7, 0, v0
	v_cmp_gt_u32_e64 s8, s14, v31
	v_dual_mov_b32 v11, v5 :: v_dual_bitop2_b32 v0, 8, v31 bitop3:0x54
	s_cselect_b32 s5, -1, 0
	s_lshl_b32 s11, s13, 3
	s_and_b32 s19, vcc_lo, s8
	s_delay_alu instid0(VALU_DEP_1) | instskip(SKIP_4) | instid1(VALU_DEP_1)
	v_cmp_gt_u32_e64 s8, s14, v0
	v_dual_add_nc_u32 v12, s11, v10 :: v_dual_bitop2_b32 v0, 16, v31 bitop3:0x54
	s_ashr_i32 s27, s14, 31
	s_abs_i32 s31, s14
	s_and_b32 s13, vcc_lo, s8
	v_cmp_gt_u32_e64 s9, s14, v0
	v_dual_mov_b32 v15, v5 :: v_dual_add_nc_u32 v14, s11, v12
	v_cmp_gt_u32_e64 s8, s14, v1
	v_or_b32_e32 v1, 40, v31
	s_mul_u64 s[28:29], s[26:27], s[24:25]
	v_dual_add_nc_u32 v16, s11, v14 :: v_dual_bitop2_b32 v0, 32, v31 bitop3:0x54
	s_cvt_f32_u32 s24, s31
	s_and_b32 s26, vcc_lo, s9
	v_cmp_gt_u32_e64 s9, s14, v1
	s_and_b32 s30, vcc_lo, s8
	v_rcp_iflag_f32_e32 v1, s24
	v_add_nc_u32_e32 v18, s11, v16
	v_cmp_gt_u32_e64 s8, s14, v0
	v_dual_mov_b32 v19, v5 :: v_dual_bitop2_b32 v0, 48, v31 bitop3:0x54
	s_delay_alu instid0(VALU_DEP_3) | instskip(NEXT) | instid1(TRANS32_DEP_1)
	v_dual_mov_b32 v21, v5 :: v_dual_add_nc_u32 v20, s11, v18
	v_readfirstlane_b32 s24, v1
	s_and_b32 s33, vcc_lo, s8
	v_cmp_gt_u32_e64 s8, s14, v0
	v_dual_add_nc_u32 v22, s11, v20 :: v_dual_bitop2_b32 v0, 56, v31 bitop3:0x54
	v_mov_b32_e32 v23, v5
	s_mul_f32 s24, s24, 0x4f7ffffe
	s_mov_b32 s36, s25
	s_mov_b32 s37, s25
	v_dual_mov_b32 v25, v5 :: v_dual_add_nc_u32 v24, s11, v22
	s_cvt_u32_f32 s11, s24
	s_mov_b32 s38, s25
	s_mov_b32 s39, s25
	v_add_nc_u64_e32 v[8:9], v[2:3], v[8:9]
	s_and_b32 s34, vcc_lo, s8
	v_cmp_gt_u32_e64 s8, s14, v0
	s_sub_co_i32 s24, 0, s31
	v_mov_b64_e32 v[0:1], s[36:37]
	v_mov_b64_e32 v[2:3], s[38:39]
	s_mul_i32 s24, s24, s11
	v_or_b32_e32 v39, 0x80, v35
	v_or_b32_e32 v40, 0x100, v35
	;; [unrolled: 1-line block ×7, first 2 shown]
	v_dual_mov_b32 v47, 1 :: v_dual_mov_b32 v28, 0
	s_mul_hi_u32 s24, s11, s24
	s_and_b32 s9, vcc_lo, s9
	s_and_b32 s35, vcc_lo, s8
	s_add_co_i32 s24, s11, s24
	s_branch .LBB213_7
.LBB213_6:                              ;   in Loop: Header=BB213_7 Depth=1
	s_or_b32 exec_lo, exec_lo, s11
	s_wait_dscnt 0x0
	s_barrier_signal -1
	s_barrier_wait -1
	ds_load_b32 v28, v5
	s_add_co_i32 s10, s8, s10
	s_wait_dscnt 0x0
	s_barrier_signal -1
	s_barrier_wait -1
	v_cmp_gt_i32_e32 vcc_lo, s12, v28
	s_cbranch_vccz .LBB213_47
.LBB213_7:                              ; =>This Loop Header: Depth=1
                                        ;     Child Loop BB213_10 Depth 2
	v_dual_add_nc_u32 v26, v46, v31 :: v_dual_mov_b32 v48, s12
	v_mov_b32_e32 v27, v30
	s_mov_b32 s11, exec_lo
	ds_store_b8 v5, v5 offset:16384
	ds_store_b128 v35, v[0:3]
	ds_store_b128 v35, v[0:3] offset:128
	ds_store_b128 v35, v[0:3] offset:256
	;; [unrolled: 1-line block ×7, first 2 shown]
	s_wait_dscnt 0x0
	s_barrier_signal -1
	s_barrier_wait -1
	v_cmpx_lt_i32_e64 v26, v30
	s_cbranch_execz .LBB213_15
; %bb.8:                                ;   in Loop: Header=BB213_7 Depth=1
	v_mul_lo_u32 v29, v28, s14
	v_dual_mov_b32 v48, s12 :: v_dual_mov_b32 v27, v30
	s_mov_b32 s36, 0
	s_branch .LBB213_10
.LBB213_9:                              ;   in Loop: Header=BB213_10 Depth=2
	s_wait_xcnt 0x0
	s_or_b32 exec_lo, exec_lo, s8
	v_add_nc_u32_e32 v26, 8, v26
	s_xor_b32 s37, vcc_lo, -1
	s_delay_alu instid0(VALU_DEP_1) | instskip(SKIP_1) | instid1(SALU_CYCLE_1)
	v_cmp_ge_i32_e64 s8, v26, v30
	s_or_b32 s8, s37, s8
	s_and_b32 s8, exec_lo, s8
	s_delay_alu instid0(SALU_CYCLE_1) | instskip(NEXT) | instid1(SALU_CYCLE_1)
	s_or_b32 s36, s8, s36
	s_and_not1_b32 exec_lo, exec_lo, s36
	s_cbranch_execz .LBB213_14
.LBB213_10:                             ;   Parent Loop BB213_7 Depth=1
                                        ; =>  This Inner Loop Header: Depth=2
	global_load_b32 v4, v26, s[16:17] scale_offset
	s_wait_loadcnt 0x0
	v_subrev_nc_u32_e32 v46, s15, v4
	s_delay_alu instid0(VALU_DEP_1) | instskip(NEXT) | instid1(VALU_DEP_1)
	v_sub_nc_u32_e32 v4, 0, v46
	v_max_i32_e32 v4, v46, v4
	s_delay_alu instid0(VALU_DEP_1) | instskip(NEXT) | instid1(VALU_DEP_1)
	v_mul_u64_e32 v[50:51], s[24:25], v[4:5]
	v_mul_lo_u32 v49, v51, s31
	s_delay_alu instid0(VALU_DEP_1) | instskip(NEXT) | instid1(VALU_DEP_1)
	v_dual_sub_nc_u32 v4, v4, v49 :: v_dual_add_nc_u32 v49, 1, v51
	v_cmp_le_u32_e32 vcc_lo, s31, v4
	s_delay_alu instid0(VALU_DEP_2) | instskip(SKIP_1) | instid1(VALU_DEP_1)
	v_dual_cndmask_b32 v49, v51, v49, vcc_lo :: v_dual_ashrrev_i32 v51, 31, v46
	v_subrev_nc_u32_e32 v50, s31, v4
	v_dual_cndmask_b32 v4, v4, v50, vcc_lo :: v_dual_add_nc_u32 v50, 1, v49
	s_delay_alu instid0(VALU_DEP_1) | instskip(NEXT) | instid1(VALU_DEP_2)
	v_cmp_le_u32_e32 vcc_lo, s31, v4
	v_dual_cndmask_b32 v4, v49, v50, vcc_lo :: v_dual_bitop2_b32 v51, s27, v51 bitop3:0x14
	s_delay_alu instid0(VALU_DEP_1) | instskip(NEXT) | instid1(VALU_DEP_1)
	v_xor_b32_e32 v4, v4, v51
	v_dual_mov_b32 v4, v27 :: v_dual_sub_nc_u32 v49, v4, v51
	s_delay_alu instid0(VALU_DEP_1) | instskip(SKIP_3) | instid1(SALU_CYCLE_1)
	v_cmp_ne_u32_e64 s8, v49, v28
	v_cmp_eq_u32_e32 vcc_lo, v49, v28
	s_wait_xcnt 0x0
	s_and_saveexec_b32 s37, s8
	s_xor_b32 s8, exec_lo, s37
; %bb.11:                               ;   in Loop: Header=BB213_10 Depth=2
	v_min_i32_e32 v48, v49, v48
                                        ; implicit-def: $vgpr46
                                        ; implicit-def: $vgpr4
; %bb.12:                               ;   in Loop: Header=BB213_10 Depth=2
	s_or_saveexec_b32 s8, s8
	v_mov_b32_e32 v27, v26
	s_xor_b32 exec_lo, exec_lo, s8
	s_cbranch_execz .LBB213_9
; %bb.13:                               ;   in Loop: Header=BB213_10 Depth=2
	v_ashrrev_i32_e32 v27, 31, v26
	s_delay_alu instid0(VALU_DEP_1)
	v_lshl_add_u64 v[50:51], v[26:27], 4, s[22:23]
	v_sub_nc_u32_e32 v27, v46, v29
	global_load_b128 v[50:53], v[50:51], off
	v_lshl_add_u32 v46, v27, 4, v32
	v_mov_b32_e32 v27, v4
	ds_store_b8 v5, v47 offset:16384
	s_wait_loadcnt 0x0
	ds_store_2addr_b64 v46, v[50:51], v[52:53] offset1:1
	s_branch .LBB213_9
.LBB213_14:                             ;   in Loop: Header=BB213_7 Depth=1
	s_or_b32 exec_lo, exec_lo, s36
.LBB213_15:                             ;   in Loop: Header=BB213_7 Depth=1
	s_delay_alu instid0(SALU_CYCLE_1)
	s_or_b32 exec_lo, exec_lo, s11
	ds_bpermute_b32 v4, v36, v27
	s_wait_dscnt 0x0
	s_barrier_signal -1
	s_barrier_wait -1
	s_mov_b32 s8, 0
	v_min_i32_e32 v4, v4, v27
	ds_load_u8 v27, v5 offset:16384
	ds_bpermute_b32 v26, v37, v4
	s_wait_dscnt 0x0
	v_min_i32_e32 v4, v26, v4
	ds_bpermute_b32 v26, v38, v4
	s_wait_dscnt 0x0
	v_min_i32_e32 v4, v26, v4
	ds_bpermute_b32 v46, v34, v4
	v_and_b32_e32 v4, 1, v27
	s_delay_alu instid0(VALU_DEP_1)
	v_cmp_eq_u32_e32 vcc_lo, 0, v4
	s_cbranch_vccnz .LBB213_26
; %bb.16:                               ;   in Loop: Header=BB213_7 Depth=1
	s_ashr_i32 s11, s10, 31
	v_dual_mov_b32 v49, s10 :: v_dual_add_nc_u32 v4, s18, v28
	s_mul_u64 s[36:37], s[28:29], s[10:11]
	s_delay_alu instid0(SALU_CYCLE_1) | instskip(NEXT) | instid1(SALU_CYCLE_1)
	s_lshl_b64 s[36:37], s[36:37], 4
	v_add_nc_u64_e32 v[26:27], s[36:37], v[6:7]
	v_add_nc_u64_e32 v[28:29], s[36:37], v[8:9]
	global_store_b32 v49, v4, s[20:21] scale_offset
	s_wait_xcnt 0x0
	s_and_saveexec_b32 s8, s19
	s_cbranch_execnz .LBB213_40
; %bb.17:                               ;   in Loop: Header=BB213_7 Depth=1
	s_or_b32 exec_lo, exec_lo, s8
	s_and_saveexec_b32 s8, s13
	s_cbranch_execnz .LBB213_41
.LBB213_18:                             ;   in Loop: Header=BB213_7 Depth=1
	s_or_b32 exec_lo, exec_lo, s8
	s_and_saveexec_b32 s8, s26
	s_cbranch_execnz .LBB213_42
.LBB213_19:                             ;   in Loop: Header=BB213_7 Depth=1
	s_or_b32 exec_lo, exec_lo, s8
	s_and_saveexec_b32 s8, s30
	s_cbranch_execnz .LBB213_43
.LBB213_20:                             ;   in Loop: Header=BB213_7 Depth=1
	s_or_b32 exec_lo, exec_lo, s8
	s_and_saveexec_b32 s8, s33
	s_cbranch_execnz .LBB213_44
.LBB213_21:                             ;   in Loop: Header=BB213_7 Depth=1
	s_or_b32 exec_lo, exec_lo, s8
	s_and_saveexec_b32 s8, s9
	s_cbranch_execnz .LBB213_45
.LBB213_22:                             ;   in Loop: Header=BB213_7 Depth=1
	s_or_b32 exec_lo, exec_lo, s8
	s_and_saveexec_b32 s8, s34
	s_cbranch_execnz .LBB213_46
.LBB213_23:                             ;   in Loop: Header=BB213_7 Depth=1
	s_or_b32 exec_lo, exec_lo, s8
	s_and_saveexec_b32 s8, s35
	s_cbranch_execz .LBB213_25
.LBB213_24:                             ;   in Loop: Header=BB213_7 Depth=1
	ds_load_2addr_b64 v[50:53], v45 offset1:1
	v_add_nc_u64_e32 v[28:29], 0x380, v[28:29]
	v_lshl_add_u64 v[26:27], v[24:25], 4, v[26:27]
	s_delay_alu instid0(VALU_DEP_1)
	v_dual_cndmask_b32 v27, v27, v29, s5 :: v_dual_cndmask_b32 v26, v26, v28, s5
	s_wait_dscnt 0x0
	global_store_b128 v[26:27], v[50:53], off
.LBB213_25:                             ;   in Loop: Header=BB213_7 Depth=1
	s_wait_xcnt 0x0
	s_or_b32 exec_lo, exec_lo, s8
	s_mov_b32 s8, 1
.LBB213_26:                             ;   in Loop: Header=BB213_7 Depth=1
	s_wait_storecnt_dscnt 0x0
	s_barrier_signal -1
	s_barrier_wait -1
	ds_store_b32 v33, v48
	s_wait_dscnt 0x0
	s_barrier_signal -1
	s_barrier_wait -1
	s_and_saveexec_b32 s11, s0
	s_cbranch_execz .LBB213_28
; %bb.27:                               ;   in Loop: Header=BB213_7 Depth=1
	ds_load_2addr_stride64_b32 v[26:27], v33 offset1:1
	s_wait_dscnt 0x0
	v_min_i32_e32 v4, v27, v26
	ds_store_b32 v33, v4
.LBB213_28:                             ;   in Loop: Header=BB213_7 Depth=1
	s_or_b32 exec_lo, exec_lo, s11
	s_wait_dscnt 0x0
	s_barrier_signal -1
	s_barrier_wait -1
	s_and_saveexec_b32 s11, s1
	s_cbranch_execz .LBB213_30
; %bb.29:                               ;   in Loop: Header=BB213_7 Depth=1
	ds_load_2addr_b32 v[26:27], v33 offset1:32
	s_wait_dscnt 0x0
	v_min_i32_e32 v4, v27, v26
	ds_store_b32 v33, v4
.LBB213_30:                             ;   in Loop: Header=BB213_7 Depth=1
	s_or_b32 exec_lo, exec_lo, s11
	s_wait_dscnt 0x0
	s_barrier_signal -1
	s_barrier_wait -1
	s_and_saveexec_b32 s11, s2
	s_cbranch_execz .LBB213_32
; %bb.31:                               ;   in Loop: Header=BB213_7 Depth=1
	ds_load_2addr_b32 v[26:27], v33 offset1:16
	s_wait_dscnt 0x0
	v_min_i32_e32 v4, v27, v26
	ds_store_b32 v33, v4
.LBB213_32:                             ;   in Loop: Header=BB213_7 Depth=1
	;; [unrolled: 12-line block ×5, first 2 shown]
	s_or_b32 exec_lo, exec_lo, s11
	s_wait_dscnt 0x0
	s_barrier_signal -1
	s_barrier_wait -1
	s_and_saveexec_b32 s11, s7
	s_cbranch_execz .LBB213_6
; %bb.39:                               ;   in Loop: Header=BB213_7 Depth=1
	ds_load_b64 v[26:27], v5
	s_wait_dscnt 0x0
	v_min_i32_e32 v4, v27, v26
	ds_store_b32 v5, v4
	s_branch .LBB213_6
.LBB213_40:                             ;   in Loop: Header=BB213_7 Depth=1
	ds_load_2addr_b64 v[50:53], v35 offset1:1
	v_lshl_add_u64 v[54:55], v[10:11], 4, v[26:27]
	s_delay_alu instid0(VALU_DEP_1)
	v_dual_cndmask_b32 v55, v55, v29, s5 :: v_dual_cndmask_b32 v54, v54, v28, s5
	s_wait_dscnt 0x0
	global_store_b128 v[54:55], v[50:53], off
	s_wait_xcnt 0x0
	s_or_b32 exec_lo, exec_lo, s8
	s_and_saveexec_b32 s8, s13
	s_cbranch_execz .LBB213_18
.LBB213_41:                             ;   in Loop: Header=BB213_7 Depth=1
	ds_load_2addr_b64 v[50:53], v39 offset1:1
	v_add_nc_u64_e32 v[54:55], 0x80, v[28:29]
	v_lshl_add_u64 v[56:57], v[12:13], 4, v[26:27]
	s_delay_alu instid0(VALU_DEP_1)
	v_dual_cndmask_b32 v55, v57, v55, s5 :: v_dual_cndmask_b32 v54, v56, v54, s5
	s_wait_dscnt 0x0
	global_store_b128 v[54:55], v[50:53], off
	s_wait_xcnt 0x0
	s_or_b32 exec_lo, exec_lo, s8
	s_and_saveexec_b32 s8, s26
	s_cbranch_execz .LBB213_19
.LBB213_42:                             ;   in Loop: Header=BB213_7 Depth=1
	ds_load_2addr_b64 v[50:53], v40 offset1:1
	v_add_nc_u64_e32 v[54:55], 0x100, v[28:29]
	v_lshl_add_u64 v[56:57], v[14:15], 4, v[26:27]
	s_delay_alu instid0(VALU_DEP_1)
	v_dual_cndmask_b32 v55, v57, v55, s5 :: v_dual_cndmask_b32 v54, v56, v54, s5
	s_wait_dscnt 0x0
	global_store_b128 v[54:55], v[50:53], off
	s_wait_xcnt 0x0
	s_or_b32 exec_lo, exec_lo, s8
	s_and_saveexec_b32 s8, s30
	s_cbranch_execz .LBB213_20
.LBB213_43:                             ;   in Loop: Header=BB213_7 Depth=1
	ds_load_2addr_b64 v[50:53], v41 offset1:1
	v_add_nc_u64_e32 v[54:55], 0x180, v[28:29]
	v_lshl_add_u64 v[56:57], v[16:17], 4, v[26:27]
	s_delay_alu instid0(VALU_DEP_1)
	v_dual_cndmask_b32 v55, v57, v55, s5 :: v_dual_cndmask_b32 v54, v56, v54, s5
	s_wait_dscnt 0x0
	global_store_b128 v[54:55], v[50:53], off
	s_wait_xcnt 0x0
	s_or_b32 exec_lo, exec_lo, s8
	s_and_saveexec_b32 s8, s33
	s_cbranch_execz .LBB213_21
.LBB213_44:                             ;   in Loop: Header=BB213_7 Depth=1
	ds_load_2addr_b64 v[50:53], v42 offset1:1
	v_add_nc_u64_e32 v[54:55], 0x200, v[28:29]
	v_lshl_add_u64 v[56:57], v[18:19], 4, v[26:27]
	s_delay_alu instid0(VALU_DEP_1)
	v_dual_cndmask_b32 v55, v57, v55, s5 :: v_dual_cndmask_b32 v54, v56, v54, s5
	s_wait_dscnt 0x0
	global_store_b128 v[54:55], v[50:53], off
	s_wait_xcnt 0x0
	s_or_b32 exec_lo, exec_lo, s8
	s_and_saveexec_b32 s8, s9
	s_cbranch_execz .LBB213_22
.LBB213_45:                             ;   in Loop: Header=BB213_7 Depth=1
	ds_load_2addr_b64 v[50:53], v43 offset1:1
	v_add_nc_u64_e32 v[54:55], 0x280, v[28:29]
	v_lshl_add_u64 v[56:57], v[20:21], 4, v[26:27]
	s_delay_alu instid0(VALU_DEP_1)
	v_dual_cndmask_b32 v55, v57, v55, s5 :: v_dual_cndmask_b32 v54, v56, v54, s5
	s_wait_dscnt 0x0
	global_store_b128 v[54:55], v[50:53], off
	s_wait_xcnt 0x0
	s_or_b32 exec_lo, exec_lo, s8
	s_and_saveexec_b32 s8, s34
	s_cbranch_execz .LBB213_23
.LBB213_46:                             ;   in Loop: Header=BB213_7 Depth=1
	ds_load_2addr_b64 v[50:53], v44 offset1:1
	v_add_nc_u64_e32 v[54:55], 0x300, v[28:29]
	v_lshl_add_u64 v[56:57], v[22:23], 4, v[26:27]
	s_delay_alu instid0(VALU_DEP_1)
	v_dual_cndmask_b32 v55, v57, v55, s5 :: v_dual_cndmask_b32 v54, v56, v54, s5
	s_wait_dscnt 0x0
	global_store_b128 v[54:55], v[50:53], off
	s_wait_xcnt 0x0
	s_or_b32 exec_lo, exec_lo, s8
	s_and_saveexec_b32 s8, s35
	s_cbranch_execnz .LBB213_24
	s_branch .LBB213_25
.LBB213_47:
	s_endpgm
	.section	.rodata,"a",@progbits
	.p2align	6, 0x0
	.amdhsa_kernel _ZN9rocsparseL40csr2gebsr_block_per_row_multipass_kernelILj128ELj16ELj64E21rocsparse_complex_numIdEEEv20rocsparse_direction_iiiiii21rocsparse_index_base_PKT2_PKiS9_S4_PS5_PiSB_
		.amdhsa_group_segment_fixed_size 16392
		.amdhsa_private_segment_fixed_size 0
		.amdhsa_kernarg_size 88
		.amdhsa_user_sgpr_count 2
		.amdhsa_user_sgpr_dispatch_ptr 0
		.amdhsa_user_sgpr_queue_ptr 0
		.amdhsa_user_sgpr_kernarg_segment_ptr 1
		.amdhsa_user_sgpr_dispatch_id 0
		.amdhsa_user_sgpr_kernarg_preload_length 0
		.amdhsa_user_sgpr_kernarg_preload_offset 0
		.amdhsa_user_sgpr_private_segment_size 0
		.amdhsa_wavefront_size32 1
		.amdhsa_uses_dynamic_stack 0
		.amdhsa_enable_private_segment 0
		.amdhsa_system_sgpr_workgroup_id_x 1
		.amdhsa_system_sgpr_workgroup_id_y 0
		.amdhsa_system_sgpr_workgroup_id_z 0
		.amdhsa_system_sgpr_workgroup_info 0
		.amdhsa_system_vgpr_workitem_id 0
		.amdhsa_next_free_vgpr 58
		.amdhsa_next_free_sgpr 40
		.amdhsa_named_barrier_count 0
		.amdhsa_reserve_vcc 1
		.amdhsa_float_round_mode_32 0
		.amdhsa_float_round_mode_16_64 0
		.amdhsa_float_denorm_mode_32 3
		.amdhsa_float_denorm_mode_16_64 3
		.amdhsa_fp16_overflow 0
		.amdhsa_memory_ordered 1
		.amdhsa_forward_progress 1
		.amdhsa_inst_pref_size 20
		.amdhsa_round_robin_scheduling 0
		.amdhsa_exception_fp_ieee_invalid_op 0
		.amdhsa_exception_fp_denorm_src 0
		.amdhsa_exception_fp_ieee_div_zero 0
		.amdhsa_exception_fp_ieee_overflow 0
		.amdhsa_exception_fp_ieee_underflow 0
		.amdhsa_exception_fp_ieee_inexact 0
		.amdhsa_exception_int_div_zero 0
	.end_amdhsa_kernel
	.section	.text._ZN9rocsparseL40csr2gebsr_block_per_row_multipass_kernelILj128ELj16ELj64E21rocsparse_complex_numIdEEEv20rocsparse_direction_iiiiii21rocsparse_index_base_PKT2_PKiS9_S4_PS5_PiSB_,"axG",@progbits,_ZN9rocsparseL40csr2gebsr_block_per_row_multipass_kernelILj128ELj16ELj64E21rocsparse_complex_numIdEEEv20rocsparse_direction_iiiiii21rocsparse_index_base_PKT2_PKiS9_S4_PS5_PiSB_,comdat
.Lfunc_end213:
	.size	_ZN9rocsparseL40csr2gebsr_block_per_row_multipass_kernelILj128ELj16ELj64E21rocsparse_complex_numIdEEEv20rocsparse_direction_iiiiii21rocsparse_index_base_PKT2_PKiS9_S4_PS5_PiSB_, .Lfunc_end213-_ZN9rocsparseL40csr2gebsr_block_per_row_multipass_kernelILj128ELj16ELj64E21rocsparse_complex_numIdEEEv20rocsparse_direction_iiiiii21rocsparse_index_base_PKT2_PKiS9_S4_PS5_PiSB_
                                        ; -- End function
	.set _ZN9rocsparseL40csr2gebsr_block_per_row_multipass_kernelILj128ELj16ELj64E21rocsparse_complex_numIdEEEv20rocsparse_direction_iiiiii21rocsparse_index_base_PKT2_PKiS9_S4_PS5_PiSB_.num_vgpr, 58
	.set _ZN9rocsparseL40csr2gebsr_block_per_row_multipass_kernelILj128ELj16ELj64E21rocsparse_complex_numIdEEEv20rocsparse_direction_iiiiii21rocsparse_index_base_PKT2_PKiS9_S4_PS5_PiSB_.num_agpr, 0
	.set _ZN9rocsparseL40csr2gebsr_block_per_row_multipass_kernelILj128ELj16ELj64E21rocsparse_complex_numIdEEEv20rocsparse_direction_iiiiii21rocsparse_index_base_PKT2_PKiS9_S4_PS5_PiSB_.numbered_sgpr, 40
	.set _ZN9rocsparseL40csr2gebsr_block_per_row_multipass_kernelILj128ELj16ELj64E21rocsparse_complex_numIdEEEv20rocsparse_direction_iiiiii21rocsparse_index_base_PKT2_PKiS9_S4_PS5_PiSB_.num_named_barrier, 0
	.set _ZN9rocsparseL40csr2gebsr_block_per_row_multipass_kernelILj128ELj16ELj64E21rocsparse_complex_numIdEEEv20rocsparse_direction_iiiiii21rocsparse_index_base_PKT2_PKiS9_S4_PS5_PiSB_.private_seg_size, 0
	.set _ZN9rocsparseL40csr2gebsr_block_per_row_multipass_kernelILj128ELj16ELj64E21rocsparse_complex_numIdEEEv20rocsparse_direction_iiiiii21rocsparse_index_base_PKT2_PKiS9_S4_PS5_PiSB_.uses_vcc, 1
	.set _ZN9rocsparseL40csr2gebsr_block_per_row_multipass_kernelILj128ELj16ELj64E21rocsparse_complex_numIdEEEv20rocsparse_direction_iiiiii21rocsparse_index_base_PKT2_PKiS9_S4_PS5_PiSB_.uses_flat_scratch, 0
	.set _ZN9rocsparseL40csr2gebsr_block_per_row_multipass_kernelILj128ELj16ELj64E21rocsparse_complex_numIdEEEv20rocsparse_direction_iiiiii21rocsparse_index_base_PKT2_PKiS9_S4_PS5_PiSB_.has_dyn_sized_stack, 0
	.set _ZN9rocsparseL40csr2gebsr_block_per_row_multipass_kernelILj128ELj16ELj64E21rocsparse_complex_numIdEEEv20rocsparse_direction_iiiiii21rocsparse_index_base_PKT2_PKiS9_S4_PS5_PiSB_.has_recursion, 0
	.set _ZN9rocsparseL40csr2gebsr_block_per_row_multipass_kernelILj128ELj16ELj64E21rocsparse_complex_numIdEEEv20rocsparse_direction_iiiiii21rocsparse_index_base_PKT2_PKiS9_S4_PS5_PiSB_.has_indirect_call, 0
	.section	.AMDGPU.csdata,"",@progbits
; Kernel info:
; codeLenInByte = 2556
; TotalNumSgprs: 42
; NumVgprs: 58
; ScratchSize: 0
; MemoryBound: 0
; FloatMode: 240
; IeeeMode: 1
; LDSByteSize: 16392 bytes/workgroup (compile time only)
; SGPRBlocks: 0
; VGPRBlocks: 3
; NumSGPRsForWavesPerEU: 42
; NumVGPRsForWavesPerEU: 58
; NamedBarCnt: 0
; Occupancy: 16
; WaveLimiterHint : 0
; COMPUTE_PGM_RSRC2:SCRATCH_EN: 0
; COMPUTE_PGM_RSRC2:USER_SGPR: 2
; COMPUTE_PGM_RSRC2:TRAP_HANDLER: 0
; COMPUTE_PGM_RSRC2:TGID_X_EN: 1
; COMPUTE_PGM_RSRC2:TGID_Y_EN: 0
; COMPUTE_PGM_RSRC2:TGID_Z_EN: 0
; COMPUTE_PGM_RSRC2:TIDIG_COMP_CNT: 0
	.section	.text._ZN9rocsparseL44csr2gebsr_wavefront_per_row_multipass_kernelILi256ELi32ELi2ELi64E21rocsparse_complex_numIdEEEv20rocsparse_direction_iiiiii21rocsparse_index_base_PKT3_PKiS9_S4_PS5_PiSB_,"axG",@progbits,_ZN9rocsparseL44csr2gebsr_wavefront_per_row_multipass_kernelILi256ELi32ELi2ELi64E21rocsparse_complex_numIdEEEv20rocsparse_direction_iiiiii21rocsparse_index_base_PKT3_PKiS9_S4_PS5_PiSB_,comdat
	.globl	_ZN9rocsparseL44csr2gebsr_wavefront_per_row_multipass_kernelILi256ELi32ELi2ELi64E21rocsparse_complex_numIdEEEv20rocsparse_direction_iiiiii21rocsparse_index_base_PKT3_PKiS9_S4_PS5_PiSB_ ; -- Begin function _ZN9rocsparseL44csr2gebsr_wavefront_per_row_multipass_kernelILi256ELi32ELi2ELi64E21rocsparse_complex_numIdEEEv20rocsparse_direction_iiiiii21rocsparse_index_base_PKT3_PKiS9_S4_PS5_PiSB_
	.p2align	8
	.type	_ZN9rocsparseL44csr2gebsr_wavefront_per_row_multipass_kernelILi256ELi32ELi2ELi64E21rocsparse_complex_numIdEEEv20rocsparse_direction_iiiiii21rocsparse_index_base_PKT3_PKiS9_S4_PS5_PiSB_,@function
_ZN9rocsparseL44csr2gebsr_wavefront_per_row_multipass_kernelILi256ELi32ELi2ELi64E21rocsparse_complex_numIdEEEv20rocsparse_direction_iiiiii21rocsparse_index_base_PKT3_PKiS9_S4_PS5_PiSB_: ; @_ZN9rocsparseL44csr2gebsr_wavefront_per_row_multipass_kernelILi256ELi32ELi2ELi64E21rocsparse_complex_numIdEEEv20rocsparse_direction_iiiiii21rocsparse_index_base_PKT3_PKiS9_S4_PS5_PiSB_
; %bb.0:
	s_clause 0x1
	s_load_b128 s[4:7], s[0:1], 0xc
	s_load_b64 s[12:13], s[0:1], 0x0
	s_bfe_u32 s2, ttmp6, 0x4000c
	s_and_b32 s3, ttmp6, 15
	s_add_co_i32 s2, s2, 1
	s_getreg_b32 s8, hwreg(HW_REG_IB_STS2, 6, 4)
	s_mul_i32 s2, ttmp9, s2
	v_dual_lshrrev_b32 v16, 6, v0 :: v_dual_mov_b32 v4, 0
	s_add_co_i32 s3, s3, s2
	s_cmp_eq_u32 s8, 0
	v_bfe_u32 v1, v0, 1, 5
	s_cselect_b32 s2, ttmp9, s3
	s_clause 0x1
	s_load_b32 s18, s[0:1], 0x1c
	s_load_b64 s[8:9], s[0:1], 0x28
	v_lshl_or_b32 v2, s2, 2, v16
	v_mov_b32_e32 v10, 0
	s_wait_kmcnt 0x0
	s_delay_alu instid0(VALU_DEP_2) | instskip(SKIP_1) | instid1(VALU_DEP_2)
	v_mad_u32 v3, v2, s6, v1
	v_cmp_gt_i32_e32 vcc_lo, s6, v1
	v_cmp_gt_i32_e64 s2, s13, v3
	s_and_b32 s2, vcc_lo, s2
	s_delay_alu instid0(SALU_CYCLE_1)
	s_and_saveexec_b32 s3, s2
	s_cbranch_execz .LBB214_2
; %bb.1:
	global_load_b32 v5, v3, s[8:9] scale_offset
	s_wait_loadcnt 0x0
	v_subrev_nc_u32_e32 v10, s18, v5
.LBB214_2:
	s_or_b32 exec_lo, exec_lo, s3
	v_mov_b32_e32 v17, 0
	s_and_saveexec_b32 s3, s2
	s_cbranch_execz .LBB214_4
; %bb.3:
	global_load_b32 v3, v3, s[8:9] offset:4 scale_offset
	s_wait_loadcnt 0x0
	v_subrev_nc_u32_e32 v17, s18, v3
.LBB214_4:
	s_or_b32 exec_lo, exec_lo, s3
	s_load_b32 s19, s[0:1], 0x38
	s_mov_b32 s3, exec_lo
	v_cmpx_gt_i32_e64 s4, v2
	s_cbranch_execz .LBB214_6
; %bb.5:
	s_load_b64 s[8:9], s[0:1], 0x48
	s_wait_kmcnt 0x0
	global_load_b32 v2, v2, s[8:9] scale_offset
	s_wait_loadcnt 0x0
	v_subrev_nc_u32_e32 v4, s19, v2
.LBB214_6:
	s_or_b32 exec_lo, exec_lo, s3
	s_cmp_lt_i32 s5, 1
	s_cbranch_scc1 .LBB214_21
; %bb.7:
	s_load_b64 s[14:15], s[0:1], 0x40
	v_mbcnt_lo_u32_b32 v5, -1, 0
	v_dual_lshlrev_b32 v7, 5, v1 :: v_dual_bitop2_b32 v6, 1, v0 bitop3:0x40
	v_mul_lo_u32 v2, s7, v1
	s_clause 0x2
	s_load_b64 s[2:3], s[0:1], 0x50
	s_load_b64 s[8:9], s[0:1], 0x20
	;; [unrolled: 1-line block ×3, first 2 shown]
	v_dual_mov_b32 v9, 0 :: v_dual_bitop2_b32 v3, 1, v5 bitop3:0x14
	v_mul_lo_u32 v8, s6, v6
	v_and_b32_e32 v0, 0xc0, v0
	v_xor_b32_e32 v14, 2, v5
	s_wait_xcnt 0x0
	v_cmp_gt_i32_e64 s0, 32, v3
	v_lshl_or_b32 v20, v5, 2, 4
	v_bfrev_b32_e32 v27, 0.5
	v_lshl_or_b32 v18, v0, 4, v7
	s_mov_b32 s13, 0
	v_dual_cndmask_b32 v11, v5, v3, s0 :: v_dual_ashrrev_i32 v3, 31, v2
	v_lshlrev_b32_e32 v0, 4, v6
	v_cmp_gt_u32_e64 s0, s7, v6
	s_wait_kmcnt 0x0
	v_lshl_add_u64 v[12:13], v[8:9], 4, s[14:15]
	v_dual_mov_b32 v1, v9 :: v_dual_lshlrev_b32 v8, 4, v1
	v_lshl_add_u64 v[2:3], v[2:3], 4, s[14:15]
	v_lshlrev_b32_e32 v19, 2, v11
	s_and_b32 s1, vcc_lo, s0
	v_mov_b32_e32 v7, v9
	s_cmp_eq_u32 s12, 0
	v_add_nc_u64_e32 v[2:3], v[2:3], v[0:1]
	v_or_b32_e32 v1, 32, v5
	s_cselect_b32 vcc_lo, -1, 0
	s_abs_i32 s4, s7
	v_add_nc_u64_e32 v[12:13], v[12:13], v[8:9]
	v_xor_b32_e32 v11, 4, v5
	v_cmp_gt_i32_e64 s0, 32, v1
	v_or_b32_e32 v21, v18, v0
	s_mov_b32 s12, s6
	s_ashr_i32 s15, s7, 31
	s_mov_b32 s14, s7
	v_cndmask_b32_e64 v0, v5, v1, s0
	v_xor_b32_e32 v1, 16, v5
	s_cvt_f32_u32 s0, s4
	v_cndmask_b32_e32 v12, v12, v2, vcc_lo
	s_mul_u64 s[16:17], s[14:15], s[12:13]
	v_dual_lshlrev_b32 v22, 2, v0 :: v_dual_bitop2_b32 v0, 8, v5 bitop3:0x14
	v_rcp_iflag_f32_e32 v8, s0
	v_cmp_gt_i32_e64 s0, 32, v1
	v_mov_b32_e32 v2, v9
	v_cndmask_b32_e32 v13, v13, v3, vcc_lo
	v_dual_mov_b32 v3, v9 :: v_dual_mov_b32 v28, 1
	s_delay_alu instid0(VALU_DEP_4) | instskip(SKIP_2) | instid1(VALU_DEP_2)
	v_cndmask_b32_e64 v1, v5, v1, s0
	v_cmp_gt_i32_e64 s0, 32, v0
	v_readfirstlane_b32 s6, v8
	v_cndmask_b32_e64 v0, v5, v0, s0
	v_cmp_gt_i32_e64 s0, 32, v11
	s_delay_alu instid0(VALU_DEP_1) | instskip(SKIP_2) | instid1(VALU_DEP_3)
	v_dual_lshlrev_b32 v24, 2, v0 :: v_dual_cndmask_b32 v8, v5, v11, s0
	v_cmp_gt_i32_e64 s0, 32, v14
	v_dual_mov_b32 v0, v9 :: v_dual_lshlrev_b32 v23, 2, v1
	v_dual_mov_b32 v1, v9 :: v_dual_lshlrev_b32 v25, 2, v8
	s_delay_alu instid0(VALU_DEP_3) | instskip(SKIP_2) | instid1(SALU_CYCLE_2)
	v_cndmask_b32_e64 v5, v5, v14, s0
	s_mul_f32 s0, s6, 0x4f7ffffe
	s_sub_co_i32 s6, 0, s4
	s_cvt_u32_f32 s0, s0
	s_delay_alu instid0(VALU_DEP_1) | instskip(NEXT) | instid1(SALU_CYCLE_2)
	v_dual_mov_b32 v5, 0 :: v_dual_lshlrev_b32 v26, 2, v5
	s_mul_i32 s6, s6, s0
	s_delay_alu instid0(SALU_CYCLE_1) | instskip(NEXT) | instid1(SALU_CYCLE_1)
	s_mul_hi_u32 s6, s0, s6
	s_add_co_i32 s12, s0, s6
	s_mov_b32 s6, s13
	s_branch .LBB214_10
.LBB214_8:                              ;   in Loop: Header=BB214_10 Depth=1
	s_wait_xcnt 0x0
	s_or_b32 exec_lo, exec_lo, s14
	v_mov_b32_e32 v8, 1
.LBB214_9:                              ;   in Loop: Header=BB214_10 Depth=1
	s_or_b32 exec_lo, exec_lo, s0
	ds_bpermute_b32 v5, v22, v29
	s_wait_storecnt_dscnt 0x0
	v_dual_add_nc_u32 v4, v8, v4 :: v_dual_min_i32 v5, v5, v29
	ds_bpermute_b32 v11, v23, v5
	s_wait_dscnt 0x0
	v_min_i32_e32 v5, v11, v5
	ds_bpermute_b32 v11, v24, v5
	s_wait_dscnt 0x0
	v_min_i32_e32 v5, v11, v5
	;; [unrolled: 3-line block ×5, first 2 shown]
	ds_bpermute_b32 v5, v27, v5
	s_wait_dscnt 0x0
	v_cmp_le_i32_e32 vcc_lo, s5, v5
	s_or_b32 s6, vcc_lo, s6
	s_delay_alu instid0(SALU_CYCLE_1)
	s_and_not1_b32 exec_lo, exec_lo, s6
	s_cbranch_execz .LBB214_21
.LBB214_10:                             ; =>This Loop Header: Depth=1
                                        ;     Child Loop BB214_13 Depth 2
	v_dual_mov_b32 v29, s5 :: v_dual_add_nc_u32 v30, v10, v6
	v_mov_b32_e32 v32, v17
	s_mov_b32 s14, exec_lo
	ds_store_b8 v16, v9 offset:4096
	ds_store_b128 v21, v[0:3]
	s_wait_dscnt 0x0
	v_cmpx_lt_i32_e64 v30, v17
	s_cbranch_execz .LBB214_18
; %bb.11:                               ;   in Loop: Header=BB214_10 Depth=1
	v_dual_ashrrev_i32 v11, 31, v10 :: v_dual_mov_b32 v29, s5
	v_mul_lo_u32 v31, v5, s7
	v_mov_b32_e32 v32, v17
	s_mov_b32 s20, 0
	s_delay_alu instid0(VALU_DEP_3) | instskip(NEXT) | instid1(VALU_DEP_1)
	v_add_nc_u64_e32 v[14:15], v[6:7], v[10:11]
	v_lshl_add_u64 v[10:11], v[14:15], 2, s[10:11]
	v_lshl_add_u64 v[14:15], v[14:15], 4, s[8:9]
	s_branch .LBB214_13
.LBB214_12:                             ;   in Loop: Header=BB214_13 Depth=2
	s_wait_xcnt 0x0
	s_or_b32 exec_lo, exec_lo, s0
	v_add_nc_u32_e32 v30, 2, v30
	s_xor_b32 s21, vcc_lo, -1
	v_add_nc_u64_e32 v[10:11], 8, v[10:11]
	v_add_nc_u64_e32 v[14:15], 32, v[14:15]
	s_delay_alu instid0(VALU_DEP_3) | instskip(SKIP_1) | instid1(SALU_CYCLE_1)
	v_cmp_ge_i32_e64 s0, v30, v17
	s_or_b32 s0, s21, s0
	s_and_b32 s0, exec_lo, s0
	s_delay_alu instid0(SALU_CYCLE_1) | instskip(NEXT) | instid1(SALU_CYCLE_1)
	s_or_b32 s20, s0, s20
	s_and_not1_b32 exec_lo, exec_lo, s20
	s_cbranch_execz .LBB214_17
.LBB214_13:                             ;   Parent Loop BB214_10 Depth=1
                                        ; =>  This Inner Loop Header: Depth=2
	global_load_b32 v8, v[10:11], off
	s_wait_loadcnt 0x0
	v_subrev_nc_u32_e32 v33, s18, v8
	s_delay_alu instid0(VALU_DEP_1) | instskip(NEXT) | instid1(VALU_DEP_1)
	v_sub_nc_u32_e32 v8, 0, v33
	v_max_i32_e32 v8, v33, v8
	s_delay_alu instid0(VALU_DEP_1) | instskip(NEXT) | instid1(VALU_DEP_1)
	v_mul_u64_e32 v[34:35], s[12:13], v[8:9]
	v_mul_lo_u32 v34, v35, s4
	s_delay_alu instid0(VALU_DEP_1) | instskip(NEXT) | instid1(VALU_DEP_1)
	v_dual_sub_nc_u32 v8, v8, v34 :: v_dual_add_nc_u32 v34, 1, v35
	v_cmp_le_u32_e32 vcc_lo, s4, v8
	s_delay_alu instid0(VALU_DEP_2) | instskip(SKIP_1) | instid1(VALU_DEP_1)
	v_dual_cndmask_b32 v34, v35, v34 :: v_dual_ashrrev_i32 v35, 31, v33
	v_subrev_nc_u32_e32 v36, s4, v8
	v_dual_cndmask_b32 v8, v8, v36, vcc_lo :: v_dual_add_nc_u32 v36, 1, v34
	s_delay_alu instid0(VALU_DEP_1) | instskip(NEXT) | instid1(VALU_DEP_2)
	v_cmp_le_u32_e32 vcc_lo, s4, v8
	v_dual_cndmask_b32 v8, v34, v36, vcc_lo :: v_dual_bitop2_b32 v35, s15, v35 bitop3:0x14
	s_delay_alu instid0(VALU_DEP_1) | instskip(NEXT) | instid1(VALU_DEP_1)
	v_xor_b32_e32 v8, v8, v35
	v_sub_nc_u32_e32 v34, v8, v35
	v_mov_b32_e32 v8, v32
	s_delay_alu instid0(VALU_DEP_2) | instskip(SKIP_3) | instid1(SALU_CYCLE_1)
	v_cmp_ne_u32_e64 s0, v34, v5
	v_cmp_eq_u32_e32 vcc_lo, v34, v5
	s_wait_xcnt 0x0
	s_and_saveexec_b32 s21, s0
	s_xor_b32 s0, exec_lo, s21
; %bb.14:                               ;   in Loop: Header=BB214_13 Depth=2
	v_min_i32_e32 v29, v34, v29
                                        ; implicit-def: $vgpr33
                                        ; implicit-def: $vgpr8
; %bb.15:                               ;   in Loop: Header=BB214_13 Depth=2
	s_or_saveexec_b32 s0, s0
	v_mov_b32_e32 v32, v30
	s_xor_b32 exec_lo, exec_lo, s0
	s_cbranch_execz .LBB214_12
; %bb.16:                               ;   in Loop: Header=BB214_13 Depth=2
	global_load_b128 v[34:37], v[14:15], off
	v_sub_nc_u32_e32 v32, v33, v31
	s_delay_alu instid0(VALU_DEP_1)
	v_lshl_add_u32 v33, v32, 4, v18
	v_mov_b32_e32 v32, v8
	ds_store_b8 v16, v28 offset:4096
	s_wait_loadcnt 0x0
	ds_store_2addr_b64 v33, v[34:35], v[36:37] offset1:1
	s_branch .LBB214_12
.LBB214_17:                             ;   in Loop: Header=BB214_10 Depth=1
	s_or_b32 exec_lo, exec_lo, s20
.LBB214_18:                             ;   in Loop: Header=BB214_10 Depth=1
	s_delay_alu instid0(SALU_CYCLE_1)
	s_or_b32 exec_lo, exec_lo, s14
	ds_bpermute_b32 v8, v19, v32
	s_wait_dscnt 0x0
	ds_load_u8 v11, v16 offset:4096
	v_min_i32_e32 v8, v8, v32
	ds_bpermute_b32 v10, v20, v8
	s_wait_dscnt 0x1
	v_and_b32_e32 v8, 1, v11
	s_delay_alu instid0(VALU_DEP_1)
	v_cmp_eq_u32_e32 vcc_lo, 1, v8
	v_mov_b32_e32 v8, 0
	s_and_saveexec_b32 s0, vcc_lo
	s_cbranch_execz .LBB214_9
; %bb.19:                               ;   in Loop: Header=BB214_10 Depth=1
	v_add_nc_u32_e32 v5, s19, v5
	global_store_b32 v4, v5, s[2:3] scale_offset
	s_wait_xcnt 0x0
	s_and_saveexec_b32 s14, s1
	s_cbranch_execz .LBB214_8
; %bb.20:                               ;   in Loop: Header=BB214_10 Depth=1
	v_ashrrev_i32_e32 v5, 31, v4
	ds_load_2addr_b64 v[30:33], v21 offset1:1
	v_mul_u64_e32 v[14:15], s[16:17], v[4:5]
	s_delay_alu instid0(VALU_DEP_1)
	v_lshl_add_u64 v[14:15], v[14:15], 4, v[12:13]
	s_wait_dscnt 0x0
	global_store_b128 v[14:15], v[30:33], off
	s_branch .LBB214_8
.LBB214_21:
	s_endpgm
	.section	.rodata,"a",@progbits
	.p2align	6, 0x0
	.amdhsa_kernel _ZN9rocsparseL44csr2gebsr_wavefront_per_row_multipass_kernelILi256ELi32ELi2ELi64E21rocsparse_complex_numIdEEEv20rocsparse_direction_iiiiii21rocsparse_index_base_PKT3_PKiS9_S4_PS5_PiSB_
		.amdhsa_group_segment_fixed_size 4104
		.amdhsa_private_segment_fixed_size 0
		.amdhsa_kernarg_size 88
		.amdhsa_user_sgpr_count 2
		.amdhsa_user_sgpr_dispatch_ptr 0
		.amdhsa_user_sgpr_queue_ptr 0
		.amdhsa_user_sgpr_kernarg_segment_ptr 1
		.amdhsa_user_sgpr_dispatch_id 0
		.amdhsa_user_sgpr_kernarg_preload_length 0
		.amdhsa_user_sgpr_kernarg_preload_offset 0
		.amdhsa_user_sgpr_private_segment_size 0
		.amdhsa_wavefront_size32 1
		.amdhsa_uses_dynamic_stack 0
		.amdhsa_enable_private_segment 0
		.amdhsa_system_sgpr_workgroup_id_x 1
		.amdhsa_system_sgpr_workgroup_id_y 0
		.amdhsa_system_sgpr_workgroup_id_z 0
		.amdhsa_system_sgpr_workgroup_info 0
		.amdhsa_system_vgpr_workitem_id 0
		.amdhsa_next_free_vgpr 38
		.amdhsa_next_free_sgpr 22
		.amdhsa_named_barrier_count 0
		.amdhsa_reserve_vcc 1
		.amdhsa_float_round_mode_32 0
		.amdhsa_float_round_mode_16_64 0
		.amdhsa_float_denorm_mode_32 3
		.amdhsa_float_denorm_mode_16_64 3
		.amdhsa_fp16_overflow 0
		.amdhsa_memory_ordered 1
		.amdhsa_forward_progress 1
		.amdhsa_inst_pref_size 12
		.amdhsa_round_robin_scheduling 0
		.amdhsa_exception_fp_ieee_invalid_op 0
		.amdhsa_exception_fp_denorm_src 0
		.amdhsa_exception_fp_ieee_div_zero 0
		.amdhsa_exception_fp_ieee_overflow 0
		.amdhsa_exception_fp_ieee_underflow 0
		.amdhsa_exception_fp_ieee_inexact 0
		.amdhsa_exception_int_div_zero 0
	.end_amdhsa_kernel
	.section	.text._ZN9rocsparseL44csr2gebsr_wavefront_per_row_multipass_kernelILi256ELi32ELi2ELi64E21rocsparse_complex_numIdEEEv20rocsparse_direction_iiiiii21rocsparse_index_base_PKT3_PKiS9_S4_PS5_PiSB_,"axG",@progbits,_ZN9rocsparseL44csr2gebsr_wavefront_per_row_multipass_kernelILi256ELi32ELi2ELi64E21rocsparse_complex_numIdEEEv20rocsparse_direction_iiiiii21rocsparse_index_base_PKT3_PKiS9_S4_PS5_PiSB_,comdat
.Lfunc_end214:
	.size	_ZN9rocsparseL44csr2gebsr_wavefront_per_row_multipass_kernelILi256ELi32ELi2ELi64E21rocsparse_complex_numIdEEEv20rocsparse_direction_iiiiii21rocsparse_index_base_PKT3_PKiS9_S4_PS5_PiSB_, .Lfunc_end214-_ZN9rocsparseL44csr2gebsr_wavefront_per_row_multipass_kernelILi256ELi32ELi2ELi64E21rocsparse_complex_numIdEEEv20rocsparse_direction_iiiiii21rocsparse_index_base_PKT3_PKiS9_S4_PS5_PiSB_
                                        ; -- End function
	.set _ZN9rocsparseL44csr2gebsr_wavefront_per_row_multipass_kernelILi256ELi32ELi2ELi64E21rocsparse_complex_numIdEEEv20rocsparse_direction_iiiiii21rocsparse_index_base_PKT3_PKiS9_S4_PS5_PiSB_.num_vgpr, 38
	.set _ZN9rocsparseL44csr2gebsr_wavefront_per_row_multipass_kernelILi256ELi32ELi2ELi64E21rocsparse_complex_numIdEEEv20rocsparse_direction_iiiiii21rocsparse_index_base_PKT3_PKiS9_S4_PS5_PiSB_.num_agpr, 0
	.set _ZN9rocsparseL44csr2gebsr_wavefront_per_row_multipass_kernelILi256ELi32ELi2ELi64E21rocsparse_complex_numIdEEEv20rocsparse_direction_iiiiii21rocsparse_index_base_PKT3_PKiS9_S4_PS5_PiSB_.numbered_sgpr, 22
	.set _ZN9rocsparseL44csr2gebsr_wavefront_per_row_multipass_kernelILi256ELi32ELi2ELi64E21rocsparse_complex_numIdEEEv20rocsparse_direction_iiiiii21rocsparse_index_base_PKT3_PKiS9_S4_PS5_PiSB_.num_named_barrier, 0
	.set _ZN9rocsparseL44csr2gebsr_wavefront_per_row_multipass_kernelILi256ELi32ELi2ELi64E21rocsparse_complex_numIdEEEv20rocsparse_direction_iiiiii21rocsparse_index_base_PKT3_PKiS9_S4_PS5_PiSB_.private_seg_size, 0
	.set _ZN9rocsparseL44csr2gebsr_wavefront_per_row_multipass_kernelILi256ELi32ELi2ELi64E21rocsparse_complex_numIdEEEv20rocsparse_direction_iiiiii21rocsparse_index_base_PKT3_PKiS9_S4_PS5_PiSB_.uses_vcc, 1
	.set _ZN9rocsparseL44csr2gebsr_wavefront_per_row_multipass_kernelILi256ELi32ELi2ELi64E21rocsparse_complex_numIdEEEv20rocsparse_direction_iiiiii21rocsparse_index_base_PKT3_PKiS9_S4_PS5_PiSB_.uses_flat_scratch, 0
	.set _ZN9rocsparseL44csr2gebsr_wavefront_per_row_multipass_kernelILi256ELi32ELi2ELi64E21rocsparse_complex_numIdEEEv20rocsparse_direction_iiiiii21rocsparse_index_base_PKT3_PKiS9_S4_PS5_PiSB_.has_dyn_sized_stack, 0
	.set _ZN9rocsparseL44csr2gebsr_wavefront_per_row_multipass_kernelILi256ELi32ELi2ELi64E21rocsparse_complex_numIdEEEv20rocsparse_direction_iiiiii21rocsparse_index_base_PKT3_PKiS9_S4_PS5_PiSB_.has_recursion, 0
	.set _ZN9rocsparseL44csr2gebsr_wavefront_per_row_multipass_kernelILi256ELi32ELi2ELi64E21rocsparse_complex_numIdEEEv20rocsparse_direction_iiiiii21rocsparse_index_base_PKT3_PKiS9_S4_PS5_PiSB_.has_indirect_call, 0
	.section	.AMDGPU.csdata,"",@progbits
; Kernel info:
; codeLenInByte = 1444
; TotalNumSgprs: 24
; NumVgprs: 38
; ScratchSize: 0
; MemoryBound: 0
; FloatMode: 240
; IeeeMode: 1
; LDSByteSize: 4104 bytes/workgroup (compile time only)
; SGPRBlocks: 0
; VGPRBlocks: 2
; NumSGPRsForWavesPerEU: 24
; NumVGPRsForWavesPerEU: 38
; NamedBarCnt: 0
; Occupancy: 16
; WaveLimiterHint : 0
; COMPUTE_PGM_RSRC2:SCRATCH_EN: 0
; COMPUTE_PGM_RSRC2:USER_SGPR: 2
; COMPUTE_PGM_RSRC2:TRAP_HANDLER: 0
; COMPUTE_PGM_RSRC2:TGID_X_EN: 1
; COMPUTE_PGM_RSRC2:TGID_Y_EN: 0
; COMPUTE_PGM_RSRC2:TGID_Z_EN: 0
; COMPUTE_PGM_RSRC2:TIDIG_COMP_CNT: 0
	.section	.text._ZN9rocsparseL44csr2gebsr_wavefront_per_row_multipass_kernelILi256ELi32ELi2ELi32E21rocsparse_complex_numIdEEEv20rocsparse_direction_iiiiii21rocsparse_index_base_PKT3_PKiS9_S4_PS5_PiSB_,"axG",@progbits,_ZN9rocsparseL44csr2gebsr_wavefront_per_row_multipass_kernelILi256ELi32ELi2ELi32E21rocsparse_complex_numIdEEEv20rocsparse_direction_iiiiii21rocsparse_index_base_PKT3_PKiS9_S4_PS5_PiSB_,comdat
	.globl	_ZN9rocsparseL44csr2gebsr_wavefront_per_row_multipass_kernelILi256ELi32ELi2ELi32E21rocsparse_complex_numIdEEEv20rocsparse_direction_iiiiii21rocsparse_index_base_PKT3_PKiS9_S4_PS5_PiSB_ ; -- Begin function _ZN9rocsparseL44csr2gebsr_wavefront_per_row_multipass_kernelILi256ELi32ELi2ELi32E21rocsparse_complex_numIdEEEv20rocsparse_direction_iiiiii21rocsparse_index_base_PKT3_PKiS9_S4_PS5_PiSB_
	.p2align	8
	.type	_ZN9rocsparseL44csr2gebsr_wavefront_per_row_multipass_kernelILi256ELi32ELi2ELi32E21rocsparse_complex_numIdEEEv20rocsparse_direction_iiiiii21rocsparse_index_base_PKT3_PKiS9_S4_PS5_PiSB_,@function
_ZN9rocsparseL44csr2gebsr_wavefront_per_row_multipass_kernelILi256ELi32ELi2ELi32E21rocsparse_complex_numIdEEEv20rocsparse_direction_iiiiii21rocsparse_index_base_PKT3_PKiS9_S4_PS5_PiSB_: ; @_ZN9rocsparseL44csr2gebsr_wavefront_per_row_multipass_kernelILi256ELi32ELi2ELi32E21rocsparse_complex_numIdEEEv20rocsparse_direction_iiiiii21rocsparse_index_base_PKT3_PKiS9_S4_PS5_PiSB_
; %bb.0:
	s_clause 0x1
	s_load_b128 s[4:7], s[0:1], 0xc
	s_load_b64 s[14:15], s[0:1], 0x0
	s_bfe_u32 s2, ttmp6, 0x4000c
	s_and_b32 s3, ttmp6, 15
	s_add_co_i32 s2, s2, 1
	s_getreg_b32 s8, hwreg(HW_REG_IB_STS2, 6, 4)
	s_mul_i32 s2, ttmp9, s2
	v_dual_lshrrev_b32 v18, 5, v0 :: v_dual_bitop2_b32 v1, 31, v0 bitop3:0x40
	s_add_co_i32 s3, s3, s2
	s_cmp_eq_u32 s8, 0
	s_clause 0x1
	s_load_b32 s20, s[0:1], 0x1c
	s_load_b64 s[8:9], s[0:1], 0x28
	s_cselect_b32 s2, ttmp9, s3
	v_dual_mov_b32 v4, 0 :: v_dual_mov_b32 v6, 0
	v_lshl_or_b32 v2, s2, 3, v18
	s_wait_kmcnt 0x0
	s_delay_alu instid0(VALU_DEP_1) | instskip(SKIP_1) | instid1(VALU_DEP_2)
	v_mad_u32 v3, v2, s6, v1
	v_cmp_gt_i32_e64 s2, s6, v1
	v_cmp_gt_i32_e32 vcc_lo, s15, v3
	s_and_b32 s3, s2, vcc_lo
	s_delay_alu instid0(SALU_CYCLE_1)
	s_and_saveexec_b32 s10, s3
	s_cbranch_execz .LBB215_2
; %bb.1:
	global_load_b32 v5, v3, s[8:9] scale_offset
	s_wait_loadcnt 0x0
	v_subrev_nc_u32_e32 v6, s20, v5
.LBB215_2:
	s_or_b32 exec_lo, exec_lo, s10
	v_mov_b32_e32 v19, 0
	s_and_saveexec_b32 s10, s3
	s_cbranch_execz .LBB215_4
; %bb.3:
	global_load_b32 v3, v3, s[8:9] offset:4 scale_offset
	s_wait_loadcnt 0x0
	v_subrev_nc_u32_e32 v19, s20, v3
.LBB215_4:
	s_or_b32 exec_lo, exec_lo, s10
	s_load_b32 s21, s[0:1], 0x38
	s_mov_b32 s3, exec_lo
	v_cmpx_gt_i32_e64 s4, v2
	s_cbranch_execz .LBB215_6
; %bb.5:
	s_load_b64 s[8:9], s[0:1], 0x48
	s_wait_kmcnt 0x0
	global_load_b32 v2, v2, s[8:9] scale_offset
	s_wait_loadcnt 0x0
	v_subrev_nc_u32_e32 v4, s21, v2
.LBB215_6:
	s_or_b32 exec_lo, exec_lo, s3
	s_cmp_lt_i32 s5, 1
	s_cbranch_scc1 .LBB215_23
; %bb.7:
	s_clause 0x3
	s_load_b64 s[22:23], s[0:1], 0x40
	s_load_b64 s[8:9], s[0:1], 0x50
	;; [unrolled: 1-line block ×4, first 2 shown]
	v_dual_lshlrev_b32 v20, 5, v0 :: v_dual_lshlrev_b32 v8, 4, v1
	v_mul_lo_u32 v0, s7, v1
	v_mbcnt_lo_u32_b32 v2, -1, 0
	s_cmp_eq_u32 s14, 0
	v_mov_b32_e32 v9, 0
	s_cselect_b32 vcc_lo, -1, 0
	s_ashr_i32 s17, s7, 31
	v_dual_lshlrev_b32 v21, 2, v2 :: v_dual_bitop2_b32 v3, 16, v2 bitop3:0x14
	s_cmp_lg_u32 s7, 0
	s_mov_b32 s14, s6
	s_wait_xcnt 0x0
	s_cselect_b32 s0, -1, 0
	v_ashrrev_i32_e32 v1, 31, v0
	s_and_b32 s4, s2, s0
	v_cmp_gt_i32_e64 s0, 32, v3
	s_cmp_gt_u32 s7, 1
	s_wait_kmcnt 0x0
	v_add_nc_u64_e32 v[10:11], s[22:23], v[8:9]
	s_cselect_b32 s1, -1, 0
	s_abs_i32 s6, s7
	v_lshl_add_u64 v[12:13], v[0:1], 4, s[22:23]
	v_dual_cndmask_b32 v0, v2, v3, s0 :: v_dual_bitop2_b32 v1, 8, v2 bitop3:0x14
	s_cvt_f32_u32 s0, s6
	s_mov_b32 s15, 0
	s_mov_b32 s16, s7
	s_delay_alu instid0(VALU_DEP_1)
	v_dual_lshlrev_b32 v22, 2, v0 :: v_dual_bitop2_b32 v0, 4, v2 bitop3:0x14
	v_rcp_iflag_f32_e32 v5, s0
	v_cmp_gt_i32_e64 s0, 32, v1
	v_xor_b32_e32 v3, 2, v2
	s_mul_u64 s[18:19], s[16:17], s[14:15]
	s_and_b32 s16, s2, s1
	s_mov_b32 s1, s15
	v_cndmask_b32_e64 v1, v2, v1, s0
	v_cmp_gt_i32_e64 s0, 32, v0
	v_xor_b32_e32 v7, 1, v2
	v_readfirstlane_b32 s3, v5
	s_mov_b32 s2, s15
	v_dual_lshlrev_b32 v23, 2, v1 :: v_dual_cndmask_b32 v0, v2, v0, s0
	v_cmp_gt_i32_e64 s0, 32, v3
	v_dual_mov_b32 v27, 0x7c :: v_dual_mov_b32 v30, 0
	v_dual_mov_b32 v29, 1 :: v_dual_bitop2_b32 v28, 16, v20 bitop3:0x54
	s_delay_alu instid0(VALU_DEP_3) | instskip(SKIP_1) | instid1(VALU_DEP_1)
	v_cndmask_b32_e64 v3, v2, v3, s0
	v_cmp_gt_i32_e64 s0, 32, v7
	v_dual_lshlrev_b32 v24, 2, v0 :: v_dual_cndmask_b32 v2, v2, v7, s0
	s_mul_f32 s0, s3, 0x4f7ffffe
	s_mov_b32 s3, s15
	s_delay_alu instid0(VALU_DEP_1) | instskip(NEXT) | instid1(SALU_CYCLE_1)
	v_dual_lshlrev_b32 v25, 2, v3 :: v_dual_lshlrev_b32 v26, 2, v2
	s_cvt_u32_f32 s22, s0
	s_sub_co_i32 s0, 0, s6
	s_delay_alu instid0(SALU_CYCLE_2)
	s_mul_i32 s23, s0, s22
	s_mov_b32 s0, s15
	s_mul_hi_u32 s23, s22, s23
	v_mov_b64_e32 v[0:1], s[0:1]
	v_mov_b64_e32 v[2:3], s[2:3]
	s_add_co_i32 s2, s22, s23
	s_mov_b32 s22, s15
	s_branch .LBB215_10
.LBB215_8:                              ;   in Loop: Header=BB215_10 Depth=1
	s_wait_xcnt 0x0
	s_or_b32 exec_lo, exec_lo, s0
	v_mov_b32_e32 v5, 1
.LBB215_9:                              ;   in Loop: Header=BB215_10 Depth=1
	s_or_b32 exec_lo, exec_lo, s1
	ds_bpermute_b32 v8, v22, v7
	s_wait_storecnt_dscnt 0x0
	v_dual_add_nc_u32 v4, v5, v4 :: v_dual_min_i32 v7, v8, v7
	ds_bpermute_b32 v8, v23, v7
	s_wait_dscnt 0x0
	v_min_i32_e32 v7, v8, v7
	ds_bpermute_b32 v8, v24, v7
	s_wait_dscnt 0x0
	v_min_i32_e32 v7, v8, v7
	;; [unrolled: 3-line block ×4, first 2 shown]
	ds_bpermute_b32 v30, v27, v7
	s_wait_dscnt 0x0
	v_cmp_le_i32_e64 s0, s5, v30
	s_or_b32 s22, s0, s22
	s_delay_alu instid0(SALU_CYCLE_1)
	s_and_not1_b32 exec_lo, exec_lo, s22
	s_cbranch_execz .LBB215_23
.LBB215_10:                             ; =>This Loop Header: Depth=1
                                        ;     Child Loop BB215_13 Depth 2
	v_dual_mov_b32 v7, s5 :: v_dual_mov_b32 v31, v19
	s_mov_b32 s23, exec_lo
	ds_store_b8 v18, v9 offset:8192
	ds_store_b128 v20, v[0:3]
	ds_store_b128 v20, v[0:3] offset:16
	s_wait_dscnt 0x0
	v_cmpx_lt_i32_e64 v6, v19
	s_cbranch_execz .LBB215_18
; %bb.11:                               ;   in Loop: Header=BB215_10 Depth=1
	v_mul_lo_u32 v5, v30, s7
	v_dual_ashrrev_i32 v7, 31, v6 :: v_dual_mov_b32 v31, v19
	s_mov_b32 s24, 0
	s_delay_alu instid0(VALU_DEP_1)
	v_lshl_add_u64 v[14:15], v[6:7], 2, s[12:13]
	v_lshl_add_u64 v[16:17], v[6:7], 4, s[10:11]
	v_mov_b32_e32 v7, s5
	s_branch .LBB215_13
.LBB215_12:                             ;   in Loop: Header=BB215_13 Depth=2
	s_wait_xcnt 0x0
	s_or_b32 exec_lo, exec_lo, s1
	v_add_nc_u32_e32 v6, 1, v6
	s_xor_b32 s0, s0, -1
	v_add_nc_u64_e32 v[14:15], 4, v[14:15]
	v_add_nc_u64_e32 v[16:17], 16, v[16:17]
	s_delay_alu instid0(VALU_DEP_3) | instskip(SKIP_1) | instid1(SALU_CYCLE_1)
	v_cmp_ge_i32_e64 s1, v6, v19
	s_or_b32 s0, s0, s1
	s_and_b32 s0, exec_lo, s0
	s_delay_alu instid0(SALU_CYCLE_1) | instskip(NEXT) | instid1(SALU_CYCLE_1)
	s_or_b32 s24, s0, s24
	s_and_not1_b32 exec_lo, exec_lo, s24
	s_cbranch_execz .LBB215_17
.LBB215_13:                             ;   Parent Loop BB215_10 Depth=1
                                        ; =>  This Inner Loop Header: Depth=2
	global_load_b32 v8, v[14:15], off
	s_wait_loadcnt 0x0
	v_subrev_nc_u32_e32 v32, s20, v8
	s_delay_alu instid0(VALU_DEP_1) | instskip(NEXT) | instid1(VALU_DEP_1)
	v_sub_nc_u32_e32 v8, 0, v32
	v_max_i32_e32 v8, v32, v8
	s_delay_alu instid0(VALU_DEP_1) | instskip(NEXT) | instid1(VALU_DEP_1)
	v_mul_u64_e32 v[34:35], s[2:3], v[8:9]
	v_mul_lo_u32 v33, v35, s6
	s_delay_alu instid0(VALU_DEP_1) | instskip(NEXT) | instid1(VALU_DEP_1)
	v_dual_sub_nc_u32 v8, v8, v33 :: v_dual_add_nc_u32 v33, 1, v35
	v_cmp_le_u32_e64 s0, s6, v8
	s_delay_alu instid0(VALU_DEP_1) | instskip(SKIP_1) | instid1(VALU_DEP_1)
	v_dual_cndmask_b32 v33, v35, v33, s0 :: v_dual_ashrrev_i32 v35, 31, v32
	v_subrev_nc_u32_e32 v34, s6, v8
	v_dual_cndmask_b32 v8, v8, v34, s0 :: v_dual_add_nc_u32 v34, 1, v33
	s_delay_alu instid0(VALU_DEP_1) | instskip(NEXT) | instid1(VALU_DEP_1)
	v_cmp_le_u32_e64 s0, s6, v8
	v_dual_cndmask_b32 v8, v33, v34, s0 :: v_dual_bitop2_b32 v35, s17, v35 bitop3:0x14
	s_delay_alu instid0(VALU_DEP_1) | instskip(NEXT) | instid1(VALU_DEP_1)
	v_xor_b32_e32 v8, v8, v35
	v_dual_mov_b32 v8, v31 :: v_dual_sub_nc_u32 v33, v8, v35
	s_delay_alu instid0(VALU_DEP_1) | instskip(SKIP_3) | instid1(SALU_CYCLE_1)
	v_cmp_eq_u32_e64 s0, v33, v30
	v_cmp_ne_u32_e64 s1, v33, v30
	s_wait_xcnt 0x0
	s_and_saveexec_b32 s25, s1
	s_xor_b32 s1, exec_lo, s25
; %bb.14:                               ;   in Loop: Header=BB215_13 Depth=2
	v_min_i32_e32 v7, v33, v7
                                        ; implicit-def: $vgpr32
                                        ; implicit-def: $vgpr8
; %bb.15:                               ;   in Loop: Header=BB215_13 Depth=2
	s_or_saveexec_b32 s1, s1
	v_mov_b32_e32 v31, v6
	s_xor_b32 exec_lo, exec_lo, s1
	s_cbranch_execz .LBB215_12
; %bb.16:                               ;   in Loop: Header=BB215_13 Depth=2
	global_load_b128 v[34:37], v[16:17], off
	v_sub_nc_u32_e32 v31, v32, v5
	s_delay_alu instid0(VALU_DEP_1)
	v_lshl_add_u32 v32, v31, 4, v20
	v_mov_b32_e32 v31, v8
	ds_store_b8 v18, v29 offset:8192
	s_wait_loadcnt 0x0
	ds_store_2addr_b64 v32, v[34:35], v[36:37] offset1:1
	s_branch .LBB215_12
.LBB215_17:                             ;   in Loop: Header=BB215_10 Depth=1
	s_or_b32 exec_lo, exec_lo, s24
.LBB215_18:                             ;   in Loop: Header=BB215_10 Depth=1
	s_delay_alu instid0(SALU_CYCLE_1)
	s_or_b32 exec_lo, exec_lo, s23
	s_wait_dscnt 0x0
	ds_load_u8 v5, v18 offset:8192
	ds_bpermute_b32 v6, v21, v31
	s_wait_dscnt 0x1
	v_and_b32_e32 v5, 1, v5
	s_delay_alu instid0(VALU_DEP_1)
	v_cmp_eq_u32_e64 s0, 1, v5
	v_mov_b32_e32 v5, 0
	s_and_saveexec_b32 s1, s0
	s_cbranch_execz .LBB215_9
; %bb.19:                               ;   in Loop: Header=BB215_10 Depth=1
	v_ashrrev_i32_e32 v5, 31, v4
	s_delay_alu instid0(VALU_DEP_1) | instskip(SKIP_3) | instid1(VALU_DEP_1)
	v_mul_u64_e32 v[14:15], s[18:19], v[4:5]
	v_add_nc_u32_e32 v5, s21, v30
	global_store_b32 v4, v5, s[8:9] scale_offset
	v_lshlrev_b64_e32 v[16:17], 4, v[14:15]
	v_add_nc_u64_e32 v[14:15], v[10:11], v[16:17]
	v_add_nc_u64_e32 v[16:17], v[12:13], v[16:17]
	s_wait_xcnt 0x0
	s_and_saveexec_b32 s0, s4
	s_cbranch_execz .LBB215_21
; %bb.20:                               ;   in Loop: Header=BB215_10 Depth=1
	ds_load_2addr_b64 v[30:33], v20 offset1:1
	v_dual_cndmask_b32 v35, v15, v17 :: v_dual_cndmask_b32 v34, v14, v16
	s_wait_dscnt 0x0
	global_store_b128 v[34:35], v[30:33], off
.LBB215_21:                             ;   in Loop: Header=BB215_10 Depth=1
	s_wait_xcnt 0x0
	s_or_b32 exec_lo, exec_lo, s0
	s_and_saveexec_b32 s0, s16
	s_cbranch_execz .LBB215_8
; %bb.22:                               ;   in Loop: Header=BB215_10 Depth=1
	ds_load_2addr_b64 v[30:33], v28 offset1:1
	v_add_nc_u64_e32 v[16:17], 16, v[16:17]
	v_lshl_add_u64 v[14:15], s[14:15], 4, v[14:15]
	s_delay_alu instid0(VALU_DEP_1)
	v_dual_cndmask_b32 v15, v15, v17 :: v_dual_cndmask_b32 v14, v14, v16
	s_wait_dscnt 0x0
	global_store_b128 v[14:15], v[30:33], off
	s_branch .LBB215_8
.LBB215_23:
	s_endpgm
	.section	.rodata,"a",@progbits
	.p2align	6, 0x0
	.amdhsa_kernel _ZN9rocsparseL44csr2gebsr_wavefront_per_row_multipass_kernelILi256ELi32ELi2ELi32E21rocsparse_complex_numIdEEEv20rocsparse_direction_iiiiii21rocsparse_index_base_PKT3_PKiS9_S4_PS5_PiSB_
		.amdhsa_group_segment_fixed_size 8200
		.amdhsa_private_segment_fixed_size 0
		.amdhsa_kernarg_size 88
		.amdhsa_user_sgpr_count 2
		.amdhsa_user_sgpr_dispatch_ptr 0
		.amdhsa_user_sgpr_queue_ptr 0
		.amdhsa_user_sgpr_kernarg_segment_ptr 1
		.amdhsa_user_sgpr_dispatch_id 0
		.amdhsa_user_sgpr_kernarg_preload_length 0
		.amdhsa_user_sgpr_kernarg_preload_offset 0
		.amdhsa_user_sgpr_private_segment_size 0
		.amdhsa_wavefront_size32 1
		.amdhsa_uses_dynamic_stack 0
		.amdhsa_enable_private_segment 0
		.amdhsa_system_sgpr_workgroup_id_x 1
		.amdhsa_system_sgpr_workgroup_id_y 0
		.amdhsa_system_sgpr_workgroup_id_z 0
		.amdhsa_system_sgpr_workgroup_info 0
		.amdhsa_system_vgpr_workitem_id 0
		.amdhsa_next_free_vgpr 38
		.amdhsa_next_free_sgpr 26
		.amdhsa_named_barrier_count 0
		.amdhsa_reserve_vcc 1
		.amdhsa_float_round_mode_32 0
		.amdhsa_float_round_mode_16_64 0
		.amdhsa_float_denorm_mode_32 3
		.amdhsa_float_denorm_mode_16_64 3
		.amdhsa_fp16_overflow 0
		.amdhsa_memory_ordered 1
		.amdhsa_forward_progress 1
		.amdhsa_inst_pref_size 12
		.amdhsa_round_robin_scheduling 0
		.amdhsa_exception_fp_ieee_invalid_op 0
		.amdhsa_exception_fp_denorm_src 0
		.amdhsa_exception_fp_ieee_div_zero 0
		.amdhsa_exception_fp_ieee_overflow 0
		.amdhsa_exception_fp_ieee_underflow 0
		.amdhsa_exception_fp_ieee_inexact 0
		.amdhsa_exception_int_div_zero 0
	.end_amdhsa_kernel
	.section	.text._ZN9rocsparseL44csr2gebsr_wavefront_per_row_multipass_kernelILi256ELi32ELi2ELi32E21rocsparse_complex_numIdEEEv20rocsparse_direction_iiiiii21rocsparse_index_base_PKT3_PKiS9_S4_PS5_PiSB_,"axG",@progbits,_ZN9rocsparseL44csr2gebsr_wavefront_per_row_multipass_kernelILi256ELi32ELi2ELi32E21rocsparse_complex_numIdEEEv20rocsparse_direction_iiiiii21rocsparse_index_base_PKT3_PKiS9_S4_PS5_PiSB_,comdat
.Lfunc_end215:
	.size	_ZN9rocsparseL44csr2gebsr_wavefront_per_row_multipass_kernelILi256ELi32ELi2ELi32E21rocsparse_complex_numIdEEEv20rocsparse_direction_iiiiii21rocsparse_index_base_PKT3_PKiS9_S4_PS5_PiSB_, .Lfunc_end215-_ZN9rocsparseL44csr2gebsr_wavefront_per_row_multipass_kernelILi256ELi32ELi2ELi32E21rocsparse_complex_numIdEEEv20rocsparse_direction_iiiiii21rocsparse_index_base_PKT3_PKiS9_S4_PS5_PiSB_
                                        ; -- End function
	.set _ZN9rocsparseL44csr2gebsr_wavefront_per_row_multipass_kernelILi256ELi32ELi2ELi32E21rocsparse_complex_numIdEEEv20rocsparse_direction_iiiiii21rocsparse_index_base_PKT3_PKiS9_S4_PS5_PiSB_.num_vgpr, 38
	.set _ZN9rocsparseL44csr2gebsr_wavefront_per_row_multipass_kernelILi256ELi32ELi2ELi32E21rocsparse_complex_numIdEEEv20rocsparse_direction_iiiiii21rocsparse_index_base_PKT3_PKiS9_S4_PS5_PiSB_.num_agpr, 0
	.set _ZN9rocsparseL44csr2gebsr_wavefront_per_row_multipass_kernelILi256ELi32ELi2ELi32E21rocsparse_complex_numIdEEEv20rocsparse_direction_iiiiii21rocsparse_index_base_PKT3_PKiS9_S4_PS5_PiSB_.numbered_sgpr, 26
	.set _ZN9rocsparseL44csr2gebsr_wavefront_per_row_multipass_kernelILi256ELi32ELi2ELi32E21rocsparse_complex_numIdEEEv20rocsparse_direction_iiiiii21rocsparse_index_base_PKT3_PKiS9_S4_PS5_PiSB_.num_named_barrier, 0
	.set _ZN9rocsparseL44csr2gebsr_wavefront_per_row_multipass_kernelILi256ELi32ELi2ELi32E21rocsparse_complex_numIdEEEv20rocsparse_direction_iiiiii21rocsparse_index_base_PKT3_PKiS9_S4_PS5_PiSB_.private_seg_size, 0
	.set _ZN9rocsparseL44csr2gebsr_wavefront_per_row_multipass_kernelILi256ELi32ELi2ELi32E21rocsparse_complex_numIdEEEv20rocsparse_direction_iiiiii21rocsparse_index_base_PKT3_PKiS9_S4_PS5_PiSB_.uses_vcc, 1
	.set _ZN9rocsparseL44csr2gebsr_wavefront_per_row_multipass_kernelILi256ELi32ELi2ELi32E21rocsparse_complex_numIdEEEv20rocsparse_direction_iiiiii21rocsparse_index_base_PKT3_PKiS9_S4_PS5_PiSB_.uses_flat_scratch, 0
	.set _ZN9rocsparseL44csr2gebsr_wavefront_per_row_multipass_kernelILi256ELi32ELi2ELi32E21rocsparse_complex_numIdEEEv20rocsparse_direction_iiiiii21rocsparse_index_base_PKT3_PKiS9_S4_PS5_PiSB_.has_dyn_sized_stack, 0
	.set _ZN9rocsparseL44csr2gebsr_wavefront_per_row_multipass_kernelILi256ELi32ELi2ELi32E21rocsparse_complex_numIdEEEv20rocsparse_direction_iiiiii21rocsparse_index_base_PKT3_PKiS9_S4_PS5_PiSB_.has_recursion, 0
	.set _ZN9rocsparseL44csr2gebsr_wavefront_per_row_multipass_kernelILi256ELi32ELi2ELi32E21rocsparse_complex_numIdEEEv20rocsparse_direction_iiiiii21rocsparse_index_base_PKT3_PKiS9_S4_PS5_PiSB_.has_indirect_call, 0
	.section	.AMDGPU.csdata,"",@progbits
; Kernel info:
; codeLenInByte = 1456
; TotalNumSgprs: 28
; NumVgprs: 38
; ScratchSize: 0
; MemoryBound: 0
; FloatMode: 240
; IeeeMode: 1
; LDSByteSize: 8200 bytes/workgroup (compile time only)
; SGPRBlocks: 0
; VGPRBlocks: 2
; NumSGPRsForWavesPerEU: 28
; NumVGPRsForWavesPerEU: 38
; NamedBarCnt: 0
; Occupancy: 16
; WaveLimiterHint : 0
; COMPUTE_PGM_RSRC2:SCRATCH_EN: 0
; COMPUTE_PGM_RSRC2:USER_SGPR: 2
; COMPUTE_PGM_RSRC2:TRAP_HANDLER: 0
; COMPUTE_PGM_RSRC2:TGID_X_EN: 1
; COMPUTE_PGM_RSRC2:TGID_Y_EN: 0
; COMPUTE_PGM_RSRC2:TGID_Z_EN: 0
; COMPUTE_PGM_RSRC2:TIDIG_COMP_CNT: 0
	.section	.text._ZN9rocsparseL44csr2gebsr_wavefront_per_row_multipass_kernelILi256ELi32ELi4ELi64E21rocsparse_complex_numIdEEEv20rocsparse_direction_iiiiii21rocsparse_index_base_PKT3_PKiS9_S4_PS5_PiSB_,"axG",@progbits,_ZN9rocsparseL44csr2gebsr_wavefront_per_row_multipass_kernelILi256ELi32ELi4ELi64E21rocsparse_complex_numIdEEEv20rocsparse_direction_iiiiii21rocsparse_index_base_PKT3_PKiS9_S4_PS5_PiSB_,comdat
	.globl	_ZN9rocsparseL44csr2gebsr_wavefront_per_row_multipass_kernelILi256ELi32ELi4ELi64E21rocsparse_complex_numIdEEEv20rocsparse_direction_iiiiii21rocsparse_index_base_PKT3_PKiS9_S4_PS5_PiSB_ ; -- Begin function _ZN9rocsparseL44csr2gebsr_wavefront_per_row_multipass_kernelILi256ELi32ELi4ELi64E21rocsparse_complex_numIdEEEv20rocsparse_direction_iiiiii21rocsparse_index_base_PKT3_PKiS9_S4_PS5_PiSB_
	.p2align	8
	.type	_ZN9rocsparseL44csr2gebsr_wavefront_per_row_multipass_kernelILi256ELi32ELi4ELi64E21rocsparse_complex_numIdEEEv20rocsparse_direction_iiiiii21rocsparse_index_base_PKT3_PKiS9_S4_PS5_PiSB_,@function
_ZN9rocsparseL44csr2gebsr_wavefront_per_row_multipass_kernelILi256ELi32ELi4ELi64E21rocsparse_complex_numIdEEEv20rocsparse_direction_iiiiii21rocsparse_index_base_PKT3_PKiS9_S4_PS5_PiSB_: ; @_ZN9rocsparseL44csr2gebsr_wavefront_per_row_multipass_kernelILi256ELi32ELi4ELi64E21rocsparse_complex_numIdEEEv20rocsparse_direction_iiiiii21rocsparse_index_base_PKT3_PKiS9_S4_PS5_PiSB_
; %bb.0:
	s_clause 0x1
	s_load_b128 s[4:7], s[0:1], 0xc
	s_load_b64 s[14:15], s[0:1], 0x0
	s_bfe_u32 s2, ttmp6, 0x4000c
	s_and_b32 s3, ttmp6, 15
	s_add_co_i32 s2, s2, 1
	s_getreg_b32 s8, hwreg(HW_REG_IB_STS2, 6, 4)
	s_mul_i32 s2, ttmp9, s2
	v_dual_lshrrev_b32 v22, 6, v0 :: v_dual_mov_b32 v4, 0
	s_add_co_i32 s3, s3, s2
	s_cmp_eq_u32 s8, 0
	v_bfe_u32 v1, v0, 1, 5
	s_cselect_b32 s2, ttmp9, s3
	s_clause 0x1
	s_load_b32 s18, s[0:1], 0x1c
	s_load_b64 s[8:9], s[0:1], 0x28
	v_lshl_or_b32 v2, s2, 2, v22
	v_mov_b32_e32 v20, 0
	s_wait_kmcnt 0x0
	s_delay_alu instid0(VALU_DEP_2) | instskip(SKIP_1) | instid1(VALU_DEP_2)
	v_mad_u32 v3, v2, s6, v1
	v_cmp_gt_i32_e32 vcc_lo, s6, v1
	v_cmp_gt_i32_e64 s2, s15, v3
	s_and_b32 s2, vcc_lo, s2
	s_delay_alu instid0(SALU_CYCLE_1)
	s_and_saveexec_b32 s3, s2
	s_cbranch_execz .LBB216_2
; %bb.1:
	global_load_b32 v5, v3, s[8:9] scale_offset
	s_wait_loadcnt 0x0
	v_subrev_nc_u32_e32 v20, s18, v5
.LBB216_2:
	s_or_b32 exec_lo, exec_lo, s3
	v_mov_b32_e32 v23, 0
	s_and_saveexec_b32 s3, s2
	s_cbranch_execz .LBB216_4
; %bb.3:
	global_load_b32 v3, v3, s[8:9] offset:4 scale_offset
	s_wait_loadcnt 0x0
	v_subrev_nc_u32_e32 v23, s18, v3
.LBB216_4:
	s_or_b32 exec_lo, exec_lo, s3
	s_load_b32 s19, s[0:1], 0x38
	s_mov_b32 s3, exec_lo
	v_cmpx_gt_i32_e64 s4, v2
	s_cbranch_execz .LBB216_6
; %bb.5:
	s_load_b64 s[8:9], s[0:1], 0x48
	s_wait_kmcnt 0x0
	global_load_b32 v2, v2, s[8:9] scale_offset
	s_wait_loadcnt 0x0
	v_subrev_nc_u32_e32 v4, s19, v2
.LBB216_6:
	s_or_b32 exec_lo, exec_lo, s3
	s_cmp_lt_i32 s5, 1
	s_cbranch_scc1 .LBB216_28
; %bb.7:
	v_mbcnt_lo_u32_b32 v5, -1, 0
	v_dual_lshlrev_b32 v0, 6, v1 :: v_dual_bitop2_b32 v24, 1, v0 bitop3:0x40
	s_clause 0x3
	s_load_b64 s[8:9], s[0:1], 0x50
	s_load_b64 s[20:21], s[0:1], 0x40
	;; [unrolled: 1-line block ×4, first 2 shown]
	s_cmp_eq_u32 s14, 0
	v_xor_b32_e32 v2, 1, v5
	s_mov_b32 s3, 0
	v_lshl_or_b32 v25, v22, 11, v0
	v_lshlrev_b32_e32 v0, 4, v24
	s_mov_b32 s2, s6
	s_wait_xcnt 0x0
	v_cmp_gt_i32_e64 s0, 32, v2
	v_lshl_or_b32 v27, v5, 2, 4
	v_bfrev_b32_e32 v34, 0.5
	v_dual_mov_b32 v39, 0 :: v_dual_mov_b32 v7, 0
	s_delay_alu instid0(VALU_DEP_4)
	v_cndmask_b32_e64 v3, v5, v2, s0
	v_mul_lo_u32 v2, s7, v1
	s_cselect_b32 s0, -1, 0
	s_cmp_lg_u32 s14, 0
	v_dual_mov_b32 v1, v7 :: v_dual_lshlrev_b32 v6, 4, v1
	v_dual_lshlrev_b32 v26, 2, v3 :: v_dual_bitop2_b32 v28, v25, v0 bitop3:0x54
	s_cselect_b32 s4, -1, 0
	s_ashr_i32 s15, s7, 31
	s_mov_b32 s14, s7
	s_delay_alu instid0(VALU_DEP_3) | instskip(SKIP_3) | instid1(VALU_DEP_2)
	v_dual_ashrrev_i32 v3, 31, v2 :: v_dual_bitop2_b32 v8, 32, v5 bitop3:0x54
	s_mul_u64 s[16:17], s[14:15], s[2:3]
	s_abs_i32 s14, s7
	v_dual_mov_b32 v15, v7 :: v_dual_bitop2_b32 v35, 32, v28 bitop3:0x54
	v_cmp_gt_i32_e64 s1, 32, v8
	s_wait_kmcnt 0x0
	v_lshl_add_u64 v[2:3], v[2:3], 4, s[20:21]
	s_cvt_f32_u32 s2, s14
	v_or_b32_e32 v36, -2, v24
	v_dual_cndmask_b32 v12, v5, v8, s1 :: v_dual_bitop2_b32 v13, 16, v5 bitop3:0x14
	s_delay_alu instid0(VALU_DEP_3) | instskip(SKIP_2) | instid1(VALU_DEP_3)
	v_add_nc_u64_e32 v[10:11], v[2:3], v[0:1]
	v_add_nc_u64_e32 v[8:9], s[20:21], v[6:7]
	v_rcp_iflag_f32_e32 v6, s2
	v_dual_lshlrev_b32 v29, 2, v12 :: v_dual_bitop2_b32 v0, 8, v5 bitop3:0x14
	v_cmp_gt_i32_e64 s1, 32, v13
	v_xor_b32_e32 v3, 2, v5
	v_xor_b32_e32 v2, 4, v5
	v_mul_lo_u32 v12, v24, s6
	s_delay_alu instid0(TRANS32_DEP_1)
	v_readfirstlane_b32 s2, v6
	v_cndmask_b32_e64 v1, v5, v13, s1
	v_cmp_gt_i32_e64 s1, 32, v0
	v_dual_mov_b32 v13, v7 :: v_dual_mov_b32 v37, 1
	s_mul_f32 s20, s2, 0x4f7ffffe
	v_cndmask_b32_e64 v0, v5, v0, s1
	v_cmp_gt_i32_e64 s1, 32, v2
	v_lshlrev_b32_e32 v30, 2, v1
	s_cvt_u32_f32 s21, s20
	v_lshl_add_u32 v14, s6, 1, v12
	v_dual_lshlrev_b32 v31, 2, v0 :: v_dual_cndmask_b32 v2, v5, v2, s1
	v_cmp_gt_i32_e64 s1, 32, v3
	v_or_b32_e32 v0, 2, v24
	s_sub_co_i32 s6, 0, s14
	s_delay_alu instid0(SALU_CYCLE_1) | instskip(SKIP_4) | instid1(VALU_DEP_4)
	s_mul_i32 s20, s6, s21
	v_cndmask_b32_e64 v1, v5, v3, s1
	v_cmp_gt_u32_e64 s1, s7, v24
	v_cmp_gt_u32_e64 s2, s7, v0
	v_dual_lshlrev_b32 v32, 2, v2 :: v_dual_mov_b32 v0, v7
	v_dual_lshlrev_b32 v33, 2, v1 :: v_dual_mov_b32 v1, v7
	v_dual_mov_b32 v2, v7 :: v_dual_mov_b32 v3, v7
	s_and_b32 s6, s1, vcc_lo
	s_mul_hi_u32 s1, s21, s20
	s_and_b32 s20, vcc_lo, s2
	s_add_co_i32 s2, s21, s1
	s_mov_b32 s21, s3
	s_branch .LBB216_10
.LBB216_8:                              ;   in Loop: Header=BB216_10 Depth=1
	s_wait_xcnt 0x0
	s_or_b32 exec_lo, exec_lo, s22
	v_mov_b32_e32 v5, 1
.LBB216_9:                              ;   in Loop: Header=BB216_10 Depth=1
	s_or_b32 exec_lo, exec_lo, s1
	ds_bpermute_b32 v6, v29, v38
	s_wait_storecnt_dscnt 0x0
	v_dual_add_nc_u32 v4, v5, v4 :: v_dual_min_i32 v6, v6, v38
	ds_bpermute_b32 v16, v30, v6
	s_wait_dscnt 0x0
	v_min_i32_e32 v6, v16, v6
	ds_bpermute_b32 v16, v31, v6
	s_wait_dscnt 0x0
	v_min_i32_e32 v6, v16, v6
	;; [unrolled: 3-line block ×5, first 2 shown]
	ds_bpermute_b32 v39, v34, v6
	s_wait_dscnt 0x0
	v_cmp_le_i32_e32 vcc_lo, s5, v39
	s_or_b32 s21, vcc_lo, s21
	s_delay_alu instid0(SALU_CYCLE_1)
	s_and_not1_b32 exec_lo, exec_lo, s21
	s_cbranch_execz .LBB216_28
.LBB216_10:                             ; =>This Loop Header: Depth=1
                                        ;     Child Loop BB216_11 Depth 2
                                        ;     Child Loop BB216_15 Depth 2
	v_dual_mov_b32 v5, v28 :: v_dual_mov_b32 v6, v36
	s_mov_b32 s1, 0
	ds_store_b8 v22, v7 offset:8192
.LBB216_11:                             ;   Parent Loop BB216_10 Depth=1
                                        ; =>  This Inner Loop Header: Depth=2
	v_add_co_u32 v6, s22, v6, 2
	s_xor_b32 s22, s22, -1
	ds_store_b128 v5, v[0:3]
	v_add_nc_u32_e32 v5, 32, v5
	s_and_b32 s22, exec_lo, s22
	s_delay_alu instid0(SALU_CYCLE_1) | instskip(NEXT) | instid1(SALU_CYCLE_1)
	s_or_b32 s1, s22, s1
	s_and_not1_b32 exec_lo, exec_lo, s1
	s_cbranch_execnz .LBB216_11
; %bb.12:                               ;   in Loop: Header=BB216_10 Depth=1
	s_or_b32 exec_lo, exec_lo, s1
	v_dual_add_nc_u32 v16, v20, v24 :: v_dual_mov_b32 v38, s5
	v_mov_b32_e32 v17, v23
	s_mov_b32 s22, exec_lo
	s_wait_dscnt 0x0
	s_delay_alu instid0(VALU_DEP_2)
	v_cmpx_lt_i32_e64 v16, v23
	s_cbranch_execz .LBB216_20
; %bb.13:                               ;   in Loop: Header=BB216_10 Depth=1
	v_mul_lo_u32 v5, v39, s7
	v_dual_mov_b32 v38, s5 :: v_dual_ashrrev_i32 v17, 31, v16
	s_mov_b32 s23, 0
	s_delay_alu instid0(VALU_DEP_1)
	v_lshl_add_u64 v[18:19], v[16:17], 2, s[12:13]
	v_lshl_add_u64 v[20:21], v[16:17], 4, s[10:11]
	v_mov_b32_e32 v17, v23
	s_branch .LBB216_15
.LBB216_14:                             ;   in Loop: Header=BB216_15 Depth=2
	s_wait_xcnt 0x0
	s_or_b32 exec_lo, exec_lo, s1
	v_add_nc_u32_e32 v16, 2, v16
	s_xor_b32 s24, vcc_lo, -1
	v_add_nc_u64_e32 v[18:19], 8, v[18:19]
	v_add_nc_u64_e32 v[20:21], 32, v[20:21]
	s_delay_alu instid0(VALU_DEP_3) | instskip(SKIP_1) | instid1(SALU_CYCLE_1)
	v_cmp_ge_i32_e64 s1, v16, v23
	s_or_b32 s1, s24, s1
	s_and_b32 s1, exec_lo, s1
	s_delay_alu instid0(SALU_CYCLE_1) | instskip(NEXT) | instid1(SALU_CYCLE_1)
	s_or_b32 s23, s1, s23
	s_and_not1_b32 exec_lo, exec_lo, s23
	s_cbranch_execz .LBB216_19
.LBB216_15:                             ;   Parent Loop BB216_10 Depth=1
                                        ; =>  This Inner Loop Header: Depth=2
	global_load_b32 v6, v[18:19], off
	s_wait_loadcnt 0x0
	v_subrev_nc_u32_e32 v40, s18, v6
	s_delay_alu instid0(VALU_DEP_1) | instskip(NEXT) | instid1(VALU_DEP_1)
	v_sub_nc_u32_e32 v6, 0, v40
	v_max_i32_e32 v6, v40, v6
	s_delay_alu instid0(VALU_DEP_1) | instskip(NEXT) | instid1(VALU_DEP_1)
	v_mul_u64_e32 v[42:43], s[2:3], v[6:7]
	v_mul_lo_u32 v41, v43, s14
	s_delay_alu instid0(VALU_DEP_1) | instskip(NEXT) | instid1(VALU_DEP_1)
	v_dual_sub_nc_u32 v6, v6, v41 :: v_dual_add_nc_u32 v41, 1, v43
	v_cmp_le_u32_e32 vcc_lo, s14, v6
	s_delay_alu instid0(VALU_DEP_2) | instskip(SKIP_1) | instid1(VALU_DEP_1)
	v_dual_cndmask_b32 v41, v43, v41, vcc_lo :: v_dual_ashrrev_i32 v43, 31, v40
	v_subrev_nc_u32_e32 v42, s14, v6
	v_dual_cndmask_b32 v6, v6, v42, vcc_lo :: v_dual_add_nc_u32 v42, 1, v41
	s_delay_alu instid0(VALU_DEP_1) | instskip(NEXT) | instid1(VALU_DEP_2)
	v_cmp_le_u32_e32 vcc_lo, s14, v6
	v_dual_cndmask_b32 v6, v41, v42, vcc_lo :: v_dual_bitop2_b32 v43, s15, v43 bitop3:0x14
	s_delay_alu instid0(VALU_DEP_1) | instskip(NEXT) | instid1(VALU_DEP_1)
	v_xor_b32_e32 v6, v6, v43
	v_dual_mov_b32 v6, v17 :: v_dual_sub_nc_u32 v41, v6, v43
	s_delay_alu instid0(VALU_DEP_1) | instskip(SKIP_3) | instid1(SALU_CYCLE_1)
	v_cmp_ne_u32_e64 s1, v41, v39
	v_cmp_eq_u32_e32 vcc_lo, v41, v39
	s_wait_xcnt 0x0
	s_and_saveexec_b32 s24, s1
	s_xor_b32 s1, exec_lo, s24
; %bb.16:                               ;   in Loop: Header=BB216_15 Depth=2
	v_min_i32_e32 v38, v41, v38
                                        ; implicit-def: $vgpr40
                                        ; implicit-def: $vgpr6
; %bb.17:                               ;   in Loop: Header=BB216_15 Depth=2
	s_or_saveexec_b32 s1, s1
	v_mov_b32_e32 v17, v16
	s_xor_b32 exec_lo, exec_lo, s1
	s_cbranch_execz .LBB216_14
; %bb.18:                               ;   in Loop: Header=BB216_15 Depth=2
	global_load_b128 v[42:45], v[20:21], off
	v_sub_nc_u32_e32 v17, v40, v5
	s_delay_alu instid0(VALU_DEP_1)
	v_lshl_add_u32 v40, v17, 4, v25
	v_mov_b32_e32 v17, v6
	ds_store_b8 v22, v37 offset:8192
	s_wait_loadcnt 0x0
	ds_store_2addr_b64 v40, v[42:43], v[44:45] offset1:1
	s_branch .LBB216_14
.LBB216_19:                             ;   in Loop: Header=BB216_10 Depth=1
	s_or_b32 exec_lo, exec_lo, s23
.LBB216_20:                             ;   in Loop: Header=BB216_10 Depth=1
	s_delay_alu instid0(SALU_CYCLE_1)
	s_or_b32 exec_lo, exec_lo, s22
	ds_bpermute_b32 v5, v26, v17
	s_wait_dscnt 0x0
	ds_load_u8 v6, v22 offset:8192
	v_min_i32_e32 v5, v5, v17
	ds_bpermute_b32 v20, v27, v5
	s_wait_dscnt 0x1
	v_and_b32_e32 v5, 1, v6
	s_delay_alu instid0(VALU_DEP_1)
	v_cmp_eq_u32_e32 vcc_lo, 1, v5
	v_mov_b32_e32 v5, 0
	s_and_saveexec_b32 s1, vcc_lo
	s_cbranch_execz .LBB216_9
; %bb.21:                               ;   in Loop: Header=BB216_10 Depth=1
	v_ashrrev_i32_e32 v5, 31, v4
	s_delay_alu instid0(VALU_DEP_1) | instskip(SKIP_3) | instid1(VALU_DEP_1)
	v_mul_u64_e32 v[16:17], s[16:17], v[4:5]
	v_add_nc_u32_e32 v5, s19, v39
	global_store_b32 v4, v5, s[8:9] scale_offset
	v_lshlrev_b64_e32 v[16:17], 4, v[16:17]
	v_add_nc_u64_e32 v[18:19], v[8:9], v[16:17]
	v_add_nc_u64_e32 v[16:17], v[10:11], v[16:17]
	s_wait_xcnt 0x0
	s_and_saveexec_b32 s22, s6
	s_cbranch_execz .LBB216_23
; %bb.22:                               ;   in Loop: Header=BB216_10 Depth=1
	ds_load_2addr_b64 v[40:43], v28 offset1:1
	v_lshl_add_u64 v[44:45], v[12:13], 4, v[18:19]
	s_delay_alu instid0(VALU_DEP_1)
	v_dual_cndmask_b32 v45, v45, v17, s0 :: v_dual_cndmask_b32 v44, v44, v16, s0
	s_wait_dscnt 0x0
	global_store_b128 v[44:45], v[40:43], off
.LBB216_23:                             ;   in Loop: Header=BB216_10 Depth=1
	s_wait_xcnt 0x0
	s_or_b32 exec_lo, exec_lo, s22
	s_and_saveexec_b32 s22, s20
	s_cbranch_execz .LBB216_8
; %bb.24:                               ;   in Loop: Header=BB216_10 Depth=1
	s_and_not1_b32 vcc_lo, exec_lo, s4
	s_mov_b32 s23, -1
	s_cbranch_vccnz .LBB216_26
; %bb.25:                               ;   in Loop: Header=BB216_10 Depth=1
	ds_load_2addr_b64 v[40:43], v35 offset1:1
	v_lshl_add_u64 v[18:19], v[14:15], 4, v[18:19]
	s_mov_b32 s23, 0
	s_wait_dscnt 0x0
	global_store_b128 v[18:19], v[40:43], off
.LBB216_26:                             ;   in Loop: Header=BB216_10 Depth=1
	s_and_not1_b32 vcc_lo, exec_lo, s23
	s_cbranch_vccnz .LBB216_8
; %bb.27:                               ;   in Loop: Header=BB216_10 Depth=1
	s_wait_xcnt 0x0
	ds_load_2addr_b64 v[40:43], v35 offset1:1
	s_wait_dscnt 0x0
	global_store_b128 v[16:17], v[40:43], off offset:32
	s_branch .LBB216_8
.LBB216_28:
	s_endpgm
	.section	.rodata,"a",@progbits
	.p2align	6, 0x0
	.amdhsa_kernel _ZN9rocsparseL44csr2gebsr_wavefront_per_row_multipass_kernelILi256ELi32ELi4ELi64E21rocsparse_complex_numIdEEEv20rocsparse_direction_iiiiii21rocsparse_index_base_PKT3_PKiS9_S4_PS5_PiSB_
		.amdhsa_group_segment_fixed_size 8200
		.amdhsa_private_segment_fixed_size 0
		.amdhsa_kernarg_size 88
		.amdhsa_user_sgpr_count 2
		.amdhsa_user_sgpr_dispatch_ptr 0
		.amdhsa_user_sgpr_queue_ptr 0
		.amdhsa_user_sgpr_kernarg_segment_ptr 1
		.amdhsa_user_sgpr_dispatch_id 0
		.amdhsa_user_sgpr_kernarg_preload_length 0
		.amdhsa_user_sgpr_kernarg_preload_offset 0
		.amdhsa_user_sgpr_private_segment_size 0
		.amdhsa_wavefront_size32 1
		.amdhsa_uses_dynamic_stack 0
		.amdhsa_enable_private_segment 0
		.amdhsa_system_sgpr_workgroup_id_x 1
		.amdhsa_system_sgpr_workgroup_id_y 0
		.amdhsa_system_sgpr_workgroup_id_z 0
		.amdhsa_system_sgpr_workgroup_info 0
		.amdhsa_system_vgpr_workitem_id 0
		.amdhsa_next_free_vgpr 46
		.amdhsa_next_free_sgpr 25
		.amdhsa_named_barrier_count 0
		.amdhsa_reserve_vcc 1
		.amdhsa_float_round_mode_32 0
		.amdhsa_float_round_mode_16_64 0
		.amdhsa_float_denorm_mode_32 3
		.amdhsa_float_denorm_mode_16_64 3
		.amdhsa_fp16_overflow 0
		.amdhsa_memory_ordered 1
		.amdhsa_forward_progress 1
		.amdhsa_inst_pref_size 14
		.amdhsa_round_robin_scheduling 0
		.amdhsa_exception_fp_ieee_invalid_op 0
		.amdhsa_exception_fp_denorm_src 0
		.amdhsa_exception_fp_ieee_div_zero 0
		.amdhsa_exception_fp_ieee_overflow 0
		.amdhsa_exception_fp_ieee_underflow 0
		.amdhsa_exception_fp_ieee_inexact 0
		.amdhsa_exception_int_div_zero 0
	.end_amdhsa_kernel
	.section	.text._ZN9rocsparseL44csr2gebsr_wavefront_per_row_multipass_kernelILi256ELi32ELi4ELi64E21rocsparse_complex_numIdEEEv20rocsparse_direction_iiiiii21rocsparse_index_base_PKT3_PKiS9_S4_PS5_PiSB_,"axG",@progbits,_ZN9rocsparseL44csr2gebsr_wavefront_per_row_multipass_kernelILi256ELi32ELi4ELi64E21rocsparse_complex_numIdEEEv20rocsparse_direction_iiiiii21rocsparse_index_base_PKT3_PKiS9_S4_PS5_PiSB_,comdat
.Lfunc_end216:
	.size	_ZN9rocsparseL44csr2gebsr_wavefront_per_row_multipass_kernelILi256ELi32ELi4ELi64E21rocsparse_complex_numIdEEEv20rocsparse_direction_iiiiii21rocsparse_index_base_PKT3_PKiS9_S4_PS5_PiSB_, .Lfunc_end216-_ZN9rocsparseL44csr2gebsr_wavefront_per_row_multipass_kernelILi256ELi32ELi4ELi64E21rocsparse_complex_numIdEEEv20rocsparse_direction_iiiiii21rocsparse_index_base_PKT3_PKiS9_S4_PS5_PiSB_
                                        ; -- End function
	.set _ZN9rocsparseL44csr2gebsr_wavefront_per_row_multipass_kernelILi256ELi32ELi4ELi64E21rocsparse_complex_numIdEEEv20rocsparse_direction_iiiiii21rocsparse_index_base_PKT3_PKiS9_S4_PS5_PiSB_.num_vgpr, 46
	.set _ZN9rocsparseL44csr2gebsr_wavefront_per_row_multipass_kernelILi256ELi32ELi4ELi64E21rocsparse_complex_numIdEEEv20rocsparse_direction_iiiiii21rocsparse_index_base_PKT3_PKiS9_S4_PS5_PiSB_.num_agpr, 0
	.set _ZN9rocsparseL44csr2gebsr_wavefront_per_row_multipass_kernelILi256ELi32ELi4ELi64E21rocsparse_complex_numIdEEEv20rocsparse_direction_iiiiii21rocsparse_index_base_PKT3_PKiS9_S4_PS5_PiSB_.numbered_sgpr, 25
	.set _ZN9rocsparseL44csr2gebsr_wavefront_per_row_multipass_kernelILi256ELi32ELi4ELi64E21rocsparse_complex_numIdEEEv20rocsparse_direction_iiiiii21rocsparse_index_base_PKT3_PKiS9_S4_PS5_PiSB_.num_named_barrier, 0
	.set _ZN9rocsparseL44csr2gebsr_wavefront_per_row_multipass_kernelILi256ELi32ELi4ELi64E21rocsparse_complex_numIdEEEv20rocsparse_direction_iiiiii21rocsparse_index_base_PKT3_PKiS9_S4_PS5_PiSB_.private_seg_size, 0
	.set _ZN9rocsparseL44csr2gebsr_wavefront_per_row_multipass_kernelILi256ELi32ELi4ELi64E21rocsparse_complex_numIdEEEv20rocsparse_direction_iiiiii21rocsparse_index_base_PKT3_PKiS9_S4_PS5_PiSB_.uses_vcc, 1
	.set _ZN9rocsparseL44csr2gebsr_wavefront_per_row_multipass_kernelILi256ELi32ELi4ELi64E21rocsparse_complex_numIdEEEv20rocsparse_direction_iiiiii21rocsparse_index_base_PKT3_PKiS9_S4_PS5_PiSB_.uses_flat_scratch, 0
	.set _ZN9rocsparseL44csr2gebsr_wavefront_per_row_multipass_kernelILi256ELi32ELi4ELi64E21rocsparse_complex_numIdEEEv20rocsparse_direction_iiiiii21rocsparse_index_base_PKT3_PKiS9_S4_PS5_PiSB_.has_dyn_sized_stack, 0
	.set _ZN9rocsparseL44csr2gebsr_wavefront_per_row_multipass_kernelILi256ELi32ELi4ELi64E21rocsparse_complex_numIdEEEv20rocsparse_direction_iiiiii21rocsparse_index_base_PKT3_PKiS9_S4_PS5_PiSB_.has_recursion, 0
	.set _ZN9rocsparseL44csr2gebsr_wavefront_per_row_multipass_kernelILi256ELi32ELi4ELi64E21rocsparse_complex_numIdEEEv20rocsparse_direction_iiiiii21rocsparse_index_base_PKT3_PKiS9_S4_PS5_PiSB_.has_indirect_call, 0
	.section	.AMDGPU.csdata,"",@progbits
; Kernel info:
; codeLenInByte = 1668
; TotalNumSgprs: 27
; NumVgprs: 46
; ScratchSize: 0
; MemoryBound: 0
; FloatMode: 240
; IeeeMode: 1
; LDSByteSize: 8200 bytes/workgroup (compile time only)
; SGPRBlocks: 0
; VGPRBlocks: 2
; NumSGPRsForWavesPerEU: 27
; NumVGPRsForWavesPerEU: 46
; NamedBarCnt: 0
; Occupancy: 16
; WaveLimiterHint : 0
; COMPUTE_PGM_RSRC2:SCRATCH_EN: 0
; COMPUTE_PGM_RSRC2:USER_SGPR: 2
; COMPUTE_PGM_RSRC2:TRAP_HANDLER: 0
; COMPUTE_PGM_RSRC2:TGID_X_EN: 1
; COMPUTE_PGM_RSRC2:TGID_Y_EN: 0
; COMPUTE_PGM_RSRC2:TGID_Z_EN: 0
; COMPUTE_PGM_RSRC2:TIDIG_COMP_CNT: 0
	.section	.text._ZN9rocsparseL44csr2gebsr_wavefront_per_row_multipass_kernelILi256ELi32ELi4ELi32E21rocsparse_complex_numIdEEEv20rocsparse_direction_iiiiii21rocsparse_index_base_PKT3_PKiS9_S4_PS5_PiSB_,"axG",@progbits,_ZN9rocsparseL44csr2gebsr_wavefront_per_row_multipass_kernelILi256ELi32ELi4ELi32E21rocsparse_complex_numIdEEEv20rocsparse_direction_iiiiii21rocsparse_index_base_PKT3_PKiS9_S4_PS5_PiSB_,comdat
	.globl	_ZN9rocsparseL44csr2gebsr_wavefront_per_row_multipass_kernelILi256ELi32ELi4ELi32E21rocsparse_complex_numIdEEEv20rocsparse_direction_iiiiii21rocsparse_index_base_PKT3_PKiS9_S4_PS5_PiSB_ ; -- Begin function _ZN9rocsparseL44csr2gebsr_wavefront_per_row_multipass_kernelILi256ELi32ELi4ELi32E21rocsparse_complex_numIdEEEv20rocsparse_direction_iiiiii21rocsparse_index_base_PKT3_PKiS9_S4_PS5_PiSB_
	.p2align	8
	.type	_ZN9rocsparseL44csr2gebsr_wavefront_per_row_multipass_kernelILi256ELi32ELi4ELi32E21rocsparse_complex_numIdEEEv20rocsparse_direction_iiiiii21rocsparse_index_base_PKT3_PKiS9_S4_PS5_PiSB_,@function
_ZN9rocsparseL44csr2gebsr_wavefront_per_row_multipass_kernelILi256ELi32ELi4ELi32E21rocsparse_complex_numIdEEEv20rocsparse_direction_iiiiii21rocsparse_index_base_PKT3_PKiS9_S4_PS5_PiSB_: ; @_ZN9rocsparseL44csr2gebsr_wavefront_per_row_multipass_kernelILi256ELi32ELi4ELi32E21rocsparse_complex_numIdEEEv20rocsparse_direction_iiiiii21rocsparse_index_base_PKT3_PKiS9_S4_PS5_PiSB_
; %bb.0:
	s_clause 0x1
	s_load_b128 s[4:7], s[0:1], 0xc
	s_load_b64 s[14:15], s[0:1], 0x0
	s_bfe_u32 s2, ttmp6, 0x4000c
	s_and_b32 s3, ttmp6, 15
	s_add_co_i32 s2, s2, 1
	s_getreg_b32 s8, hwreg(HW_REG_IB_STS2, 6, 4)
	s_mul_i32 s2, ttmp9, s2
	v_dual_lshrrev_b32 v18, 5, v0 :: v_dual_bitop2_b32 v1, 31, v0 bitop3:0x40
	s_add_co_i32 s3, s3, s2
	s_cmp_eq_u32 s8, 0
	s_clause 0x1
	s_load_b32 s24, s[0:1], 0x1c
	s_load_b64 s[8:9], s[0:1], 0x28
	s_cselect_b32 s2, ttmp9, s3
	v_dual_mov_b32 v4, 0 :: v_dual_mov_b32 v6, 0
	v_lshl_or_b32 v2, s2, 3, v18
	s_wait_kmcnt 0x0
	s_delay_alu instid0(VALU_DEP_1) | instskip(SKIP_1) | instid1(VALU_DEP_2)
	v_mad_u32 v3, v2, s6, v1
	v_cmp_gt_i32_e64 s2, s6, v1
	v_cmp_gt_i32_e32 vcc_lo, s15, v3
	s_and_b32 s3, s2, vcc_lo
	s_delay_alu instid0(SALU_CYCLE_1)
	s_and_saveexec_b32 s10, s3
	s_cbranch_execz .LBB217_2
; %bb.1:
	global_load_b32 v5, v3, s[8:9] scale_offset
	s_wait_loadcnt 0x0
	v_subrev_nc_u32_e32 v6, s24, v5
.LBB217_2:
	s_or_b32 exec_lo, exec_lo, s10
	v_mov_b32_e32 v19, 0
	s_and_saveexec_b32 s10, s3
	s_cbranch_execz .LBB217_4
; %bb.3:
	global_load_b32 v3, v3, s[8:9] offset:4 scale_offset
	s_wait_loadcnt 0x0
	v_subrev_nc_u32_e32 v19, s24, v3
.LBB217_4:
	s_or_b32 exec_lo, exec_lo, s10
	s_load_b32 s25, s[0:1], 0x38
	s_mov_b32 s3, exec_lo
	v_cmpx_gt_i32_e64 s4, v2
	s_cbranch_execz .LBB217_6
; %bb.5:
	s_load_b64 s[8:9], s[0:1], 0x48
	s_wait_kmcnt 0x0
	global_load_b32 v2, v2, s[8:9] scale_offset
	s_wait_loadcnt 0x0
	v_subrev_nc_u32_e32 v4, s25, v2
.LBB217_6:
	s_or_b32 exec_lo, exec_lo, s3
	s_cmp_lt_i32 s5, 1
	s_cbranch_scc1 .LBB217_27
; %bb.7:
	s_clause 0x3
	s_load_b64 s[20:21], s[0:1], 0x40
	s_load_b64 s[8:9], s[0:1], 0x50
	;; [unrolled: 1-line block ×4, first 2 shown]
	v_dual_lshlrev_b32 v20, 6, v0 :: v_dual_lshlrev_b32 v8, 4, v1
	v_mul_lo_u32 v0, s7, v1
	v_mbcnt_lo_u32_b32 v2, -1, 0
	s_cmp_eq_u32 s14, 0
	v_mov_b32_e32 v9, 0
	s_cselect_b32 vcc_lo, -1, 0
	s_ashr_i32 s17, s7, 31
	v_dual_lshlrev_b32 v21, 2, v2 :: v_dual_bitop2_b32 v3, 16, v2 bitop3:0x14
	s_cmp_lg_u32 s7, 0
	s_mov_b32 s15, 0
	s_wait_xcnt 0x0
	s_cselect_b32 s0, -1, 0
	v_ashrrev_i32_e32 v1, 31, v0
	s_and_b32 s4, s2, s0
	v_cmp_gt_i32_e64 s0, 32, v3
	s_cmp_gt_u32 s7, 1
	s_mov_b32 s14, s6
	s_wait_kmcnt 0x0
	v_lshl_add_u64 v[12:13], v[0:1], 4, s[20:21]
	v_dual_cndmask_b32 v0, v2, v3, s0 :: v_dual_bitop2_b32 v1, 8, v2 bitop3:0x14
	s_mov_b32 s16, s7
	s_cselect_b32 s0, -1, 0
	s_mul_u64 s[18:19], s[16:17], s[14:15]
	s_and_b32 s16, s2, s0
	v_cmp_gt_i32_e64 s0, 32, v1
	s_cmp_gt_u32 s7, 2
	v_dual_lshlrev_b32 v22, 2, v0 :: v_dual_bitop2_b32 v3, 2, v2 bitop3:0x14
	s_cselect_b32 s1, -1, 0
	v_dual_cndmask_b32 v0, v2, v1, s0 :: v_dual_bitop2_b32 v1, 4, v2 bitop3:0x14
	v_add_nc_u64_e32 v[10:11], s[20:21], v[8:9]
	s_and_b32 s26, s2, s1
	s_lshl_b32 s20, s6, 1
	s_cmp_gt_u32 s7, 3
	v_cmp_gt_i32_e64 s0, 32, v1
	s_cselect_b32 s1, -1, 0
	s_abs_i32 s27, s7
	v_dual_lshlrev_b32 v23, 2, v0 :: v_dual_bitop2_b32 v5, 1, v2 bitop3:0x14
	s_cvt_f32_u32 s3, s27
	v_cndmask_b32_e64 v1, v2, v1, s0
	v_cmp_gt_i32_e64 s0, 32, v3
	s_mov_b32 s36, s15
	v_rcp_iflag_f32_e32 v7, s3
	s_mov_b32 s37, s15
	s_mov_b32 s38, s15
	v_cndmask_b32_e64 v3, v2, v3, s0
	v_cmp_gt_i32_e64 s0, 32, v5
	s_mov_b32 s39, s15
	s_and_b32 s28, s2, s1
	s_sub_co_i32 s1, 0, s27
	v_dual_lshlrev_b32 v25, 2, v3 :: v_dual_cndmask_b32 v2, v2, v5, s0
	v_readfirstlane_b32 s0, v7
	v_dual_mov_b32 v27, 0x7c :: v_dual_lshlrev_b32 v24, 2, v1
	s_delay_alu instid0(VALU_DEP_3)
	v_dual_mov_b32 v32, 0 :: v_dual_lshlrev_b32 v26, 2, v2
	s_mul_f32 s0, s0, 0x4f7ffffe
	v_mov_b64_e32 v[0:1], s[36:37]
	v_mov_b64_e32 v[2:3], s[38:39]
	v_dual_mov_b32 v31, 1 :: v_dual_bitop2_b32 v28, 16, v20 bitop3:0x54
	s_cvt_u32_f32 s0, s0
	v_or_b32_e32 v29, 32, v20
	v_or_b32_e32 v30, 48, v20
	s_mov_b32 s21, s15
	s_mul_i32 s1, s1, s0
	s_mul_i32 s2, s6, 3
	s_mul_hi_u32 s1, s0, s1
	s_mov_b32 s3, s15
	s_add_co_i32 s22, s0, s1
	s_mov_b32 s23, s15
	s_mov_b32 s6, s15
	s_branch .LBB217_10
.LBB217_8:                              ;   in Loop: Header=BB217_10 Depth=1
	s_wait_xcnt 0x0
	s_or_b32 exec_lo, exec_lo, s0
	v_mov_b32_e32 v5, 1
.LBB217_9:                              ;   in Loop: Header=BB217_10 Depth=1
	s_or_b32 exec_lo, exec_lo, s1
	ds_bpermute_b32 v8, v22, v7
	s_wait_storecnt_dscnt 0x0
	v_dual_add_nc_u32 v4, v5, v4 :: v_dual_min_i32 v7, v8, v7
	ds_bpermute_b32 v8, v23, v7
	s_wait_dscnt 0x0
	v_min_i32_e32 v7, v8, v7
	ds_bpermute_b32 v8, v24, v7
	s_wait_dscnt 0x0
	v_min_i32_e32 v7, v8, v7
	;; [unrolled: 3-line block ×4, first 2 shown]
	ds_bpermute_b32 v32, v27, v7
	s_wait_dscnt 0x0
	v_cmp_le_i32_e64 s0, s5, v32
	s_or_b32 s6, s0, s6
	s_delay_alu instid0(SALU_CYCLE_1)
	s_and_not1_b32 exec_lo, exec_lo, s6
	s_cbranch_execz .LBB217_27
.LBB217_10:                             ; =>This Loop Header: Depth=1
                                        ;     Child Loop BB217_13 Depth 2
	v_dual_mov_b32 v7, s5 :: v_dual_mov_b32 v33, v19
	s_mov_b32 s29, exec_lo
	ds_store_b8 v18, v9 offset:16384
	ds_store_b128 v20, v[0:3]
	ds_store_b128 v20, v[0:3] offset:16
	ds_store_b128 v20, v[0:3] offset:32
	ds_store_b128 v20, v[0:3] offset:48
	s_wait_dscnt 0x0
	v_cmpx_lt_i32_e64 v6, v19
	s_cbranch_execz .LBB217_18
; %bb.11:                               ;   in Loop: Header=BB217_10 Depth=1
	v_mul_lo_u32 v5, v32, s7
	v_dual_ashrrev_i32 v7, 31, v6 :: v_dual_mov_b32 v33, v19
	s_mov_b32 s30, 0
	s_delay_alu instid0(VALU_DEP_1)
	v_lshl_add_u64 v[14:15], v[6:7], 2, s[12:13]
	v_lshl_add_u64 v[16:17], v[6:7], 4, s[10:11]
	v_mov_b32_e32 v7, s5
	s_branch .LBB217_13
.LBB217_12:                             ;   in Loop: Header=BB217_13 Depth=2
	s_wait_xcnt 0x0
	s_or_b32 exec_lo, exec_lo, s1
	v_add_nc_u32_e32 v6, 1, v6
	s_xor_b32 s0, s0, -1
	v_add_nc_u64_e32 v[14:15], 4, v[14:15]
	v_add_nc_u64_e32 v[16:17], 16, v[16:17]
	s_delay_alu instid0(VALU_DEP_3) | instskip(SKIP_1) | instid1(SALU_CYCLE_1)
	v_cmp_ge_i32_e64 s1, v6, v19
	s_or_b32 s0, s0, s1
	s_and_b32 s0, exec_lo, s0
	s_delay_alu instid0(SALU_CYCLE_1) | instskip(NEXT) | instid1(SALU_CYCLE_1)
	s_or_b32 s30, s0, s30
	s_and_not1_b32 exec_lo, exec_lo, s30
	s_cbranch_execz .LBB217_17
.LBB217_13:                             ;   Parent Loop BB217_10 Depth=1
                                        ; =>  This Inner Loop Header: Depth=2
	global_load_b32 v8, v[14:15], off
	s_wait_loadcnt 0x0
	v_subrev_nc_u32_e32 v34, s24, v8
	s_delay_alu instid0(VALU_DEP_1) | instskip(NEXT) | instid1(VALU_DEP_1)
	v_sub_nc_u32_e32 v8, 0, v34
	v_max_i32_e32 v8, v34, v8
	s_delay_alu instid0(VALU_DEP_1) | instskip(NEXT) | instid1(VALU_DEP_1)
	v_mul_u64_e32 v[36:37], s[22:23], v[8:9]
	v_mul_lo_u32 v35, v37, s27
	s_delay_alu instid0(VALU_DEP_1) | instskip(NEXT) | instid1(VALU_DEP_1)
	v_dual_sub_nc_u32 v8, v8, v35 :: v_dual_add_nc_u32 v35, 1, v37
	v_cmp_le_u32_e64 s0, s27, v8
	s_delay_alu instid0(VALU_DEP_1) | instskip(SKIP_1) | instid1(VALU_DEP_1)
	v_dual_cndmask_b32 v35, v37, v35, s0 :: v_dual_ashrrev_i32 v37, 31, v34
	v_subrev_nc_u32_e32 v36, s27, v8
	v_dual_cndmask_b32 v8, v8, v36, s0 :: v_dual_add_nc_u32 v36, 1, v35
	s_delay_alu instid0(VALU_DEP_1) | instskip(NEXT) | instid1(VALU_DEP_1)
	v_cmp_le_u32_e64 s0, s27, v8
	v_dual_cndmask_b32 v8, v35, v36, s0 :: v_dual_bitop2_b32 v37, s17, v37 bitop3:0x14
	s_delay_alu instid0(VALU_DEP_1) | instskip(NEXT) | instid1(VALU_DEP_1)
	v_xor_b32_e32 v8, v8, v37
	v_dual_mov_b32 v8, v33 :: v_dual_sub_nc_u32 v35, v8, v37
	s_delay_alu instid0(VALU_DEP_1) | instskip(SKIP_3) | instid1(SALU_CYCLE_1)
	v_cmp_eq_u32_e64 s0, v35, v32
	v_cmp_ne_u32_e64 s1, v35, v32
	s_wait_xcnt 0x0
	s_and_saveexec_b32 s31, s1
	s_xor_b32 s1, exec_lo, s31
; %bb.14:                               ;   in Loop: Header=BB217_13 Depth=2
	v_min_i32_e32 v7, v35, v7
                                        ; implicit-def: $vgpr34
                                        ; implicit-def: $vgpr8
; %bb.15:                               ;   in Loop: Header=BB217_13 Depth=2
	s_or_saveexec_b32 s1, s1
	v_mov_b32_e32 v33, v6
	s_xor_b32 exec_lo, exec_lo, s1
	s_cbranch_execz .LBB217_12
; %bb.16:                               ;   in Loop: Header=BB217_13 Depth=2
	global_load_b128 v[36:39], v[16:17], off
	v_sub_nc_u32_e32 v33, v34, v5
	s_delay_alu instid0(VALU_DEP_1)
	v_lshl_add_u32 v34, v33, 4, v20
	v_mov_b32_e32 v33, v8
	ds_store_b8 v18, v31 offset:16384
	s_wait_loadcnt 0x0
	ds_store_2addr_b64 v34, v[36:37], v[38:39] offset1:1
	s_branch .LBB217_12
.LBB217_17:                             ;   in Loop: Header=BB217_10 Depth=1
	s_or_b32 exec_lo, exec_lo, s30
.LBB217_18:                             ;   in Loop: Header=BB217_10 Depth=1
	s_delay_alu instid0(SALU_CYCLE_1)
	s_or_b32 exec_lo, exec_lo, s29
	s_wait_dscnt 0x0
	ds_load_u8 v5, v18 offset:16384
	ds_bpermute_b32 v6, v21, v33
	s_wait_dscnt 0x1
	v_and_b32_e32 v5, 1, v5
	s_delay_alu instid0(VALU_DEP_1)
	v_cmp_eq_u32_e64 s0, 1, v5
	v_mov_b32_e32 v5, 0
	s_and_saveexec_b32 s1, s0
	s_cbranch_execz .LBB217_9
; %bb.19:                               ;   in Loop: Header=BB217_10 Depth=1
	v_ashrrev_i32_e32 v5, 31, v4
	s_delay_alu instid0(VALU_DEP_1) | instskip(SKIP_3) | instid1(VALU_DEP_1)
	v_mul_u64_e32 v[14:15], s[18:19], v[4:5]
	v_add_nc_u32_e32 v5, s25, v32
	global_store_b32 v4, v5, s[8:9] scale_offset
	v_lshlrev_b64_e32 v[16:17], 4, v[14:15]
	v_add_nc_u64_e32 v[14:15], v[10:11], v[16:17]
	v_add_nc_u64_e32 v[16:17], v[12:13], v[16:17]
	s_wait_xcnt 0x0
	s_and_saveexec_b32 s0, s4
	s_cbranch_execnz .LBB217_23
; %bb.20:                               ;   in Loop: Header=BB217_10 Depth=1
	s_or_b32 exec_lo, exec_lo, s0
	s_and_saveexec_b32 s0, s16
	s_cbranch_execnz .LBB217_24
.LBB217_21:                             ;   in Loop: Header=BB217_10 Depth=1
	s_or_b32 exec_lo, exec_lo, s0
	s_and_saveexec_b32 s0, s26
	s_cbranch_execnz .LBB217_25
.LBB217_22:                             ;   in Loop: Header=BB217_10 Depth=1
	s_or_b32 exec_lo, exec_lo, s0
	s_and_saveexec_b32 s0, s28
	s_cbranch_execz .LBB217_8
	s_branch .LBB217_26
.LBB217_23:                             ;   in Loop: Header=BB217_10 Depth=1
	ds_load_2addr_b64 v[32:35], v20 offset1:1
	v_dual_cndmask_b32 v37, v15, v17 :: v_dual_cndmask_b32 v36, v14, v16
	s_wait_dscnt 0x0
	global_store_b128 v[36:37], v[32:35], off
	s_wait_xcnt 0x0
	s_or_b32 exec_lo, exec_lo, s0
	s_and_saveexec_b32 s0, s16
	s_cbranch_execz .LBB217_21
.LBB217_24:                             ;   in Loop: Header=BB217_10 Depth=1
	ds_load_2addr_b64 v[32:35], v28 offset1:1
	v_add_nc_u64_e32 v[36:37], 16, v[16:17]
	v_lshl_add_u64 v[38:39], s[14:15], 4, v[14:15]
	s_delay_alu instid0(VALU_DEP_1)
	v_dual_cndmask_b32 v37, v39, v37 :: v_dual_cndmask_b32 v36, v38, v36
	s_wait_dscnt 0x0
	global_store_b128 v[36:37], v[32:35], off
	s_wait_xcnt 0x0
	s_or_b32 exec_lo, exec_lo, s0
	s_and_saveexec_b32 s0, s26
	s_cbranch_execz .LBB217_22
.LBB217_25:                             ;   in Loop: Header=BB217_10 Depth=1
	ds_load_2addr_b64 v[32:35], v29 offset1:1
	v_add_nc_u64_e32 v[36:37], 32, v[16:17]
	v_lshl_add_u64 v[38:39], s[20:21], 4, v[14:15]
	s_delay_alu instid0(VALU_DEP_1)
	v_dual_cndmask_b32 v37, v39, v37 :: v_dual_cndmask_b32 v36, v38, v36
	s_wait_dscnt 0x0
	global_store_b128 v[36:37], v[32:35], off
	s_wait_xcnt 0x0
	s_or_b32 exec_lo, exec_lo, s0
	s_and_saveexec_b32 s0, s28
	s_cbranch_execz .LBB217_8
.LBB217_26:                             ;   in Loop: Header=BB217_10 Depth=1
	ds_load_2addr_b64 v[32:35], v30 offset1:1
	v_add_nc_u64_e32 v[16:17], 48, v[16:17]
	v_lshl_add_u64 v[14:15], s[2:3], 4, v[14:15]
	s_delay_alu instid0(VALU_DEP_1)
	v_dual_cndmask_b32 v15, v15, v17 :: v_dual_cndmask_b32 v14, v14, v16
	s_wait_dscnt 0x0
	global_store_b128 v[14:15], v[32:35], off
	s_branch .LBB217_8
.LBB217_27:
	s_endpgm
	.section	.rodata,"a",@progbits
	.p2align	6, 0x0
	.amdhsa_kernel _ZN9rocsparseL44csr2gebsr_wavefront_per_row_multipass_kernelILi256ELi32ELi4ELi32E21rocsparse_complex_numIdEEEv20rocsparse_direction_iiiiii21rocsparse_index_base_PKT3_PKiS9_S4_PS5_PiSB_
		.amdhsa_group_segment_fixed_size 16392
		.amdhsa_private_segment_fixed_size 0
		.amdhsa_kernarg_size 88
		.amdhsa_user_sgpr_count 2
		.amdhsa_user_sgpr_dispatch_ptr 0
		.amdhsa_user_sgpr_queue_ptr 0
		.amdhsa_user_sgpr_kernarg_segment_ptr 1
		.amdhsa_user_sgpr_dispatch_id 0
		.amdhsa_user_sgpr_kernarg_preload_length 0
		.amdhsa_user_sgpr_kernarg_preload_offset 0
		.amdhsa_user_sgpr_private_segment_size 0
		.amdhsa_wavefront_size32 1
		.amdhsa_uses_dynamic_stack 0
		.amdhsa_enable_private_segment 0
		.amdhsa_system_sgpr_workgroup_id_x 1
		.amdhsa_system_sgpr_workgroup_id_y 0
		.amdhsa_system_sgpr_workgroup_id_z 0
		.amdhsa_system_sgpr_workgroup_info 0
		.amdhsa_system_vgpr_workitem_id 0
		.amdhsa_next_free_vgpr 40
		.amdhsa_next_free_sgpr 40
		.amdhsa_named_barrier_count 0
		.amdhsa_reserve_vcc 1
		.amdhsa_float_round_mode_32 0
		.amdhsa_float_round_mode_16_64 0
		.amdhsa_float_denorm_mode_32 3
		.amdhsa_float_denorm_mode_16_64 3
		.amdhsa_fp16_overflow 0
		.amdhsa_memory_ordered 1
		.amdhsa_forward_progress 1
		.amdhsa_inst_pref_size 14
		.amdhsa_round_robin_scheduling 0
		.amdhsa_exception_fp_ieee_invalid_op 0
		.amdhsa_exception_fp_denorm_src 0
		.amdhsa_exception_fp_ieee_div_zero 0
		.amdhsa_exception_fp_ieee_overflow 0
		.amdhsa_exception_fp_ieee_underflow 0
		.amdhsa_exception_fp_ieee_inexact 0
		.amdhsa_exception_int_div_zero 0
	.end_amdhsa_kernel
	.section	.text._ZN9rocsparseL44csr2gebsr_wavefront_per_row_multipass_kernelILi256ELi32ELi4ELi32E21rocsparse_complex_numIdEEEv20rocsparse_direction_iiiiii21rocsparse_index_base_PKT3_PKiS9_S4_PS5_PiSB_,"axG",@progbits,_ZN9rocsparseL44csr2gebsr_wavefront_per_row_multipass_kernelILi256ELi32ELi4ELi32E21rocsparse_complex_numIdEEEv20rocsparse_direction_iiiiii21rocsparse_index_base_PKT3_PKiS9_S4_PS5_PiSB_,comdat
.Lfunc_end217:
	.size	_ZN9rocsparseL44csr2gebsr_wavefront_per_row_multipass_kernelILi256ELi32ELi4ELi32E21rocsparse_complex_numIdEEEv20rocsparse_direction_iiiiii21rocsparse_index_base_PKT3_PKiS9_S4_PS5_PiSB_, .Lfunc_end217-_ZN9rocsparseL44csr2gebsr_wavefront_per_row_multipass_kernelILi256ELi32ELi4ELi32E21rocsparse_complex_numIdEEEv20rocsparse_direction_iiiiii21rocsparse_index_base_PKT3_PKiS9_S4_PS5_PiSB_
                                        ; -- End function
	.set _ZN9rocsparseL44csr2gebsr_wavefront_per_row_multipass_kernelILi256ELi32ELi4ELi32E21rocsparse_complex_numIdEEEv20rocsparse_direction_iiiiii21rocsparse_index_base_PKT3_PKiS9_S4_PS5_PiSB_.num_vgpr, 40
	.set _ZN9rocsparseL44csr2gebsr_wavefront_per_row_multipass_kernelILi256ELi32ELi4ELi32E21rocsparse_complex_numIdEEEv20rocsparse_direction_iiiiii21rocsparse_index_base_PKT3_PKiS9_S4_PS5_PiSB_.num_agpr, 0
	.set _ZN9rocsparseL44csr2gebsr_wavefront_per_row_multipass_kernelILi256ELi32ELi4ELi32E21rocsparse_complex_numIdEEEv20rocsparse_direction_iiiiii21rocsparse_index_base_PKT3_PKiS9_S4_PS5_PiSB_.numbered_sgpr, 40
	.set _ZN9rocsparseL44csr2gebsr_wavefront_per_row_multipass_kernelILi256ELi32ELi4ELi32E21rocsparse_complex_numIdEEEv20rocsparse_direction_iiiiii21rocsparse_index_base_PKT3_PKiS9_S4_PS5_PiSB_.num_named_barrier, 0
	.set _ZN9rocsparseL44csr2gebsr_wavefront_per_row_multipass_kernelILi256ELi32ELi4ELi32E21rocsparse_complex_numIdEEEv20rocsparse_direction_iiiiii21rocsparse_index_base_PKT3_PKiS9_S4_PS5_PiSB_.private_seg_size, 0
	.set _ZN9rocsparseL44csr2gebsr_wavefront_per_row_multipass_kernelILi256ELi32ELi4ELi32E21rocsparse_complex_numIdEEEv20rocsparse_direction_iiiiii21rocsparse_index_base_PKT3_PKiS9_S4_PS5_PiSB_.uses_vcc, 1
	.set _ZN9rocsparseL44csr2gebsr_wavefront_per_row_multipass_kernelILi256ELi32ELi4ELi32E21rocsparse_complex_numIdEEEv20rocsparse_direction_iiiiii21rocsparse_index_base_PKT3_PKiS9_S4_PS5_PiSB_.uses_flat_scratch, 0
	.set _ZN9rocsparseL44csr2gebsr_wavefront_per_row_multipass_kernelILi256ELi32ELi4ELi32E21rocsparse_complex_numIdEEEv20rocsparse_direction_iiiiii21rocsparse_index_base_PKT3_PKiS9_S4_PS5_PiSB_.has_dyn_sized_stack, 0
	.set _ZN9rocsparseL44csr2gebsr_wavefront_per_row_multipass_kernelILi256ELi32ELi4ELi32E21rocsparse_complex_numIdEEEv20rocsparse_direction_iiiiii21rocsparse_index_base_PKT3_PKiS9_S4_PS5_PiSB_.has_recursion, 0
	.set _ZN9rocsparseL44csr2gebsr_wavefront_per_row_multipass_kernelILi256ELi32ELi4ELi32E21rocsparse_complex_numIdEEEv20rocsparse_direction_iiiiii21rocsparse_index_base_PKT3_PKiS9_S4_PS5_PiSB_.has_indirect_call, 0
	.section	.AMDGPU.csdata,"",@progbits
; Kernel info:
; codeLenInByte = 1684
; TotalNumSgprs: 42
; NumVgprs: 40
; ScratchSize: 0
; MemoryBound: 0
; FloatMode: 240
; IeeeMode: 1
; LDSByteSize: 16392 bytes/workgroup (compile time only)
; SGPRBlocks: 0
; VGPRBlocks: 2
; NumSGPRsForWavesPerEU: 42
; NumVGPRsForWavesPerEU: 40
; NamedBarCnt: 0
; Occupancy: 16
; WaveLimiterHint : 0
; COMPUTE_PGM_RSRC2:SCRATCH_EN: 0
; COMPUTE_PGM_RSRC2:USER_SGPR: 2
; COMPUTE_PGM_RSRC2:TRAP_HANDLER: 0
; COMPUTE_PGM_RSRC2:TGID_X_EN: 1
; COMPUTE_PGM_RSRC2:TGID_Y_EN: 0
; COMPUTE_PGM_RSRC2:TGID_Z_EN: 0
; COMPUTE_PGM_RSRC2:TIDIG_COMP_CNT: 0
	.section	.text._ZN9rocsparseL44csr2gebsr_wavefront_per_row_multipass_kernelILi256ELi32ELi8ELi64E21rocsparse_complex_numIdEEEv20rocsparse_direction_iiiiii21rocsparse_index_base_PKT3_PKiS9_S4_PS5_PiSB_,"axG",@progbits,_ZN9rocsparseL44csr2gebsr_wavefront_per_row_multipass_kernelILi256ELi32ELi8ELi64E21rocsparse_complex_numIdEEEv20rocsparse_direction_iiiiii21rocsparse_index_base_PKT3_PKiS9_S4_PS5_PiSB_,comdat
	.globl	_ZN9rocsparseL44csr2gebsr_wavefront_per_row_multipass_kernelILi256ELi32ELi8ELi64E21rocsparse_complex_numIdEEEv20rocsparse_direction_iiiiii21rocsparse_index_base_PKT3_PKiS9_S4_PS5_PiSB_ ; -- Begin function _ZN9rocsparseL44csr2gebsr_wavefront_per_row_multipass_kernelILi256ELi32ELi8ELi64E21rocsparse_complex_numIdEEEv20rocsparse_direction_iiiiii21rocsparse_index_base_PKT3_PKiS9_S4_PS5_PiSB_
	.p2align	8
	.type	_ZN9rocsparseL44csr2gebsr_wavefront_per_row_multipass_kernelILi256ELi32ELi8ELi64E21rocsparse_complex_numIdEEEv20rocsparse_direction_iiiiii21rocsparse_index_base_PKT3_PKiS9_S4_PS5_PiSB_,@function
_ZN9rocsparseL44csr2gebsr_wavefront_per_row_multipass_kernelILi256ELi32ELi8ELi64E21rocsparse_complex_numIdEEEv20rocsparse_direction_iiiiii21rocsparse_index_base_PKT3_PKiS9_S4_PS5_PiSB_: ; @_ZN9rocsparseL44csr2gebsr_wavefront_per_row_multipass_kernelILi256ELi32ELi8ELi64E21rocsparse_complex_numIdEEEv20rocsparse_direction_iiiiii21rocsparse_index_base_PKT3_PKiS9_S4_PS5_PiSB_
; %bb.0:
	s_clause 0x1
	s_load_b128 s[4:7], s[0:1], 0xc
	s_load_b64 s[14:15], s[0:1], 0x0
	s_bfe_u32 s2, ttmp6, 0x4000c
	s_and_b32 s3, ttmp6, 15
	s_add_co_i32 s2, s2, 1
	s_getreg_b32 s8, hwreg(HW_REG_IB_STS2, 6, 4)
	s_mul_i32 s2, ttmp9, s2
	v_dual_lshrrev_b32 v26, 6, v0 :: v_dual_mov_b32 v4, 0
	s_add_co_i32 s3, s3, s2
	s_cmp_eq_u32 s8, 0
	v_bfe_u32 v1, v0, 1, 5
	s_cselect_b32 s2, ttmp9, s3
	s_clause 0x1
	s_load_b32 s20, s[0:1], 0x1c
	s_load_b64 s[8:9], s[0:1], 0x28
	v_lshl_or_b32 v2, s2, 2, v26
	v_mov_b32_e32 v24, 0
	s_wait_kmcnt 0x0
	s_delay_alu instid0(VALU_DEP_2) | instskip(SKIP_1) | instid1(VALU_DEP_2)
	v_mad_u32 v3, v2, s6, v1
	v_cmp_gt_i32_e32 vcc_lo, s6, v1
	v_cmp_gt_i32_e64 s2, s15, v3
	s_and_b32 s2, vcc_lo, s2
	s_delay_alu instid0(SALU_CYCLE_1)
	s_and_saveexec_b32 s3, s2
	s_cbranch_execz .LBB218_2
; %bb.1:
	global_load_b32 v5, v3, s[8:9] scale_offset
	s_wait_loadcnt 0x0
	v_subrev_nc_u32_e32 v24, s20, v5
.LBB218_2:
	s_or_b32 exec_lo, exec_lo, s3
	v_mov_b32_e32 v27, 0
	s_and_saveexec_b32 s3, s2
	s_cbranch_execz .LBB218_4
; %bb.3:
	global_load_b32 v3, v3, s[8:9] offset:4 scale_offset
	s_wait_loadcnt 0x0
	v_subrev_nc_u32_e32 v27, s20, v3
.LBB218_4:
	s_or_b32 exec_lo, exec_lo, s3
	s_load_b32 s21, s[0:1], 0x38
	s_mov_b32 s3, exec_lo
	v_cmpx_gt_i32_e64 s4, v2
	s_cbranch_execz .LBB218_6
; %bb.5:
	s_load_b64 s[8:9], s[0:1], 0x48
	s_wait_kmcnt 0x0
	global_load_b32 v2, v2, s[8:9] scale_offset
	s_wait_loadcnt 0x0
	v_subrev_nc_u32_e32 v4, s21, v2
.LBB218_6:
	s_or_b32 exec_lo, exec_lo, s3
	s_cmp_lt_i32 s5, 1
	s_cbranch_scc1 .LBB218_38
; %bb.7:
	v_mbcnt_lo_u32_b32 v5, -1, 0
	v_dual_lshlrev_b32 v0, 7, v1 :: v_dual_bitop2_b32 v28, 1, v0 bitop3:0x40
	s_clause 0x3
	s_load_b64 s[8:9], s[0:1], 0x50
	s_load_b64 s[2:3], s[0:1], 0x40
	;; [unrolled: 1-line block ×4, first 2 shown]
	v_mul_lo_u32 v2, s7, v1
	v_xor_b32_e32 v3, 1, v5
	s_cmp_eq_u32 s14, 0
	v_lshl_or_b32 v29, v26, 12, v0
	v_lshlrev_b32_e32 v0, 4, v28
	s_mov_b32 s15, 0
	s_wait_xcnt 0x0
	v_cmp_gt_i32_e64 s0, 32, v3
	s_mov_b32 s16, s7
	v_lshl_or_b32 v31, v5, 2, 4
	v_bfrev_b32_e32 v38, 0.5
	v_dual_mov_b32 v45, 0 :: v_dual_cndmask_b32 v3, v5, v3, s0
	v_mov_b32_e32 v7, 0
	s_cselect_b32 s0, -1, 0
	s_cmp_lg_u32 s14, 0
	s_mov_b32 s14, s6
	v_dual_lshlrev_b32 v30, 2, v3 :: v_dual_bitop2_b32 v32, v29, v0 bitop3:0x54
	v_dual_ashrrev_i32 v3, 31, v2 :: v_dual_lshlrev_b32 v6, 4, v1
	v_dual_mov_b32 v1, v7 :: v_dual_bitop2_b32 v12, 32, v5 bitop3:0x54
	s_cselect_b32 s22, -1, 0
	s_wait_kmcnt 0x0
	s_delay_alu instid0(VALU_DEP_2)
	v_lshl_add_u64 v[2:3], v[2:3], 4, s[2:3]
	v_add_nc_u64_e32 v[8:9], s[2:3], v[6:7]
	s_ashr_i32 s17, s7, 31
	v_cmp_gt_i32_e64 s1, 32, v12
	s_mul_u64 s[18:19], s[16:17], s[14:15]
	v_add_nc_u64_e32 v[10:11], v[2:3], v[0:1]
	v_xor_b32_e32 v0, 16, v5
	s_abs_i32 s16, s7
	v_cndmask_b32_e64 v1, v5, v12, s1
	s_cvt_f32_u32 s3, s16
	v_mul_lo_u32 v12, v28, s6
	v_cmp_gt_i32_e64 s1, 32, v0
	v_xor_b32_e32 v2, 8, v5
	s_lshl_b32 s6, s6, 1
	v_dual_mov_b32 v17, v7 :: v_dual_bitop2_b32 v40, 64, v32 bitop3:0x54
	v_cndmask_b32_e64 v0, v5, v0, s1
	s_delay_alu instid0(VALU_DEP_3) | instskip(SKIP_2) | instid1(VALU_DEP_3)
	v_cmp_gt_i32_e64 s1, 32, v2
	v_dual_mov_b32 v13, v7 :: v_dual_bitop2_b32 v3, 4, v5 bitop3:0x14
	v_or_b32_e32 v41, 0x60, v32
	v_dual_add_nc_u32 v14, s6, v12 :: v_dual_cndmask_b32 v2, v5, v2, s1
	s_delay_alu instid0(VALU_DEP_3) | instskip(SKIP_2) | instid1(VALU_DEP_4)
	v_cmp_gt_i32_e64 s1, 32, v3
	v_dual_lshlrev_b32 v34, 2, v0 :: v_dual_bitop2_b32 v6, 2, v5 bitop3:0x14
	v_or_b32_e32 v0, 2, v28
	v_dual_add_nc_u32 v16, s6, v14 :: v_dual_bitop2_b32 v39, 32, v32 bitop3:0x54
	s_delay_alu instid0(VALU_DEP_4) | instskip(NEXT) | instid1(VALU_DEP_4)
	v_cndmask_b32_e64 v3, v5, v3, s1
	v_cmp_gt_i32_e64 s1, 32, v6
	v_lshlrev_b32_e32 v33, 2, v1
	v_rcp_iflag_f32_e32 v1, s3
	v_cmp_gt_u32_e64 s2, s7, v0
	v_dual_mov_b32 v15, v7 :: v_dual_bitop2_b32 v0, 4, v28 bitop3:0x54
	v_cndmask_b32_e64 v5, v5, v6, s1
	v_cmp_gt_u32_e64 s1, s7, v28
	v_add_nc_u32_e32 v18, s6, v16
	s_delay_alu instid0(TRANS32_DEP_1)
	v_readfirstlane_b32 s14, v1
	v_cmp_gt_u32_e64 s3, s7, v0
	v_dual_mov_b32 v19, v7 :: v_dual_bitop2_b32 v0, 6, v28 bitop3:0x54
	s_and_b32 s6, s1, vcc_lo
	s_mul_f32 s14, s14, 0x4f7ffffe
	s_sub_co_i32 s1, 0, s16
	s_delay_alu instid0(VALU_DEP_1) | instskip(SKIP_4) | instid1(SALU_CYCLE_1)
	v_cmp_gt_u32_e64 s4, s7, v0
	v_lshlrev_b32_e32 v35, 2, v2
	s_cvt_u32_f32 s14, s14
	v_dual_lshlrev_b32 v36, 2, v3 :: v_dual_lshlrev_b32 v37, 2, v5
	v_dual_mov_b32 v2, v7 :: v_dual_bitop2_b32 v42, -2, v28 bitop3:0x54
	s_mul_i32 s1, s1, s14
	v_dual_mov_b32 v0, v7 :: v_dual_mov_b32 v1, v7
	v_dual_mov_b32 v3, v7 :: v_dual_mov_b32 v43, 1
	s_mul_hi_u32 s1, s14, s1
	s_and_b32 s2, vcc_lo, s2
	s_and_b32 s3, vcc_lo, s3
	;; [unrolled: 1-line block ×3, first 2 shown]
	s_add_co_i32 s14, s14, s1
	s_mov_b32 s23, s15
	s_branch .LBB218_10
.LBB218_8:                              ;   in Loop: Header=BB218_10 Depth=1
	s_wait_xcnt 0x0
	s_or_b32 exec_lo, exec_lo, s24
	v_mov_b32_e32 v5, 1
.LBB218_9:                              ;   in Loop: Header=BB218_10 Depth=1
	s_or_b32 exec_lo, exec_lo, s1
	ds_bpermute_b32 v6, v33, v44
	s_wait_storecnt_dscnt 0x0
	v_add_nc_u32_e32 v4, v5, v4
	v_min_i32_e32 v6, v6, v44
	ds_bpermute_b32 v20, v34, v6
	s_wait_dscnt 0x0
	v_min_i32_e32 v6, v20, v6
	ds_bpermute_b32 v20, v35, v6
	s_wait_dscnt 0x0
	;; [unrolled: 3-line block ×6, first 2 shown]
	v_cmp_le_i32_e32 vcc_lo, s5, v45
	s_or_b32 s23, vcc_lo, s23
	s_delay_alu instid0(SALU_CYCLE_1)
	s_and_not1_b32 exec_lo, exec_lo, s23
	s_cbranch_execz .LBB218_38
.LBB218_10:                             ; =>This Loop Header: Depth=1
                                        ;     Child Loop BB218_11 Depth 2
                                        ;     Child Loop BB218_15 Depth 2
	v_dual_mov_b32 v5, v32 :: v_dual_mov_b32 v6, v42
	s_mov_b32 s1, 0
	ds_store_b8 v26, v7 offset:16384
.LBB218_11:                             ;   Parent Loop BB218_10 Depth=1
                                        ; =>  This Inner Loop Header: Depth=2
	v_add_nc_u32_e32 v6, 2, v6
	ds_store_b128 v5, v[0:3]
	v_add_nc_u32_e32 v5, 32, v5
	v_cmp_lt_u32_e32 vcc_lo, 5, v6
	s_or_b32 s1, vcc_lo, s1
	s_delay_alu instid0(SALU_CYCLE_1)
	s_and_not1_b32 exec_lo, exec_lo, s1
	s_cbranch_execnz .LBB218_11
; %bb.12:                               ;   in Loop: Header=BB218_10 Depth=1
	s_or_b32 exec_lo, exec_lo, s1
	v_dual_add_nc_u32 v20, v24, v28 :: v_dual_mov_b32 v44, s5
	v_mov_b32_e32 v21, v27
	s_mov_b32 s24, exec_lo
	s_wait_dscnt 0x0
	s_delay_alu instid0(VALU_DEP_2)
	v_cmpx_lt_i32_e64 v20, v27
	s_cbranch_execz .LBB218_20
; %bb.13:                               ;   in Loop: Header=BB218_10 Depth=1
	v_mul_lo_u32 v5, v45, s7
	v_dual_mov_b32 v44, s5 :: v_dual_ashrrev_i32 v21, 31, v20
	s_mov_b32 s25, 0
	s_delay_alu instid0(VALU_DEP_1)
	v_lshl_add_u64 v[22:23], v[20:21], 2, s[12:13]
	v_lshl_add_u64 v[24:25], v[20:21], 4, s[10:11]
	v_mov_b32_e32 v21, v27
	s_branch .LBB218_15
.LBB218_14:                             ;   in Loop: Header=BB218_15 Depth=2
	s_wait_xcnt 0x0
	s_or_b32 exec_lo, exec_lo, s1
	v_add_nc_u32_e32 v20, 2, v20
	s_xor_b32 s26, vcc_lo, -1
	v_add_nc_u64_e32 v[22:23], 8, v[22:23]
	v_add_nc_u64_e32 v[24:25], 32, v[24:25]
	s_delay_alu instid0(VALU_DEP_3) | instskip(SKIP_1) | instid1(SALU_CYCLE_1)
	v_cmp_ge_i32_e64 s1, v20, v27
	s_or_b32 s1, s26, s1
	s_and_b32 s1, exec_lo, s1
	s_delay_alu instid0(SALU_CYCLE_1) | instskip(NEXT) | instid1(SALU_CYCLE_1)
	s_or_b32 s25, s1, s25
	s_and_not1_b32 exec_lo, exec_lo, s25
	s_cbranch_execz .LBB218_19
.LBB218_15:                             ;   Parent Loop BB218_10 Depth=1
                                        ; =>  This Inner Loop Header: Depth=2
	global_load_b32 v6, v[22:23], off
	s_wait_loadcnt 0x0
	v_subrev_nc_u32_e32 v46, s20, v6
	s_delay_alu instid0(VALU_DEP_1) | instskip(NEXT) | instid1(VALU_DEP_1)
	v_sub_nc_u32_e32 v6, 0, v46
	v_max_i32_e32 v6, v46, v6
	s_delay_alu instid0(VALU_DEP_1) | instskip(NEXT) | instid1(VALU_DEP_1)
	v_mul_u64_e32 v[48:49], s[14:15], v[6:7]
	v_mul_lo_u32 v47, v49, s16
	s_delay_alu instid0(VALU_DEP_1) | instskip(NEXT) | instid1(VALU_DEP_1)
	v_dual_sub_nc_u32 v6, v6, v47 :: v_dual_add_nc_u32 v47, 1, v49
	v_cmp_le_u32_e32 vcc_lo, s16, v6
	s_delay_alu instid0(VALU_DEP_2) | instskip(SKIP_1) | instid1(VALU_DEP_1)
	v_dual_cndmask_b32 v47, v49, v47, vcc_lo :: v_dual_ashrrev_i32 v49, 31, v46
	v_subrev_nc_u32_e32 v48, s16, v6
	v_dual_cndmask_b32 v6, v6, v48, vcc_lo :: v_dual_add_nc_u32 v48, 1, v47
	s_delay_alu instid0(VALU_DEP_1) | instskip(NEXT) | instid1(VALU_DEP_2)
	v_cmp_le_u32_e32 vcc_lo, s16, v6
	v_dual_cndmask_b32 v6, v47, v48, vcc_lo :: v_dual_bitop2_b32 v49, s17, v49 bitop3:0x14
	s_delay_alu instid0(VALU_DEP_1) | instskip(NEXT) | instid1(VALU_DEP_1)
	v_xor_b32_e32 v6, v6, v49
	v_dual_mov_b32 v6, v21 :: v_dual_sub_nc_u32 v47, v6, v49
	s_delay_alu instid0(VALU_DEP_1) | instskip(SKIP_3) | instid1(SALU_CYCLE_1)
	v_cmp_ne_u32_e64 s1, v47, v45
	v_cmp_eq_u32_e32 vcc_lo, v47, v45
	s_wait_xcnt 0x0
	s_and_saveexec_b32 s26, s1
	s_xor_b32 s1, exec_lo, s26
; %bb.16:                               ;   in Loop: Header=BB218_15 Depth=2
	v_min_i32_e32 v44, v47, v44
                                        ; implicit-def: $vgpr46
                                        ; implicit-def: $vgpr6
; %bb.17:                               ;   in Loop: Header=BB218_15 Depth=2
	s_or_saveexec_b32 s1, s1
	v_mov_b32_e32 v21, v20
	s_xor_b32 exec_lo, exec_lo, s1
	s_cbranch_execz .LBB218_14
; %bb.18:                               ;   in Loop: Header=BB218_15 Depth=2
	global_load_b128 v[48:51], v[24:25], off
	v_sub_nc_u32_e32 v21, v46, v5
	s_delay_alu instid0(VALU_DEP_1)
	v_lshl_add_u32 v46, v21, 4, v29
	v_mov_b32_e32 v21, v6
	ds_store_b8 v26, v43 offset:16384
	s_wait_loadcnt 0x0
	ds_store_2addr_b64 v46, v[48:49], v[50:51] offset1:1
	s_branch .LBB218_14
.LBB218_19:                             ;   in Loop: Header=BB218_10 Depth=1
	s_or_b32 exec_lo, exec_lo, s25
.LBB218_20:                             ;   in Loop: Header=BB218_10 Depth=1
	s_delay_alu instid0(SALU_CYCLE_1)
	s_or_b32 exec_lo, exec_lo, s24
	ds_bpermute_b32 v5, v30, v21
	s_wait_dscnt 0x0
	ds_load_u8 v6, v26 offset:16384
	v_min_i32_e32 v5, v5, v21
	ds_bpermute_b32 v24, v31, v5
	s_wait_dscnt 0x1
	v_and_b32_e32 v5, 1, v6
	s_delay_alu instid0(VALU_DEP_1)
	v_cmp_eq_u32_e32 vcc_lo, 1, v5
	v_mov_b32_e32 v5, 0
	s_and_saveexec_b32 s1, vcc_lo
	s_cbranch_execz .LBB218_9
; %bb.21:                               ;   in Loop: Header=BB218_10 Depth=1
	v_ashrrev_i32_e32 v5, 31, v4
	s_delay_alu instid0(VALU_DEP_1) | instskip(SKIP_3) | instid1(VALU_DEP_1)
	v_mul_u64_e32 v[20:21], s[18:19], v[4:5]
	v_add_nc_u32_e32 v5, s21, v45
	global_store_b32 v4, v5, s[8:9] scale_offset
	v_lshlrev_b64_e32 v[20:21], 4, v[20:21]
	v_add_nc_u64_e32 v[22:23], v[8:9], v[20:21]
	v_add_nc_u64_e32 v[20:21], v[10:11], v[20:21]
	s_wait_xcnt 0x0
	s_and_saveexec_b32 s24, s6
	s_cbranch_execz .LBB218_23
; %bb.22:                               ;   in Loop: Header=BB218_10 Depth=1
	ds_load_2addr_b64 v[46:49], v32 offset1:1
	v_lshl_add_u64 v[50:51], v[12:13], 4, v[22:23]
	s_delay_alu instid0(VALU_DEP_1)
	v_dual_cndmask_b32 v51, v51, v21, s0 :: v_dual_cndmask_b32 v50, v50, v20, s0
	s_wait_dscnt 0x0
	global_store_b128 v[50:51], v[46:49], off
.LBB218_23:                             ;   in Loop: Header=BB218_10 Depth=1
	s_wait_xcnt 0x0
	s_or_b32 exec_lo, exec_lo, s24
	s_and_saveexec_b32 s24, s2
	s_cbranch_execz .LBB218_28
; %bb.24:                               ;   in Loop: Header=BB218_10 Depth=1
	s_and_not1_b32 vcc_lo, exec_lo, s22
	s_mov_b32 s25, -1
	s_cbranch_vccnz .LBB218_26
; %bb.25:                               ;   in Loop: Header=BB218_10 Depth=1
	ds_load_2addr_b64 v[46:49], v39 offset1:1
	v_lshl_add_u64 v[50:51], v[14:15], 4, v[22:23]
	s_mov_b32 s25, 0
	s_wait_dscnt 0x0
	global_store_b128 v[50:51], v[46:49], off
.LBB218_26:                             ;   in Loop: Header=BB218_10 Depth=1
	s_and_not1_b32 vcc_lo, exec_lo, s25
	s_cbranch_vccnz .LBB218_28
; %bb.27:                               ;   in Loop: Header=BB218_10 Depth=1
	s_wait_xcnt 0x0
	ds_load_2addr_b64 v[46:49], v39 offset1:1
	s_wait_dscnt 0x0
	global_store_b128 v[20:21], v[46:49], off offset:32
.LBB218_28:                             ;   in Loop: Header=BB218_10 Depth=1
	s_wait_xcnt 0x0
	s_or_b32 exec_lo, exec_lo, s24
	s_and_saveexec_b32 s24, s3
	s_cbranch_execz .LBB218_33
; %bb.29:                               ;   in Loop: Header=BB218_10 Depth=1
	s_and_not1_b32 vcc_lo, exec_lo, s22
	s_mov_b32 s25, -1
	s_cbranch_vccnz .LBB218_31
; %bb.30:                               ;   in Loop: Header=BB218_10 Depth=1
	ds_load_2addr_b64 v[46:49], v40 offset1:1
	v_lshl_add_u64 v[50:51], v[16:17], 4, v[22:23]
	s_mov_b32 s25, 0
	s_wait_dscnt 0x0
	global_store_b128 v[50:51], v[46:49], off
.LBB218_31:                             ;   in Loop: Header=BB218_10 Depth=1
	s_and_not1_b32 vcc_lo, exec_lo, s25
	s_cbranch_vccnz .LBB218_33
; %bb.32:                               ;   in Loop: Header=BB218_10 Depth=1
	s_wait_xcnt 0x0
	ds_load_2addr_b64 v[46:49], v40 offset1:1
	s_wait_dscnt 0x0
	global_store_b128 v[20:21], v[46:49], off offset:64
.LBB218_33:                             ;   in Loop: Header=BB218_10 Depth=1
	s_wait_xcnt 0x0
	s_or_b32 exec_lo, exec_lo, s24
	s_and_saveexec_b32 s24, s4
	s_cbranch_execz .LBB218_8
; %bb.34:                               ;   in Loop: Header=BB218_10 Depth=1
	s_and_not1_b32 vcc_lo, exec_lo, s22
	s_mov_b32 s25, -1
	s_cbranch_vccnz .LBB218_36
; %bb.35:                               ;   in Loop: Header=BB218_10 Depth=1
	ds_load_2addr_b64 v[46:49], v41 offset1:1
	v_lshl_add_u64 v[22:23], v[18:19], 4, v[22:23]
	s_mov_b32 s25, 0
	s_wait_dscnt 0x0
	global_store_b128 v[22:23], v[46:49], off
.LBB218_36:                             ;   in Loop: Header=BB218_10 Depth=1
	s_and_not1_b32 vcc_lo, exec_lo, s25
	s_cbranch_vccnz .LBB218_8
; %bb.37:                               ;   in Loop: Header=BB218_10 Depth=1
	s_wait_xcnt 0x0
	ds_load_2addr_b64 v[46:49], v41 offset1:1
	s_wait_dscnt 0x0
	global_store_b128 v[20:21], v[46:49], off offset:96
	s_branch .LBB218_8
.LBB218_38:
	s_endpgm
	.section	.rodata,"a",@progbits
	.p2align	6, 0x0
	.amdhsa_kernel _ZN9rocsparseL44csr2gebsr_wavefront_per_row_multipass_kernelILi256ELi32ELi8ELi64E21rocsparse_complex_numIdEEEv20rocsparse_direction_iiiiii21rocsparse_index_base_PKT3_PKiS9_S4_PS5_PiSB_
		.amdhsa_group_segment_fixed_size 16392
		.amdhsa_private_segment_fixed_size 0
		.amdhsa_kernarg_size 88
		.amdhsa_user_sgpr_count 2
		.amdhsa_user_sgpr_dispatch_ptr 0
		.amdhsa_user_sgpr_queue_ptr 0
		.amdhsa_user_sgpr_kernarg_segment_ptr 1
		.amdhsa_user_sgpr_dispatch_id 0
		.amdhsa_user_sgpr_kernarg_preload_length 0
		.amdhsa_user_sgpr_kernarg_preload_offset 0
		.amdhsa_user_sgpr_private_segment_size 0
		.amdhsa_wavefront_size32 1
		.amdhsa_uses_dynamic_stack 0
		.amdhsa_enable_private_segment 0
		.amdhsa_system_sgpr_workgroup_id_x 1
		.amdhsa_system_sgpr_workgroup_id_y 0
		.amdhsa_system_sgpr_workgroup_id_z 0
		.amdhsa_system_sgpr_workgroup_info 0
		.amdhsa_system_vgpr_workitem_id 0
		.amdhsa_next_free_vgpr 52
		.amdhsa_next_free_sgpr 27
		.amdhsa_named_barrier_count 0
		.amdhsa_reserve_vcc 1
		.amdhsa_float_round_mode_32 0
		.amdhsa_float_round_mode_16_64 0
		.amdhsa_float_denorm_mode_32 3
		.amdhsa_float_denorm_mode_16_64 3
		.amdhsa_fp16_overflow 0
		.amdhsa_memory_ordered 1
		.amdhsa_forward_progress 1
		.amdhsa_inst_pref_size 16
		.amdhsa_round_robin_scheduling 0
		.amdhsa_exception_fp_ieee_invalid_op 0
		.amdhsa_exception_fp_denorm_src 0
		.amdhsa_exception_fp_ieee_div_zero 0
		.amdhsa_exception_fp_ieee_overflow 0
		.amdhsa_exception_fp_ieee_underflow 0
		.amdhsa_exception_fp_ieee_inexact 0
		.amdhsa_exception_int_div_zero 0
	.end_amdhsa_kernel
	.section	.text._ZN9rocsparseL44csr2gebsr_wavefront_per_row_multipass_kernelILi256ELi32ELi8ELi64E21rocsparse_complex_numIdEEEv20rocsparse_direction_iiiiii21rocsparse_index_base_PKT3_PKiS9_S4_PS5_PiSB_,"axG",@progbits,_ZN9rocsparseL44csr2gebsr_wavefront_per_row_multipass_kernelILi256ELi32ELi8ELi64E21rocsparse_complex_numIdEEEv20rocsparse_direction_iiiiii21rocsparse_index_base_PKT3_PKiS9_S4_PS5_PiSB_,comdat
.Lfunc_end218:
	.size	_ZN9rocsparseL44csr2gebsr_wavefront_per_row_multipass_kernelILi256ELi32ELi8ELi64E21rocsparse_complex_numIdEEEv20rocsparse_direction_iiiiii21rocsparse_index_base_PKT3_PKiS9_S4_PS5_PiSB_, .Lfunc_end218-_ZN9rocsparseL44csr2gebsr_wavefront_per_row_multipass_kernelILi256ELi32ELi8ELi64E21rocsparse_complex_numIdEEEv20rocsparse_direction_iiiiii21rocsparse_index_base_PKT3_PKiS9_S4_PS5_PiSB_
                                        ; -- End function
	.set _ZN9rocsparseL44csr2gebsr_wavefront_per_row_multipass_kernelILi256ELi32ELi8ELi64E21rocsparse_complex_numIdEEEv20rocsparse_direction_iiiiii21rocsparse_index_base_PKT3_PKiS9_S4_PS5_PiSB_.num_vgpr, 52
	.set _ZN9rocsparseL44csr2gebsr_wavefront_per_row_multipass_kernelILi256ELi32ELi8ELi64E21rocsparse_complex_numIdEEEv20rocsparse_direction_iiiiii21rocsparse_index_base_PKT3_PKiS9_S4_PS5_PiSB_.num_agpr, 0
	.set _ZN9rocsparseL44csr2gebsr_wavefront_per_row_multipass_kernelILi256ELi32ELi8ELi64E21rocsparse_complex_numIdEEEv20rocsparse_direction_iiiiii21rocsparse_index_base_PKT3_PKiS9_S4_PS5_PiSB_.numbered_sgpr, 27
	.set _ZN9rocsparseL44csr2gebsr_wavefront_per_row_multipass_kernelILi256ELi32ELi8ELi64E21rocsparse_complex_numIdEEEv20rocsparse_direction_iiiiii21rocsparse_index_base_PKT3_PKiS9_S4_PS5_PiSB_.num_named_barrier, 0
	.set _ZN9rocsparseL44csr2gebsr_wavefront_per_row_multipass_kernelILi256ELi32ELi8ELi64E21rocsparse_complex_numIdEEEv20rocsparse_direction_iiiiii21rocsparse_index_base_PKT3_PKiS9_S4_PS5_PiSB_.private_seg_size, 0
	.set _ZN9rocsparseL44csr2gebsr_wavefront_per_row_multipass_kernelILi256ELi32ELi8ELi64E21rocsparse_complex_numIdEEEv20rocsparse_direction_iiiiii21rocsparse_index_base_PKT3_PKiS9_S4_PS5_PiSB_.uses_vcc, 1
	.set _ZN9rocsparseL44csr2gebsr_wavefront_per_row_multipass_kernelILi256ELi32ELi8ELi64E21rocsparse_complex_numIdEEEv20rocsparse_direction_iiiiii21rocsparse_index_base_PKT3_PKiS9_S4_PS5_PiSB_.uses_flat_scratch, 0
	.set _ZN9rocsparseL44csr2gebsr_wavefront_per_row_multipass_kernelILi256ELi32ELi8ELi64E21rocsparse_complex_numIdEEEv20rocsparse_direction_iiiiii21rocsparse_index_base_PKT3_PKiS9_S4_PS5_PiSB_.has_dyn_sized_stack, 0
	.set _ZN9rocsparseL44csr2gebsr_wavefront_per_row_multipass_kernelILi256ELi32ELi8ELi64E21rocsparse_complex_numIdEEEv20rocsparse_direction_iiiiii21rocsparse_index_base_PKT3_PKiS9_S4_PS5_PiSB_.has_recursion, 0
	.set _ZN9rocsparseL44csr2gebsr_wavefront_per_row_multipass_kernelILi256ELi32ELi8ELi64E21rocsparse_complex_numIdEEEv20rocsparse_direction_iiiiii21rocsparse_index_base_PKT3_PKiS9_S4_PS5_PiSB_.has_indirect_call, 0
	.section	.AMDGPU.csdata,"",@progbits
; Kernel info:
; codeLenInByte = 1936
; TotalNumSgprs: 29
; NumVgprs: 52
; ScratchSize: 0
; MemoryBound: 0
; FloatMode: 240
; IeeeMode: 1
; LDSByteSize: 16392 bytes/workgroup (compile time only)
; SGPRBlocks: 0
; VGPRBlocks: 3
; NumSGPRsForWavesPerEU: 29
; NumVGPRsForWavesPerEU: 52
; NamedBarCnt: 0
; Occupancy: 16
; WaveLimiterHint : 0
; COMPUTE_PGM_RSRC2:SCRATCH_EN: 0
; COMPUTE_PGM_RSRC2:USER_SGPR: 2
; COMPUTE_PGM_RSRC2:TRAP_HANDLER: 0
; COMPUTE_PGM_RSRC2:TGID_X_EN: 1
; COMPUTE_PGM_RSRC2:TGID_Y_EN: 0
; COMPUTE_PGM_RSRC2:TGID_Z_EN: 0
; COMPUTE_PGM_RSRC2:TIDIG_COMP_CNT: 0
	.section	.text._ZN9rocsparseL44csr2gebsr_wavefront_per_row_multipass_kernelILi256ELi32ELi8ELi32E21rocsparse_complex_numIdEEEv20rocsparse_direction_iiiiii21rocsparse_index_base_PKT3_PKiS9_S4_PS5_PiSB_,"axG",@progbits,_ZN9rocsparseL44csr2gebsr_wavefront_per_row_multipass_kernelILi256ELi32ELi8ELi32E21rocsparse_complex_numIdEEEv20rocsparse_direction_iiiiii21rocsparse_index_base_PKT3_PKiS9_S4_PS5_PiSB_,comdat
	.globl	_ZN9rocsparseL44csr2gebsr_wavefront_per_row_multipass_kernelILi256ELi32ELi8ELi32E21rocsparse_complex_numIdEEEv20rocsparse_direction_iiiiii21rocsparse_index_base_PKT3_PKiS9_S4_PS5_PiSB_ ; -- Begin function _ZN9rocsparseL44csr2gebsr_wavefront_per_row_multipass_kernelILi256ELi32ELi8ELi32E21rocsparse_complex_numIdEEEv20rocsparse_direction_iiiiii21rocsparse_index_base_PKT3_PKiS9_S4_PS5_PiSB_
	.p2align	8
	.type	_ZN9rocsparseL44csr2gebsr_wavefront_per_row_multipass_kernelILi256ELi32ELi8ELi32E21rocsparse_complex_numIdEEEv20rocsparse_direction_iiiiii21rocsparse_index_base_PKT3_PKiS9_S4_PS5_PiSB_,@function
_ZN9rocsparseL44csr2gebsr_wavefront_per_row_multipass_kernelILi256ELi32ELi8ELi32E21rocsparse_complex_numIdEEEv20rocsparse_direction_iiiiii21rocsparse_index_base_PKT3_PKiS9_S4_PS5_PiSB_: ; @_ZN9rocsparseL44csr2gebsr_wavefront_per_row_multipass_kernelILi256ELi32ELi8ELi32E21rocsparse_complex_numIdEEEv20rocsparse_direction_iiiiii21rocsparse_index_base_PKT3_PKiS9_S4_PS5_PiSB_
; %bb.0:
	s_clause 0x1
	s_load_b128 s[4:7], s[0:1], 0xc
	s_load_b64 s[14:15], s[0:1], 0x0
	s_bfe_u32 s2, ttmp6, 0x4000c
	s_and_b32 s3, ttmp6, 15
	s_add_co_i32 s2, s2, 1
	s_getreg_b32 s8, hwreg(HW_REG_IB_STS2, 6, 4)
	s_mul_i32 s2, ttmp9, s2
	v_dual_lshrrev_b32 v18, 5, v0 :: v_dual_bitop2_b32 v1, 31, v0 bitop3:0x40
	s_add_co_i32 s3, s3, s2
	s_cmp_eq_u32 s8, 0
	s_clause 0x1
	s_load_b32 s33, s[0:1], 0x1c
	s_load_b64 s[8:9], s[0:1], 0x28
	s_cselect_b32 s2, ttmp9, s3
	v_dual_mov_b32 v4, 0 :: v_dual_mov_b32 v6, 0
	v_lshl_or_b32 v2, s2, 3, v18
	s_wait_kmcnt 0x0
	s_delay_alu instid0(VALU_DEP_1) | instskip(SKIP_1) | instid1(VALU_DEP_2)
	v_mad_u32 v3, v2, s6, v1
	v_cmp_gt_i32_e64 s2, s6, v1
	v_cmp_gt_i32_e32 vcc_lo, s15, v3
	s_and_b32 s3, s2, vcc_lo
	s_delay_alu instid0(SALU_CYCLE_1)
	s_and_saveexec_b32 s10, s3
	s_cbranch_execz .LBB219_2
; %bb.1:
	global_load_b32 v5, v3, s[8:9] scale_offset
	s_wait_loadcnt 0x0
	v_subrev_nc_u32_e32 v6, s33, v5
.LBB219_2:
	s_or_b32 exec_lo, exec_lo, s10
	v_mov_b32_e32 v19, 0
	s_and_saveexec_b32 s10, s3
	s_cbranch_execz .LBB219_4
; %bb.3:
	global_load_b32 v3, v3, s[8:9] offset:4 scale_offset
	s_wait_loadcnt 0x0
	v_subrev_nc_u32_e32 v19, s33, v3
.LBB219_4:
	s_or_b32 exec_lo, exec_lo, s10
	s_load_b32 s34, s[0:1], 0x38
	s_mov_b32 s3, exec_lo
	v_cmpx_gt_i32_e64 s4, v2
	s_cbranch_execz .LBB219_6
; %bb.5:
	s_load_b64 s[8:9], s[0:1], 0x48
	s_wait_kmcnt 0x0
	global_load_b32 v2, v2, s[8:9] scale_offset
	s_wait_loadcnt 0x0
	v_subrev_nc_u32_e32 v4, s34, v2
.LBB219_6:
	s_or_b32 exec_lo, exec_lo, s3
	s_cmp_lt_i32 s5, 1
	s_cbranch_scc1 .LBB219_35
; %bb.7:
	s_clause 0x3
	s_load_b64 s[20:21], s[0:1], 0x40
	s_load_b64 s[8:9], s[0:1], 0x50
	s_load_b64 s[10:11], s[0:1], 0x20
	s_load_b64 s[12:13], s[0:1], 0x30
	v_mbcnt_lo_u32_b32 v2, -1, 0
	v_dual_lshlrev_b32 v20, 7, v0 :: v_dual_lshlrev_b32 v8, 4, v1
	v_mul_lo_u32 v0, s7, v1
	s_delay_alu instid0(VALU_DEP_3)
	v_dual_mov_b32 v9, 0 :: v_dual_bitop2_b32 v3, 16, v2 bitop3:0x14
	s_cmp_eq_u32 s14, 0
	v_lshlrev_b32_e32 v21, 2, v2
	s_cselect_b32 vcc_lo, -1, 0
	s_ashr_i32 s17, s7, 31
	s_wait_xcnt 0x0
	v_cmp_gt_i32_e64 s0, 32, v3
	s_cmp_lg_u32 s7, 0
	s_mov_b32 s15, 0
	s_mov_b32 s14, s6
	v_dual_ashrrev_i32 v1, 31, v0 :: v_dual_cndmask_b32 v3, v2, v3, s0
	s_cselect_b32 s0, -1, 0
	s_mov_b32 s16, s7
	s_and_b32 s4, s2, s0
	s_wait_kmcnt 0x0
	v_lshl_add_u64 v[12:13], v[0:1], 4, s[20:21]
	v_xor_b32_e32 v0, 8, v2
	s_cmp_gt_u32 s7, 1
	s_mul_u64 s[18:19], s[16:17], s[14:15]
	s_cselect_b32 s0, -1, 0
	v_dual_lshlrev_b32 v22, 2, v3 :: v_dual_bitop2_b32 v1, 4, v2 bitop3:0x14
	s_and_b32 s16, s2, s0
	v_cmp_gt_i32_e64 s0, 32, v0
	s_cmp_gt_u32 s7, 2
	v_add_nc_u64_e32 v[10:11], s[20:21], v[8:9]
	s_cselect_b32 s1, -1, 0
	s_lshl_b32 s20, s6, 1
	v_cndmask_b32_e64 v0, v2, v0, s0
	v_cmp_gt_i32_e64 s0, 32, v1
	s_and_b32 s35, s2, s1
	s_cmp_gt_u32 s7, 3
	s_mov_b32 s44, s15
	s_mov_b32 s45, s15
	v_cndmask_b32_e64 v1, v2, v1, s0
	s_cselect_b32 s0, -1, 0
	v_lshlrev_b32_e32 v23, 2, v0
	s_and_b32 s36, s2, s0
	s_cmp_gt_u32 s7, 4
	v_dual_lshlrev_b32 v24, 2, v1 :: v_dual_bitop2_b32 v1, 1, v2 bitop3:0x14
	v_xor_b32_e32 v0, 2, v2
	s_cselect_b32 s0, -1, 0
	s_lshl_b32 s22, s6, 2
	s_and_b32 s37, s2, s0
	s_cmp_gt_u32 s7, 5
	v_cmp_gt_i32_e64 s0, 32, v0
	s_cselect_b32 s1, -1, 0
	s_mov_b32 s46, s15
	s_and_b32 s38, s2, s1
	s_cmp_gt_u32 s7, 6
	v_cndmask_b32_e64 v0, v2, v0, s0
	v_cmp_gt_i32_e64 s0, 32, v1
	s_mov_b32 s47, s15
	v_dual_mov_b32 v27, 0x7c :: v_dual_mov_b32 v36, 0
	v_dual_mov_b32 v35, 1 :: v_dual_bitop2_b32 v28, 16, v20 bitop3:0x54
	v_cndmask_b32_e64 v1, v2, v1, s0
	s_cselect_b32 s0, -1, 0
	v_lshlrev_b32_e32 v25, 2, v0
	s_and_b32 s39, s2, s0
	s_cmp_gt_u32 s7, 7
	v_lshlrev_b32_e32 v26, 2, v1
	s_cselect_b32 s0, -1, 0
	s_abs_i32 s40, s7
	s_and_b32 s41, s2, s0
	s_cvt_f32_u32 s1, s40
	v_or_b32_e32 v29, 32, v20
	v_or_b32_e32 v30, 48, v20
	;; [unrolled: 1-line block ×3, first 2 shown]
	v_rcp_iflag_f32_e32 v0, s1
	v_or_b32_e32 v32, 0x50, v20
	v_or_b32_e32 v33, 0x60, v20
	;; [unrolled: 1-line block ×3, first 2 shown]
	s_mov_b32 s21, s15
	s_mul_i32 s24, s6, 3
	s_mov_b32 s25, s15
	v_readfirstlane_b32 s1, v0
	v_mov_b64_e32 v[0:1], s[44:45]
	v_mov_b64_e32 v[2:3], s[46:47]
	s_mov_b32 s23, s15
	s_mul_i32 s26, s6, 5
	s_mul_f32 s1, s1, 0x4f7ffffe
	s_mov_b32 s27, s15
	s_mul_i32 s28, s6, 6
	s_mov_b32 s29, s15
	s_cvt_u32_f32 s0, s1
	s_sub_co_i32 s1, 0, s40
	s_mul_i32 s2, s6, 7
	s_mov_b32 s3, s15
	s_mul_i32 s1, s1, s0
	s_mov_b32 s31, s15
	s_mul_hi_u32 s1, s0, s1
	s_mov_b32 s6, s15
	s_add_co_i32 s30, s0, s1
	s_branch .LBB219_10
.LBB219_8:                              ;   in Loop: Header=BB219_10 Depth=1
	s_wait_xcnt 0x0
	s_or_b32 exec_lo, exec_lo, s0
	v_mov_b32_e32 v5, 1
.LBB219_9:                              ;   in Loop: Header=BB219_10 Depth=1
	s_or_b32 exec_lo, exec_lo, s1
	ds_bpermute_b32 v8, v22, v7
	s_wait_storecnt_dscnt 0x0
	v_dual_add_nc_u32 v4, v5, v4 :: v_dual_min_i32 v7, v8, v7
	ds_bpermute_b32 v8, v23, v7
	s_wait_dscnt 0x0
	v_min_i32_e32 v7, v8, v7
	ds_bpermute_b32 v8, v24, v7
	s_wait_dscnt 0x0
	v_min_i32_e32 v7, v8, v7
	;; [unrolled: 3-line block ×4, first 2 shown]
	ds_bpermute_b32 v36, v27, v7
	s_wait_dscnt 0x0
	v_cmp_le_i32_e64 s0, s5, v36
	s_or_b32 s6, s0, s6
	s_delay_alu instid0(SALU_CYCLE_1)
	s_and_not1_b32 exec_lo, exec_lo, s6
	s_cbranch_execz .LBB219_35
.LBB219_10:                             ; =>This Loop Header: Depth=1
                                        ;     Child Loop BB219_13 Depth 2
	v_dual_mov_b32 v7, s5 :: v_dual_mov_b32 v37, v19
	s_mov_b32 s42, exec_lo
	ds_store_b8 v18, v9 offset:32768
	ds_store_b128 v20, v[0:3]
	ds_store_b128 v20, v[0:3] offset:16
	ds_store_b128 v20, v[0:3] offset:32
	ds_store_b128 v20, v[0:3] offset:48
	ds_store_b128 v20, v[0:3] offset:64
	ds_store_b128 v20, v[0:3] offset:80
	ds_store_b128 v20, v[0:3] offset:96
	ds_store_b128 v20, v[0:3] offset:112
	s_wait_dscnt 0x0
	v_cmpx_lt_i32_e64 v6, v19
	s_cbranch_execz .LBB219_18
; %bb.11:                               ;   in Loop: Header=BB219_10 Depth=1
	v_mul_lo_u32 v5, v36, s7
	v_dual_ashrrev_i32 v7, 31, v6 :: v_dual_mov_b32 v37, v19
	s_mov_b32 s43, 0
	s_delay_alu instid0(VALU_DEP_1)
	v_lshl_add_u64 v[14:15], v[6:7], 2, s[12:13]
	v_lshl_add_u64 v[16:17], v[6:7], 4, s[10:11]
	v_mov_b32_e32 v7, s5
	s_branch .LBB219_13
.LBB219_12:                             ;   in Loop: Header=BB219_13 Depth=2
	s_wait_xcnt 0x0
	s_or_b32 exec_lo, exec_lo, s1
	v_add_nc_u32_e32 v6, 1, v6
	s_xor_b32 s0, s0, -1
	v_add_nc_u64_e32 v[14:15], 4, v[14:15]
	v_add_nc_u64_e32 v[16:17], 16, v[16:17]
	s_delay_alu instid0(VALU_DEP_3) | instskip(SKIP_1) | instid1(SALU_CYCLE_1)
	v_cmp_ge_i32_e64 s1, v6, v19
	s_or_b32 s0, s0, s1
	s_and_b32 s0, exec_lo, s0
	s_delay_alu instid0(SALU_CYCLE_1) | instskip(NEXT) | instid1(SALU_CYCLE_1)
	s_or_b32 s43, s0, s43
	s_and_not1_b32 exec_lo, exec_lo, s43
	s_cbranch_execz .LBB219_17
.LBB219_13:                             ;   Parent Loop BB219_10 Depth=1
                                        ; =>  This Inner Loop Header: Depth=2
	global_load_b32 v8, v[14:15], off
	s_wait_loadcnt 0x0
	v_subrev_nc_u32_e32 v38, s33, v8
	s_delay_alu instid0(VALU_DEP_1) | instskip(NEXT) | instid1(VALU_DEP_1)
	v_sub_nc_u32_e32 v8, 0, v38
	v_max_i32_e32 v8, v38, v8
	s_delay_alu instid0(VALU_DEP_1) | instskip(NEXT) | instid1(VALU_DEP_1)
	v_mul_u64_e32 v[40:41], s[30:31], v[8:9]
	v_mul_lo_u32 v39, v41, s40
	s_delay_alu instid0(VALU_DEP_1) | instskip(NEXT) | instid1(VALU_DEP_1)
	v_dual_sub_nc_u32 v8, v8, v39 :: v_dual_add_nc_u32 v39, 1, v41
	v_cmp_le_u32_e64 s0, s40, v8
	s_delay_alu instid0(VALU_DEP_1) | instskip(SKIP_1) | instid1(VALU_DEP_1)
	v_dual_cndmask_b32 v39, v41, v39, s0 :: v_dual_ashrrev_i32 v41, 31, v38
	v_subrev_nc_u32_e32 v40, s40, v8
	v_dual_cndmask_b32 v8, v8, v40, s0 :: v_dual_add_nc_u32 v40, 1, v39
	s_delay_alu instid0(VALU_DEP_1) | instskip(NEXT) | instid1(VALU_DEP_1)
	v_cmp_le_u32_e64 s0, s40, v8
	v_dual_cndmask_b32 v8, v39, v40, s0 :: v_dual_bitop2_b32 v41, s17, v41 bitop3:0x14
	s_delay_alu instid0(VALU_DEP_1) | instskip(NEXT) | instid1(VALU_DEP_1)
	v_xor_b32_e32 v8, v8, v41
	v_dual_mov_b32 v8, v37 :: v_dual_sub_nc_u32 v39, v8, v41
	s_delay_alu instid0(VALU_DEP_1) | instskip(SKIP_3) | instid1(SALU_CYCLE_1)
	v_cmp_eq_u32_e64 s0, v39, v36
	v_cmp_ne_u32_e64 s1, v39, v36
	s_wait_xcnt 0x0
	s_and_saveexec_b32 s44, s1
	s_xor_b32 s1, exec_lo, s44
; %bb.14:                               ;   in Loop: Header=BB219_13 Depth=2
	v_min_i32_e32 v7, v39, v7
                                        ; implicit-def: $vgpr38
                                        ; implicit-def: $vgpr8
; %bb.15:                               ;   in Loop: Header=BB219_13 Depth=2
	s_or_saveexec_b32 s1, s1
	v_mov_b32_e32 v37, v6
	s_xor_b32 exec_lo, exec_lo, s1
	s_cbranch_execz .LBB219_12
; %bb.16:                               ;   in Loop: Header=BB219_13 Depth=2
	global_load_b128 v[40:43], v[16:17], off
	v_sub_nc_u32_e32 v37, v38, v5
	s_delay_alu instid0(VALU_DEP_1)
	v_lshl_add_u32 v38, v37, 4, v20
	v_mov_b32_e32 v37, v8
	ds_store_b8 v18, v35 offset:32768
	s_wait_loadcnt 0x0
	ds_store_2addr_b64 v38, v[40:41], v[42:43] offset1:1
	s_branch .LBB219_12
.LBB219_17:                             ;   in Loop: Header=BB219_10 Depth=1
	s_or_b32 exec_lo, exec_lo, s43
.LBB219_18:                             ;   in Loop: Header=BB219_10 Depth=1
	s_delay_alu instid0(SALU_CYCLE_1)
	s_or_b32 exec_lo, exec_lo, s42
	s_wait_dscnt 0x0
	ds_load_u8 v5, v18 offset:32768
	ds_bpermute_b32 v6, v21, v37
	s_wait_dscnt 0x1
	v_and_b32_e32 v5, 1, v5
	s_delay_alu instid0(VALU_DEP_1)
	v_cmp_eq_u32_e64 s0, 1, v5
	v_mov_b32_e32 v5, 0
	s_and_saveexec_b32 s1, s0
	s_cbranch_execz .LBB219_9
; %bb.19:                               ;   in Loop: Header=BB219_10 Depth=1
	v_ashrrev_i32_e32 v5, 31, v4
	s_delay_alu instid0(VALU_DEP_1) | instskip(SKIP_3) | instid1(VALU_DEP_1)
	v_mul_u64_e32 v[14:15], s[18:19], v[4:5]
	v_add_nc_u32_e32 v5, s34, v36
	global_store_b32 v4, v5, s[8:9] scale_offset
	v_lshlrev_b64_e32 v[16:17], 4, v[14:15]
	v_add_nc_u64_e32 v[14:15], v[10:11], v[16:17]
	v_add_nc_u64_e32 v[16:17], v[12:13], v[16:17]
	s_wait_xcnt 0x0
	s_and_saveexec_b32 s0, s4
	s_cbranch_execnz .LBB219_27
; %bb.20:                               ;   in Loop: Header=BB219_10 Depth=1
	s_or_b32 exec_lo, exec_lo, s0
	s_and_saveexec_b32 s0, s16
	s_cbranch_execnz .LBB219_28
.LBB219_21:                             ;   in Loop: Header=BB219_10 Depth=1
	s_or_b32 exec_lo, exec_lo, s0
	s_and_saveexec_b32 s0, s35
	s_cbranch_execnz .LBB219_29
.LBB219_22:                             ;   in Loop: Header=BB219_10 Depth=1
	s_or_b32 exec_lo, exec_lo, s0
	s_and_saveexec_b32 s0, s36
	s_cbranch_execnz .LBB219_30
.LBB219_23:                             ;   in Loop: Header=BB219_10 Depth=1
	s_or_b32 exec_lo, exec_lo, s0
	s_and_saveexec_b32 s0, s37
	s_cbranch_execnz .LBB219_31
.LBB219_24:                             ;   in Loop: Header=BB219_10 Depth=1
	s_or_b32 exec_lo, exec_lo, s0
	s_and_saveexec_b32 s0, s38
	s_cbranch_execnz .LBB219_32
.LBB219_25:                             ;   in Loop: Header=BB219_10 Depth=1
	s_or_b32 exec_lo, exec_lo, s0
	s_and_saveexec_b32 s0, s39
	s_cbranch_execnz .LBB219_33
.LBB219_26:                             ;   in Loop: Header=BB219_10 Depth=1
	s_or_b32 exec_lo, exec_lo, s0
	s_and_saveexec_b32 s0, s41
	s_cbranch_execz .LBB219_8
	s_branch .LBB219_34
.LBB219_27:                             ;   in Loop: Header=BB219_10 Depth=1
	ds_load_2addr_b64 v[36:39], v20 offset1:1
	v_dual_cndmask_b32 v41, v15, v17 :: v_dual_cndmask_b32 v40, v14, v16
	s_wait_dscnt 0x0
	global_store_b128 v[40:41], v[36:39], off
	s_wait_xcnt 0x0
	s_or_b32 exec_lo, exec_lo, s0
	s_and_saveexec_b32 s0, s16
	s_cbranch_execz .LBB219_21
.LBB219_28:                             ;   in Loop: Header=BB219_10 Depth=1
	ds_load_2addr_b64 v[36:39], v28 offset1:1
	v_add_nc_u64_e32 v[40:41], 16, v[16:17]
	v_lshl_add_u64 v[42:43], s[14:15], 4, v[14:15]
	s_delay_alu instid0(VALU_DEP_1)
	v_dual_cndmask_b32 v41, v43, v41 :: v_dual_cndmask_b32 v40, v42, v40
	s_wait_dscnt 0x0
	global_store_b128 v[40:41], v[36:39], off
	s_wait_xcnt 0x0
	s_or_b32 exec_lo, exec_lo, s0
	s_and_saveexec_b32 s0, s35
	s_cbranch_execz .LBB219_22
.LBB219_29:                             ;   in Loop: Header=BB219_10 Depth=1
	ds_load_2addr_b64 v[36:39], v29 offset1:1
	v_add_nc_u64_e32 v[40:41], 32, v[16:17]
	v_lshl_add_u64 v[42:43], s[20:21], 4, v[14:15]
	s_delay_alu instid0(VALU_DEP_1)
	v_dual_cndmask_b32 v41, v43, v41 :: v_dual_cndmask_b32 v40, v42, v40
	s_wait_dscnt 0x0
	global_store_b128 v[40:41], v[36:39], off
	s_wait_xcnt 0x0
	s_or_b32 exec_lo, exec_lo, s0
	s_and_saveexec_b32 s0, s36
	s_cbranch_execz .LBB219_23
.LBB219_30:                             ;   in Loop: Header=BB219_10 Depth=1
	ds_load_2addr_b64 v[36:39], v30 offset1:1
	v_add_nc_u64_e32 v[40:41], 48, v[16:17]
	v_lshl_add_u64 v[42:43], s[24:25], 4, v[14:15]
	s_delay_alu instid0(VALU_DEP_1)
	v_dual_cndmask_b32 v41, v43, v41 :: v_dual_cndmask_b32 v40, v42, v40
	s_wait_dscnt 0x0
	global_store_b128 v[40:41], v[36:39], off
	s_wait_xcnt 0x0
	s_or_b32 exec_lo, exec_lo, s0
	s_and_saveexec_b32 s0, s37
	s_cbranch_execz .LBB219_24
.LBB219_31:                             ;   in Loop: Header=BB219_10 Depth=1
	ds_load_2addr_b64 v[36:39], v31 offset1:1
	v_add_nc_u64_e32 v[40:41], 64, v[16:17]
	v_lshl_add_u64 v[42:43], s[22:23], 4, v[14:15]
	s_delay_alu instid0(VALU_DEP_1)
	v_dual_cndmask_b32 v41, v43, v41 :: v_dual_cndmask_b32 v40, v42, v40
	s_wait_dscnt 0x0
	global_store_b128 v[40:41], v[36:39], off
	s_wait_xcnt 0x0
	s_or_b32 exec_lo, exec_lo, s0
	s_and_saveexec_b32 s0, s38
	s_cbranch_execz .LBB219_25
.LBB219_32:                             ;   in Loop: Header=BB219_10 Depth=1
	ds_load_2addr_b64 v[36:39], v32 offset1:1
	v_add_nc_u64_e32 v[40:41], 0x50, v[16:17]
	v_lshl_add_u64 v[42:43], s[26:27], 4, v[14:15]
	s_delay_alu instid0(VALU_DEP_1)
	v_dual_cndmask_b32 v41, v43, v41 :: v_dual_cndmask_b32 v40, v42, v40
	s_wait_dscnt 0x0
	global_store_b128 v[40:41], v[36:39], off
	s_wait_xcnt 0x0
	s_or_b32 exec_lo, exec_lo, s0
	s_and_saveexec_b32 s0, s39
	s_cbranch_execz .LBB219_26
.LBB219_33:                             ;   in Loop: Header=BB219_10 Depth=1
	ds_load_2addr_b64 v[36:39], v33 offset1:1
	v_add_nc_u64_e32 v[40:41], 0x60, v[16:17]
	v_lshl_add_u64 v[42:43], s[28:29], 4, v[14:15]
	s_delay_alu instid0(VALU_DEP_1)
	v_dual_cndmask_b32 v41, v43, v41 :: v_dual_cndmask_b32 v40, v42, v40
	s_wait_dscnt 0x0
	global_store_b128 v[40:41], v[36:39], off
	s_wait_xcnt 0x0
	s_or_b32 exec_lo, exec_lo, s0
	s_and_saveexec_b32 s0, s41
	s_cbranch_execz .LBB219_8
.LBB219_34:                             ;   in Loop: Header=BB219_10 Depth=1
	ds_load_2addr_b64 v[36:39], v34 offset1:1
	v_add_nc_u64_e32 v[16:17], 0x70, v[16:17]
	v_lshl_add_u64 v[14:15], s[2:3], 4, v[14:15]
	s_delay_alu instid0(VALU_DEP_1)
	v_dual_cndmask_b32 v15, v15, v17 :: v_dual_cndmask_b32 v14, v14, v16
	s_wait_dscnt 0x0
	global_store_b128 v[14:15], v[36:39], off
	s_branch .LBB219_8
.LBB219_35:
	s_endpgm
	.section	.rodata,"a",@progbits
	.p2align	6, 0x0
	.amdhsa_kernel _ZN9rocsparseL44csr2gebsr_wavefront_per_row_multipass_kernelILi256ELi32ELi8ELi32E21rocsparse_complex_numIdEEEv20rocsparse_direction_iiiiii21rocsparse_index_base_PKT3_PKiS9_S4_PS5_PiSB_
		.amdhsa_group_segment_fixed_size 32776
		.amdhsa_private_segment_fixed_size 0
		.amdhsa_kernarg_size 88
		.amdhsa_user_sgpr_count 2
		.amdhsa_user_sgpr_dispatch_ptr 0
		.amdhsa_user_sgpr_queue_ptr 0
		.amdhsa_user_sgpr_kernarg_segment_ptr 1
		.amdhsa_user_sgpr_dispatch_id 0
		.amdhsa_user_sgpr_kernarg_preload_length 0
		.amdhsa_user_sgpr_kernarg_preload_offset 0
		.amdhsa_user_sgpr_private_segment_size 0
		.amdhsa_wavefront_size32 1
		.amdhsa_uses_dynamic_stack 0
		.amdhsa_enable_private_segment 0
		.amdhsa_system_sgpr_workgroup_id_x 1
		.amdhsa_system_sgpr_workgroup_id_y 0
		.amdhsa_system_sgpr_workgroup_id_z 0
		.amdhsa_system_sgpr_workgroup_info 0
		.amdhsa_system_vgpr_workitem_id 0
		.amdhsa_next_free_vgpr 44
		.amdhsa_next_free_sgpr 48
		.amdhsa_named_barrier_count 0
		.amdhsa_reserve_vcc 1
		.amdhsa_float_round_mode_32 0
		.amdhsa_float_round_mode_16_64 0
		.amdhsa_float_denorm_mode_32 3
		.amdhsa_float_denorm_mode_16_64 3
		.amdhsa_fp16_overflow 0
		.amdhsa_memory_ordered 1
		.amdhsa_forward_progress 1
		.amdhsa_inst_pref_size 17
		.amdhsa_round_robin_scheduling 0
		.amdhsa_exception_fp_ieee_invalid_op 0
		.amdhsa_exception_fp_denorm_src 0
		.amdhsa_exception_fp_ieee_div_zero 0
		.amdhsa_exception_fp_ieee_overflow 0
		.amdhsa_exception_fp_ieee_underflow 0
		.amdhsa_exception_fp_ieee_inexact 0
		.amdhsa_exception_int_div_zero 0
	.end_amdhsa_kernel
	.section	.text._ZN9rocsparseL44csr2gebsr_wavefront_per_row_multipass_kernelILi256ELi32ELi8ELi32E21rocsparse_complex_numIdEEEv20rocsparse_direction_iiiiii21rocsparse_index_base_PKT3_PKiS9_S4_PS5_PiSB_,"axG",@progbits,_ZN9rocsparseL44csr2gebsr_wavefront_per_row_multipass_kernelILi256ELi32ELi8ELi32E21rocsparse_complex_numIdEEEv20rocsparse_direction_iiiiii21rocsparse_index_base_PKT3_PKiS9_S4_PS5_PiSB_,comdat
.Lfunc_end219:
	.size	_ZN9rocsparseL44csr2gebsr_wavefront_per_row_multipass_kernelILi256ELi32ELi8ELi32E21rocsparse_complex_numIdEEEv20rocsparse_direction_iiiiii21rocsparse_index_base_PKT3_PKiS9_S4_PS5_PiSB_, .Lfunc_end219-_ZN9rocsparseL44csr2gebsr_wavefront_per_row_multipass_kernelILi256ELi32ELi8ELi32E21rocsparse_complex_numIdEEEv20rocsparse_direction_iiiiii21rocsparse_index_base_PKT3_PKiS9_S4_PS5_PiSB_
                                        ; -- End function
	.set _ZN9rocsparseL44csr2gebsr_wavefront_per_row_multipass_kernelILi256ELi32ELi8ELi32E21rocsparse_complex_numIdEEEv20rocsparse_direction_iiiiii21rocsparse_index_base_PKT3_PKiS9_S4_PS5_PiSB_.num_vgpr, 44
	.set _ZN9rocsparseL44csr2gebsr_wavefront_per_row_multipass_kernelILi256ELi32ELi8ELi32E21rocsparse_complex_numIdEEEv20rocsparse_direction_iiiiii21rocsparse_index_base_PKT3_PKiS9_S4_PS5_PiSB_.num_agpr, 0
	.set _ZN9rocsparseL44csr2gebsr_wavefront_per_row_multipass_kernelILi256ELi32ELi8ELi32E21rocsparse_complex_numIdEEEv20rocsparse_direction_iiiiii21rocsparse_index_base_PKT3_PKiS9_S4_PS5_PiSB_.numbered_sgpr, 48
	.set _ZN9rocsparseL44csr2gebsr_wavefront_per_row_multipass_kernelILi256ELi32ELi8ELi32E21rocsparse_complex_numIdEEEv20rocsparse_direction_iiiiii21rocsparse_index_base_PKT3_PKiS9_S4_PS5_PiSB_.num_named_barrier, 0
	.set _ZN9rocsparseL44csr2gebsr_wavefront_per_row_multipass_kernelILi256ELi32ELi8ELi32E21rocsparse_complex_numIdEEEv20rocsparse_direction_iiiiii21rocsparse_index_base_PKT3_PKiS9_S4_PS5_PiSB_.private_seg_size, 0
	.set _ZN9rocsparseL44csr2gebsr_wavefront_per_row_multipass_kernelILi256ELi32ELi8ELi32E21rocsparse_complex_numIdEEEv20rocsparse_direction_iiiiii21rocsparse_index_base_PKT3_PKiS9_S4_PS5_PiSB_.uses_vcc, 1
	.set _ZN9rocsparseL44csr2gebsr_wavefront_per_row_multipass_kernelILi256ELi32ELi8ELi32E21rocsparse_complex_numIdEEEv20rocsparse_direction_iiiiii21rocsparse_index_base_PKT3_PKiS9_S4_PS5_PiSB_.uses_flat_scratch, 0
	.set _ZN9rocsparseL44csr2gebsr_wavefront_per_row_multipass_kernelILi256ELi32ELi8ELi32E21rocsparse_complex_numIdEEEv20rocsparse_direction_iiiiii21rocsparse_index_base_PKT3_PKiS9_S4_PS5_PiSB_.has_dyn_sized_stack, 0
	.set _ZN9rocsparseL44csr2gebsr_wavefront_per_row_multipass_kernelILi256ELi32ELi8ELi32E21rocsparse_complex_numIdEEEv20rocsparse_direction_iiiiii21rocsparse_index_base_PKT3_PKiS9_S4_PS5_PiSB_.has_recursion, 0
	.set _ZN9rocsparseL44csr2gebsr_wavefront_per_row_multipass_kernelILi256ELi32ELi8ELi32E21rocsparse_complex_numIdEEEv20rocsparse_direction_iiiiii21rocsparse_index_base_PKT3_PKiS9_S4_PS5_PiSB_.has_indirect_call, 0
	.section	.AMDGPU.csdata,"",@progbits
; Kernel info:
; codeLenInByte = 2136
; TotalNumSgprs: 50
; NumVgprs: 44
; ScratchSize: 0
; MemoryBound: 0
; FloatMode: 240
; IeeeMode: 1
; LDSByteSize: 32776 bytes/workgroup (compile time only)
; SGPRBlocks: 0
; VGPRBlocks: 2
; NumSGPRsForWavesPerEU: 50
; NumVGPRsForWavesPerEU: 44
; NamedBarCnt: 0
; Occupancy: 16
; WaveLimiterHint : 0
; COMPUTE_PGM_RSRC2:SCRATCH_EN: 0
; COMPUTE_PGM_RSRC2:USER_SGPR: 2
; COMPUTE_PGM_RSRC2:TRAP_HANDLER: 0
; COMPUTE_PGM_RSRC2:TGID_X_EN: 1
; COMPUTE_PGM_RSRC2:TGID_Y_EN: 0
; COMPUTE_PGM_RSRC2:TGID_Z_EN: 0
; COMPUTE_PGM_RSRC2:TIDIG_COMP_CNT: 0
	.section	.text._ZN9rocsparseL40csr2gebsr_block_per_row_multipass_kernelILj256ELj32ELj16E21rocsparse_complex_numIdEEEv20rocsparse_direction_iiiiii21rocsparse_index_base_PKT2_PKiS9_S4_PS5_PiSB_,"axG",@progbits,_ZN9rocsparseL40csr2gebsr_block_per_row_multipass_kernelILj256ELj32ELj16E21rocsparse_complex_numIdEEEv20rocsparse_direction_iiiiii21rocsparse_index_base_PKT2_PKiS9_S4_PS5_PiSB_,comdat
	.globl	_ZN9rocsparseL40csr2gebsr_block_per_row_multipass_kernelILj256ELj32ELj16E21rocsparse_complex_numIdEEEv20rocsparse_direction_iiiiii21rocsparse_index_base_PKT2_PKiS9_S4_PS5_PiSB_ ; -- Begin function _ZN9rocsparseL40csr2gebsr_block_per_row_multipass_kernelILj256ELj32ELj16E21rocsparse_complex_numIdEEEv20rocsparse_direction_iiiiii21rocsparse_index_base_PKT2_PKiS9_S4_PS5_PiSB_
	.p2align	8
	.type	_ZN9rocsparseL40csr2gebsr_block_per_row_multipass_kernelILj256ELj32ELj16E21rocsparse_complex_numIdEEEv20rocsparse_direction_iiiiii21rocsparse_index_base_PKT2_PKiS9_S4_PS5_PiSB_,@function
_ZN9rocsparseL40csr2gebsr_block_per_row_multipass_kernelILj256ELj32ELj16E21rocsparse_complex_numIdEEEv20rocsparse_direction_iiiiii21rocsparse_index_base_PKT2_PKiS9_S4_PS5_PiSB_: ; @_ZN9rocsparseL40csr2gebsr_block_per_row_multipass_kernelILj256ELj32ELj16E21rocsparse_complex_numIdEEEv20rocsparse_direction_iiiiii21rocsparse_index_base_PKT2_PKiS9_S4_PS5_PiSB_
; %bb.0:
	s_clause 0x1
	s_load_b128 s[12:15], s[0:1], 0x10
	s_load_b64 s[8:9], s[0:1], 0x0
	s_bfe_u32 s2, ttmp6, 0x4000c
	s_and_b32 s3, ttmp6, 15
	s_add_co_i32 s2, s2, 1
	s_getreg_b32 s4, hwreg(HW_REG_IB_STS2, 6, 4)
	s_mul_i32 s2, ttmp9, s2
	v_dual_mov_b32 v18, 0 :: v_dual_lshrrev_b32 v1, 3, v0
	s_add_co_i32 s3, s3, s2
	s_cmp_eq_u32 s4, 0
	s_load_b64 s[6:7], s[0:1], 0x28
	s_cselect_b32 s4, ttmp9, s3
	v_mov_b32_e32 v28, 0
	s_wait_kmcnt 0x0
	v_mad_u32 v2, s13, s4, v1
	v_cmp_gt_i32_e32 vcc_lo, s13, v1
	s_delay_alu instid0(VALU_DEP_2) | instskip(SKIP_1) | instid1(SALU_CYCLE_1)
	v_cmp_gt_i32_e64 s2, s9, v2
	s_and_b32 s2, vcc_lo, s2
	s_and_saveexec_b32 s3, s2
	s_cbranch_execnz .LBB220_3
; %bb.1:
	s_or_b32 exec_lo, exec_lo, s3
	s_and_saveexec_b32 s3, s2
	s_cbranch_execnz .LBB220_4
.LBB220_2:
	s_or_b32 exec_lo, exec_lo, s3
	s_cmp_lt_i32 s12, 1
	s_cbranch_scc0 .LBB220_5
	s_branch .LBB220_37
.LBB220_3:
	global_load_b32 v3, v2, s[6:7] scale_offset
	s_wait_loadcnt 0x0
	v_subrev_nc_u32_e32 v28, s15, v3
	s_or_b32 exec_lo, exec_lo, s3
	s_and_saveexec_b32 s3, s2
	s_cbranch_execz .LBB220_2
.LBB220_4:
	global_load_b32 v2, v2, s[6:7] offset:4 scale_offset
	s_wait_loadcnt 0x0
	v_subrev_nc_u32_e32 v18, s15, v2
	s_or_b32 exec_lo, exec_lo, s3
	s_cmp_lt_i32 s12, 1
	s_cbranch_scc1 .LBB220_37
.LBB220_5:
	s_clause 0x3
	s_load_b128 s[16:19], s[0:1], 0x40
	s_load_b64 s[24:25], s[0:1], 0x50
	s_load_b96 s[20:22], s[0:1], 0x30
	s_load_b64 s[26:27], s[0:1], 0x20
	s_ashr_i32 s5, s4, 31
	v_mbcnt_lo_u32_b32 v3, -1, 0
	s_lshl_b64 s[2:3], s[4:5], 2
	v_dual_mov_b32 v5, 0 :: v_dual_lshlrev_b32 v4, 4, v1
	v_dual_lshlrev_b32 v20, 8, v1 :: v_dual_bitop2_b32 v19, 7, v0 bitop3:0x40
	s_delay_alu instid0(VALU_DEP_3) | instskip(SKIP_1) | instid1(VALU_DEP_4)
	v_xor_b32_e32 v8, 4, v3
	v_mul_lo_u32 v2, s14, v1
	v_dual_mov_b32 v7, v5 :: v_dual_bitop2_b32 v10, 2, v3 bitop3:0x14
	v_dual_mov_b32 v1, v5 :: v_dual_lshlrev_b32 v21, 2, v0
	s_wait_xcnt 0x0
	v_cmp_gt_u32_e64 s0, 0x80, v0
	v_cmp_gt_u32_e64 s1, 64, v0
	;; [unrolled: 1-line block ×3, first 2 shown]
	s_wait_kmcnt 0x0
	s_add_nc_u64 s[4:5], s[18:19], s[2:3]
	v_cmp_gt_u32_e64 s2, 32, v0
	s_load_b32 s10, s[4:5], 0x0
	v_cmp_gt_u32_e64 s3, 16, v0
	s_wait_xcnt 0x0
	v_cmp_gt_u32_e64 s4, 8, v0
	v_cmp_gt_u32_e64 s5, 4, v0
	v_cmp_eq_u32_e64 s7, 0, v0
	v_lshlrev_b32_e32 v0, 4, v19
	v_dual_mov_b32 v9, v5 :: v_dual_bitop2_b32 v11, 1, v3 bitop3:0x14
	v_mul_lo_u32 v6, v19, s13
	v_lshl_or_b32 v22, v3, 2, 28
	s_mov_b32 s28, s13
	v_cmp_gt_u32_e64 s9, s14, v19
	s_mov_b32 s29, 0
	v_mov_b32_e32 v16, 0
	s_mov_b32 s36, s29
	s_mov_b32 s37, s29
	;; [unrolled: 1-line block ×5, first 2 shown]
	v_mov_b32_e32 v29, 1
	s_wait_kmcnt 0x0
	s_sub_co_i32 s18, s10, s22
	s_cmp_eq_u32 s8, 0
	v_cmp_gt_i32_e64 s10, 32, v8
	s_cselect_b32 s8, -1, 0
	s_abs_i32 s11, s14
	v_or_b32_e32 v12, 8, v19
	s_cvt_f32_u32 s19, s11
	v_cndmask_b32_e64 v8, v3, v8, s10
	v_cmp_gt_i32_e64 s10, 32, v10
	v_or_b32_e32 v23, v20, v0
	v_rcp_iflag_f32_e32 v13, s19
	s_ashr_i32 s31, s14, 31
	v_cndmask_b32_e64 v10, v3, v10, s10
	v_cmp_gt_i32_e64 s10, 32, v11
	v_lshlrev_b32_e32 v24, 2, v8
	v_lshl_add_u32 v8, s13, 3, v6
	s_delay_alu instid0(TRANS32_DEP_1) | instskip(NEXT) | instid1(VALU_DEP_4)
	v_readfirstlane_b32 s19, v13
	v_dual_lshlrev_b32 v25, 2, v10 :: v_dual_cndmask_b32 v11, v3, v11, s10
	v_ashrrev_i32_e32 v3, 31, v2
	v_cmp_gt_u32_e64 s10, s14, v12
	s_mul_f32 s13, s19, 0x4f7ffffe
	v_or_b32_e32 v27, 0x80, v23
	v_lshlrev_b32_e32 v26, 2, v11
	v_lshl_add_u64 v[2:3], v[2:3], 4, s[16:17]
	s_cvt_u32_f32 s19, s13
	s_and_b32 s13, vcc_lo, s9
	s_sub_co_i32 s9, 0, s11
	v_add_nc_u64_e32 v[10:11], s[16:17], v[4:5]
	v_add_nc_u64_e32 v[12:13], v[2:3], v[0:1]
	v_mov_b64_e32 v[0:1], s[36:37]
	v_mov_b64_e32 v[2:3], s[38:39]
	s_mul_i32 s9, s9, s19
	s_mul_u64 s[16:17], s[30:31], s[28:29]
	s_mul_hi_u32 s9, s19, s9
	s_and_b32 s10, vcc_lo, s10
	s_add_co_i32 s28, s19, s9
	s_branch .LBB220_7
.LBB220_6:                              ;   in Loop: Header=BB220_7 Depth=1
	s_or_b32 exec_lo, exec_lo, s19
	s_wait_dscnt 0x0
	s_barrier_signal -1
	s_barrier_wait -1
	ds_load_b32 v16, v5
	s_add_co_i32 s18, s9, s18
	s_wait_dscnt 0x0
	s_barrier_signal -1
	s_barrier_wait -1
	v_cmp_gt_i32_e32 vcc_lo, s12, v16
	s_cbranch_vccz .LBB220_37
.LBB220_7:                              ; =>This Loop Header: Depth=1
                                        ;     Child Loop BB220_10 Depth 2
	v_dual_add_nc_u32 v14, v28, v19 :: v_dual_mov_b32 v30, s12
	v_mov_b32_e32 v15, v18
	s_mov_b32 s19, exec_lo
	ds_store_b8 v5, v5 offset:8192
	ds_store_b128 v23, v[0:3]
	ds_store_b128 v23, v[0:3] offset:128
	s_wait_dscnt 0x0
	s_barrier_signal -1
	s_barrier_wait -1
	v_cmpx_lt_i32_e64 v14, v18
	s_cbranch_execz .LBB220_15
; %bb.8:                                ;   in Loop: Header=BB220_7 Depth=1
	v_mul_lo_u32 v17, v16, s14
	v_dual_mov_b32 v30, s12 :: v_dual_mov_b32 v15, v18
	s_mov_b32 s23, 0
	s_branch .LBB220_10
.LBB220_9:                              ;   in Loop: Header=BB220_10 Depth=2
	s_wait_xcnt 0x0
	s_or_b32 exec_lo, exec_lo, s9
	v_add_nc_u32_e32 v14, 8, v14
	s_xor_b32 s30, vcc_lo, -1
	s_delay_alu instid0(VALU_DEP_1) | instskip(SKIP_1) | instid1(SALU_CYCLE_1)
	v_cmp_ge_i32_e64 s9, v14, v18
	s_or_b32 s9, s30, s9
	s_and_b32 s9, exec_lo, s9
	s_delay_alu instid0(SALU_CYCLE_1) | instskip(NEXT) | instid1(SALU_CYCLE_1)
	s_or_b32 s23, s9, s23
	s_and_not1_b32 exec_lo, exec_lo, s23
	s_cbranch_execz .LBB220_14
.LBB220_10:                             ;   Parent Loop BB220_7 Depth=1
                                        ; =>  This Inner Loop Header: Depth=2
	global_load_b32 v4, v14, s[20:21] scale_offset
	s_wait_loadcnt 0x0
	v_subrev_nc_u32_e32 v28, s15, v4
	s_delay_alu instid0(VALU_DEP_1) | instskip(NEXT) | instid1(VALU_DEP_1)
	v_sub_nc_u32_e32 v4, 0, v28
	v_max_i32_e32 v4, v28, v4
	s_delay_alu instid0(VALU_DEP_1) | instskip(NEXT) | instid1(VALU_DEP_1)
	v_mul_u64_e32 v[32:33], s[28:29], v[4:5]
	v_mul_lo_u32 v31, v33, s11
	s_delay_alu instid0(VALU_DEP_1) | instskip(NEXT) | instid1(VALU_DEP_1)
	v_dual_sub_nc_u32 v4, v4, v31 :: v_dual_add_nc_u32 v31, 1, v33
	v_cmp_le_u32_e32 vcc_lo, s11, v4
	s_delay_alu instid0(VALU_DEP_2) | instskip(SKIP_1) | instid1(VALU_DEP_1)
	v_dual_cndmask_b32 v31, v33, v31, vcc_lo :: v_dual_ashrrev_i32 v33, 31, v28
	v_subrev_nc_u32_e32 v32, s11, v4
	v_dual_cndmask_b32 v4, v4, v32, vcc_lo :: v_dual_add_nc_u32 v32, 1, v31
	s_delay_alu instid0(VALU_DEP_1) | instskip(NEXT) | instid1(VALU_DEP_2)
	v_cmp_le_u32_e32 vcc_lo, s11, v4
	v_dual_cndmask_b32 v4, v31, v32, vcc_lo :: v_dual_bitop2_b32 v33, s31, v33 bitop3:0x14
	s_delay_alu instid0(VALU_DEP_1) | instskip(NEXT) | instid1(VALU_DEP_1)
	v_xor_b32_e32 v4, v4, v33
	v_dual_mov_b32 v4, v15 :: v_dual_sub_nc_u32 v31, v4, v33
	s_delay_alu instid0(VALU_DEP_1) | instskip(SKIP_3) | instid1(SALU_CYCLE_1)
	v_cmp_ne_u32_e64 s9, v31, v16
	v_cmp_eq_u32_e32 vcc_lo, v31, v16
	s_wait_xcnt 0x0
	s_and_saveexec_b32 s30, s9
	s_xor_b32 s9, exec_lo, s30
; %bb.11:                               ;   in Loop: Header=BB220_10 Depth=2
	v_min_i32_e32 v30, v31, v30
                                        ; implicit-def: $vgpr28
                                        ; implicit-def: $vgpr4
; %bb.12:                               ;   in Loop: Header=BB220_10 Depth=2
	s_or_saveexec_b32 s9, s9
	v_mov_b32_e32 v15, v14
	s_xor_b32 exec_lo, exec_lo, s9
	s_cbranch_execz .LBB220_9
; %bb.13:                               ;   in Loop: Header=BB220_10 Depth=2
	v_ashrrev_i32_e32 v15, 31, v14
	s_delay_alu instid0(VALU_DEP_1)
	v_lshl_add_u64 v[32:33], v[14:15], 4, s[26:27]
	v_sub_nc_u32_e32 v15, v28, v17
	global_load_b128 v[32:35], v[32:33], off
	v_lshl_add_u32 v28, v15, 4, v20
	v_mov_b32_e32 v15, v4
	ds_store_b8 v5, v29 offset:8192
	s_wait_loadcnt 0x0
	ds_store_2addr_b64 v28, v[32:33], v[34:35] offset1:1
	s_branch .LBB220_9
.LBB220_14:                             ;   in Loop: Header=BB220_7 Depth=1
	s_or_b32 exec_lo, exec_lo, s23
.LBB220_15:                             ;   in Loop: Header=BB220_7 Depth=1
	s_delay_alu instid0(SALU_CYCLE_1)
	s_or_b32 exec_lo, exec_lo, s19
	ds_bpermute_b32 v4, v24, v15
	s_wait_dscnt 0x0
	s_barrier_signal -1
	s_barrier_wait -1
	s_mov_b32 s9, 0
	v_min_i32_e32 v4, v4, v15
	ds_load_u8 v15, v5 offset:8192
	ds_bpermute_b32 v14, v25, v4
	s_wait_dscnt 0x0
	v_min_i32_e32 v4, v14, v4
	ds_bpermute_b32 v14, v26, v4
	s_wait_dscnt 0x0
	v_min_i32_e32 v4, v14, v4
	ds_bpermute_b32 v28, v22, v4
	v_and_b32_e32 v4, 1, v15
	s_delay_alu instid0(VALU_DEP_1)
	v_cmp_eq_u32_e32 vcc_lo, 0, v4
	s_cbranch_vccnz .LBB220_21
; %bb.16:                               ;   in Loop: Header=BB220_7 Depth=1
	s_ashr_i32 s19, s18, 31
	v_dual_mov_b32 v31, s18 :: v_dual_add_nc_u32 v4, s22, v16
	s_mul_u64 s[34:35], s[16:17], s[18:19]
	s_delay_alu instid0(SALU_CYCLE_1) | instskip(NEXT) | instid1(SALU_CYCLE_1)
	s_lshl_b64 s[34:35], s[34:35], 4
	v_add_nc_u64_e32 v[14:15], s[34:35], v[10:11]
	v_add_nc_u64_e32 v[16:17], s[34:35], v[12:13]
	global_store_b32 v31, v4, s[24:25] scale_offset
	s_wait_xcnt 0x0
	s_and_saveexec_b32 s9, s13
	s_cbranch_execz .LBB220_18
; %bb.17:                               ;   in Loop: Header=BB220_7 Depth=1
	ds_load_2addr_b64 v[32:35], v23 offset1:1
	v_lshl_add_u64 v[36:37], v[6:7], 4, v[14:15]
	s_delay_alu instid0(VALU_DEP_1)
	v_dual_cndmask_b32 v37, v37, v17, s8 :: v_dual_cndmask_b32 v36, v36, v16, s8
	s_wait_dscnt 0x0
	global_store_b128 v[36:37], v[32:35], off
.LBB220_18:                             ;   in Loop: Header=BB220_7 Depth=1
	s_wait_xcnt 0x0
	s_or_b32 exec_lo, exec_lo, s9
	s_and_saveexec_b32 s9, s10
	s_cbranch_execz .LBB220_20
; %bb.19:                               ;   in Loop: Header=BB220_7 Depth=1
	ds_load_2addr_b64 v[32:35], v27 offset1:1
	v_add_nc_u64_e32 v[16:17], 0x80, v[16:17]
	v_lshl_add_u64 v[14:15], v[8:9], 4, v[14:15]
	s_delay_alu instid0(VALU_DEP_1)
	v_dual_cndmask_b32 v15, v15, v17, s8 :: v_dual_cndmask_b32 v14, v14, v16, s8
	s_wait_dscnt 0x0
	global_store_b128 v[14:15], v[32:35], off
.LBB220_20:                             ;   in Loop: Header=BB220_7 Depth=1
	s_wait_xcnt 0x0
	s_or_b32 exec_lo, exec_lo, s9
	s_mov_b32 s9, 1
.LBB220_21:                             ;   in Loop: Header=BB220_7 Depth=1
	s_wait_storecnt_dscnt 0x0
	s_barrier_signal -1
	s_barrier_wait -1
	ds_store_b32 v21, v30
	s_wait_dscnt 0x0
	s_barrier_signal -1
	s_barrier_wait -1
	s_and_saveexec_b32 s19, s0
	s_cbranch_execz .LBB220_23
; %bb.22:                               ;   in Loop: Header=BB220_7 Depth=1
	ds_load_2addr_stride64_b32 v[14:15], v21 offset1:2
	s_wait_dscnt 0x0
	v_min_i32_e32 v4, v15, v14
	ds_store_b32 v21, v4
.LBB220_23:                             ;   in Loop: Header=BB220_7 Depth=1
	s_or_b32 exec_lo, exec_lo, s19
	s_wait_dscnt 0x0
	s_barrier_signal -1
	s_barrier_wait -1
	s_and_saveexec_b32 s19, s1
	s_cbranch_execz .LBB220_25
; %bb.24:                               ;   in Loop: Header=BB220_7 Depth=1
	ds_load_2addr_stride64_b32 v[14:15], v21 offset1:1
	s_wait_dscnt 0x0
	v_min_i32_e32 v4, v15, v14
	ds_store_b32 v21, v4
.LBB220_25:                             ;   in Loop: Header=BB220_7 Depth=1
	s_or_b32 exec_lo, exec_lo, s19
	s_wait_dscnt 0x0
	s_barrier_signal -1
	s_barrier_wait -1
	s_and_saveexec_b32 s19, s2
	s_cbranch_execz .LBB220_27
; %bb.26:                               ;   in Loop: Header=BB220_7 Depth=1
	ds_load_2addr_b32 v[14:15], v21 offset1:32
	s_wait_dscnt 0x0
	v_min_i32_e32 v4, v15, v14
	ds_store_b32 v21, v4
.LBB220_27:                             ;   in Loop: Header=BB220_7 Depth=1
	s_or_b32 exec_lo, exec_lo, s19
	s_wait_dscnt 0x0
	s_barrier_signal -1
	s_barrier_wait -1
	s_and_saveexec_b32 s19, s3
	s_cbranch_execz .LBB220_29
; %bb.28:                               ;   in Loop: Header=BB220_7 Depth=1
	ds_load_2addr_b32 v[14:15], v21 offset1:16
	s_wait_dscnt 0x0
	v_min_i32_e32 v4, v15, v14
	ds_store_b32 v21, v4
.LBB220_29:                             ;   in Loop: Header=BB220_7 Depth=1
	s_or_b32 exec_lo, exec_lo, s19
	s_wait_dscnt 0x0
	s_barrier_signal -1
	s_barrier_wait -1
	s_and_saveexec_b32 s19, s4
	s_cbranch_execz .LBB220_31
; %bb.30:                               ;   in Loop: Header=BB220_7 Depth=1
	ds_load_2addr_b32 v[14:15], v21 offset1:8
	s_wait_dscnt 0x0
	v_min_i32_e32 v4, v15, v14
	ds_store_b32 v21, v4
.LBB220_31:                             ;   in Loop: Header=BB220_7 Depth=1
	s_or_b32 exec_lo, exec_lo, s19
	s_wait_dscnt 0x0
	s_barrier_signal -1
	s_barrier_wait -1
	s_and_saveexec_b32 s19, s5
	s_cbranch_execz .LBB220_33
; %bb.32:                               ;   in Loop: Header=BB220_7 Depth=1
	ds_load_2addr_b32 v[14:15], v21 offset1:4
	s_wait_dscnt 0x0
	v_min_i32_e32 v4, v15, v14
	ds_store_b32 v21, v4
.LBB220_33:                             ;   in Loop: Header=BB220_7 Depth=1
	s_or_b32 exec_lo, exec_lo, s19
	s_wait_dscnt 0x0
	s_barrier_signal -1
	s_barrier_wait -1
	s_and_saveexec_b32 s19, s6
	s_cbranch_execz .LBB220_35
; %bb.34:                               ;   in Loop: Header=BB220_7 Depth=1
	ds_load_2addr_b32 v[14:15], v21 offset1:2
	s_wait_dscnt 0x0
	v_min_i32_e32 v4, v15, v14
	ds_store_b32 v21, v4
.LBB220_35:                             ;   in Loop: Header=BB220_7 Depth=1
	s_or_b32 exec_lo, exec_lo, s19
	s_wait_dscnt 0x0
	s_barrier_signal -1
	s_barrier_wait -1
	s_and_saveexec_b32 s19, s7
	s_cbranch_execz .LBB220_6
; %bb.36:                               ;   in Loop: Header=BB220_7 Depth=1
	ds_load_b64 v[14:15], v5
	s_wait_dscnt 0x0
	v_min_i32_e32 v4, v15, v14
	ds_store_b32 v5, v4
	s_branch .LBB220_6
.LBB220_37:
	s_endpgm
	.section	.rodata,"a",@progbits
	.p2align	6, 0x0
	.amdhsa_kernel _ZN9rocsparseL40csr2gebsr_block_per_row_multipass_kernelILj256ELj32ELj16E21rocsparse_complex_numIdEEEv20rocsparse_direction_iiiiii21rocsparse_index_base_PKT2_PKiS9_S4_PS5_PiSB_
		.amdhsa_group_segment_fixed_size 8200
		.amdhsa_private_segment_fixed_size 0
		.amdhsa_kernarg_size 88
		.amdhsa_user_sgpr_count 2
		.amdhsa_user_sgpr_dispatch_ptr 0
		.amdhsa_user_sgpr_queue_ptr 0
		.amdhsa_user_sgpr_kernarg_segment_ptr 1
		.amdhsa_user_sgpr_dispatch_id 0
		.amdhsa_user_sgpr_kernarg_preload_length 0
		.amdhsa_user_sgpr_kernarg_preload_offset 0
		.amdhsa_user_sgpr_private_segment_size 0
		.amdhsa_wavefront_size32 1
		.amdhsa_uses_dynamic_stack 0
		.amdhsa_enable_private_segment 0
		.amdhsa_system_sgpr_workgroup_id_x 1
		.amdhsa_system_sgpr_workgroup_id_y 0
		.amdhsa_system_sgpr_workgroup_id_z 0
		.amdhsa_system_sgpr_workgroup_info 0
		.amdhsa_system_vgpr_workitem_id 0
		.amdhsa_next_free_vgpr 38
		.amdhsa_next_free_sgpr 40
		.amdhsa_named_barrier_count 0
		.amdhsa_reserve_vcc 1
		.amdhsa_float_round_mode_32 0
		.amdhsa_float_round_mode_16_64 0
		.amdhsa_float_denorm_mode_32 3
		.amdhsa_float_denorm_mode_16_64 3
		.amdhsa_fp16_overflow 0
		.amdhsa_memory_ordered 1
		.amdhsa_forward_progress 1
		.amdhsa_inst_pref_size 15
		.amdhsa_round_robin_scheduling 0
		.amdhsa_exception_fp_ieee_invalid_op 0
		.amdhsa_exception_fp_denorm_src 0
		.amdhsa_exception_fp_ieee_div_zero 0
		.amdhsa_exception_fp_ieee_overflow 0
		.amdhsa_exception_fp_ieee_underflow 0
		.amdhsa_exception_fp_ieee_inexact 0
		.amdhsa_exception_int_div_zero 0
	.end_amdhsa_kernel
	.section	.text._ZN9rocsparseL40csr2gebsr_block_per_row_multipass_kernelILj256ELj32ELj16E21rocsparse_complex_numIdEEEv20rocsparse_direction_iiiiii21rocsparse_index_base_PKT2_PKiS9_S4_PS5_PiSB_,"axG",@progbits,_ZN9rocsparseL40csr2gebsr_block_per_row_multipass_kernelILj256ELj32ELj16E21rocsparse_complex_numIdEEEv20rocsparse_direction_iiiiii21rocsparse_index_base_PKT2_PKiS9_S4_PS5_PiSB_,comdat
.Lfunc_end220:
	.size	_ZN9rocsparseL40csr2gebsr_block_per_row_multipass_kernelILj256ELj32ELj16E21rocsparse_complex_numIdEEEv20rocsparse_direction_iiiiii21rocsparse_index_base_PKT2_PKiS9_S4_PS5_PiSB_, .Lfunc_end220-_ZN9rocsparseL40csr2gebsr_block_per_row_multipass_kernelILj256ELj32ELj16E21rocsparse_complex_numIdEEEv20rocsparse_direction_iiiiii21rocsparse_index_base_PKT2_PKiS9_S4_PS5_PiSB_
                                        ; -- End function
	.set _ZN9rocsparseL40csr2gebsr_block_per_row_multipass_kernelILj256ELj32ELj16E21rocsparse_complex_numIdEEEv20rocsparse_direction_iiiiii21rocsparse_index_base_PKT2_PKiS9_S4_PS5_PiSB_.num_vgpr, 38
	.set _ZN9rocsparseL40csr2gebsr_block_per_row_multipass_kernelILj256ELj32ELj16E21rocsparse_complex_numIdEEEv20rocsparse_direction_iiiiii21rocsparse_index_base_PKT2_PKiS9_S4_PS5_PiSB_.num_agpr, 0
	.set _ZN9rocsparseL40csr2gebsr_block_per_row_multipass_kernelILj256ELj32ELj16E21rocsparse_complex_numIdEEEv20rocsparse_direction_iiiiii21rocsparse_index_base_PKT2_PKiS9_S4_PS5_PiSB_.numbered_sgpr, 40
	.set _ZN9rocsparseL40csr2gebsr_block_per_row_multipass_kernelILj256ELj32ELj16E21rocsparse_complex_numIdEEEv20rocsparse_direction_iiiiii21rocsparse_index_base_PKT2_PKiS9_S4_PS5_PiSB_.num_named_barrier, 0
	.set _ZN9rocsparseL40csr2gebsr_block_per_row_multipass_kernelILj256ELj32ELj16E21rocsparse_complex_numIdEEEv20rocsparse_direction_iiiiii21rocsparse_index_base_PKT2_PKiS9_S4_PS5_PiSB_.private_seg_size, 0
	.set _ZN9rocsparseL40csr2gebsr_block_per_row_multipass_kernelILj256ELj32ELj16E21rocsparse_complex_numIdEEEv20rocsparse_direction_iiiiii21rocsparse_index_base_PKT2_PKiS9_S4_PS5_PiSB_.uses_vcc, 1
	.set _ZN9rocsparseL40csr2gebsr_block_per_row_multipass_kernelILj256ELj32ELj16E21rocsparse_complex_numIdEEEv20rocsparse_direction_iiiiii21rocsparse_index_base_PKT2_PKiS9_S4_PS5_PiSB_.uses_flat_scratch, 0
	.set _ZN9rocsparseL40csr2gebsr_block_per_row_multipass_kernelILj256ELj32ELj16E21rocsparse_complex_numIdEEEv20rocsparse_direction_iiiiii21rocsparse_index_base_PKT2_PKiS9_S4_PS5_PiSB_.has_dyn_sized_stack, 0
	.set _ZN9rocsparseL40csr2gebsr_block_per_row_multipass_kernelILj256ELj32ELj16E21rocsparse_complex_numIdEEEv20rocsparse_direction_iiiiii21rocsparse_index_base_PKT2_PKiS9_S4_PS5_PiSB_.has_recursion, 0
	.set _ZN9rocsparseL40csr2gebsr_block_per_row_multipass_kernelILj256ELj32ELj16E21rocsparse_complex_numIdEEEv20rocsparse_direction_iiiiii21rocsparse_index_base_PKT2_PKiS9_S4_PS5_PiSB_.has_indirect_call, 0
	.section	.AMDGPU.csdata,"",@progbits
; Kernel info:
; codeLenInByte = 1836
; TotalNumSgprs: 42
; NumVgprs: 38
; ScratchSize: 0
; MemoryBound: 0
; FloatMode: 240
; IeeeMode: 1
; LDSByteSize: 8200 bytes/workgroup (compile time only)
; SGPRBlocks: 0
; VGPRBlocks: 2
; NumSGPRsForWavesPerEU: 42
; NumVGPRsForWavesPerEU: 38
; NamedBarCnt: 0
; Occupancy: 16
; WaveLimiterHint : 0
; COMPUTE_PGM_RSRC2:SCRATCH_EN: 0
; COMPUTE_PGM_RSRC2:USER_SGPR: 2
; COMPUTE_PGM_RSRC2:TRAP_HANDLER: 0
; COMPUTE_PGM_RSRC2:TGID_X_EN: 1
; COMPUTE_PGM_RSRC2:TGID_Y_EN: 0
; COMPUTE_PGM_RSRC2:TGID_Z_EN: 0
; COMPUTE_PGM_RSRC2:TIDIG_COMP_CNT: 0
	.section	.text._ZN9rocsparseL40csr2gebsr_block_per_row_multipass_kernelILj256ELj32ELj32E21rocsparse_complex_numIdEEEv20rocsparse_direction_iiiiii21rocsparse_index_base_PKT2_PKiS9_S4_PS5_PiSB_,"axG",@progbits,_ZN9rocsparseL40csr2gebsr_block_per_row_multipass_kernelILj256ELj32ELj32E21rocsparse_complex_numIdEEEv20rocsparse_direction_iiiiii21rocsparse_index_base_PKT2_PKiS9_S4_PS5_PiSB_,comdat
	.globl	_ZN9rocsparseL40csr2gebsr_block_per_row_multipass_kernelILj256ELj32ELj32E21rocsparse_complex_numIdEEEv20rocsparse_direction_iiiiii21rocsparse_index_base_PKT2_PKiS9_S4_PS5_PiSB_ ; -- Begin function _ZN9rocsparseL40csr2gebsr_block_per_row_multipass_kernelILj256ELj32ELj32E21rocsparse_complex_numIdEEEv20rocsparse_direction_iiiiii21rocsparse_index_base_PKT2_PKiS9_S4_PS5_PiSB_
	.p2align	8
	.type	_ZN9rocsparseL40csr2gebsr_block_per_row_multipass_kernelILj256ELj32ELj32E21rocsparse_complex_numIdEEEv20rocsparse_direction_iiiiii21rocsparse_index_base_PKT2_PKiS9_S4_PS5_PiSB_,@function
_ZN9rocsparseL40csr2gebsr_block_per_row_multipass_kernelILj256ELj32ELj32E21rocsparse_complex_numIdEEEv20rocsparse_direction_iiiiii21rocsparse_index_base_PKT2_PKiS9_S4_PS5_PiSB_: ; @_ZN9rocsparseL40csr2gebsr_block_per_row_multipass_kernelILj256ELj32ELj32E21rocsparse_complex_numIdEEEv20rocsparse_direction_iiiiii21rocsparse_index_base_PKT2_PKiS9_S4_PS5_PiSB_
; %bb.0:
	s_clause 0x1
	s_load_b128 s[12:15], s[0:1], 0x10
	s_load_b64 s[6:7], s[0:1], 0x0
	s_bfe_u32 s2, ttmp6, 0x4000c
	s_and_b32 s3, ttmp6, 15
	s_add_co_i32 s2, s2, 1
	s_getreg_b32 s4, hwreg(HW_REG_IB_STS2, 6, 4)
	s_mul_i32 s2, ttmp9, s2
	v_dual_mov_b32 v22, 0 :: v_dual_lshrrev_b32 v1, 3, v0
	s_add_co_i32 s3, s3, s2
	s_cmp_eq_u32 s4, 0
	s_load_b64 s[8:9], s[0:1], 0x28
	s_cselect_b32 s4, ttmp9, s3
	v_mov_b32_e32 v34, 0
	s_wait_kmcnt 0x0
	v_mad_u32 v2, s13, s4, v1
	v_cmp_gt_i32_e32 vcc_lo, s13, v1
	s_delay_alu instid0(VALU_DEP_2) | instskip(SKIP_1) | instid1(SALU_CYCLE_1)
	v_cmp_gt_i32_e64 s2, s7, v2
	s_and_b32 s2, vcc_lo, s2
	s_and_saveexec_b32 s3, s2
	s_cbranch_execnz .LBB221_3
; %bb.1:
	s_or_b32 exec_lo, exec_lo, s3
	s_and_saveexec_b32 s3, s2
	s_cbranch_execnz .LBB221_4
.LBB221_2:
	s_or_b32 exec_lo, exec_lo, s3
	s_cmp_lt_i32 s12, 1
	s_cbranch_scc0 .LBB221_5
	s_branch .LBB221_41
.LBB221_3:
	global_load_b32 v3, v2, s[8:9] scale_offset
	s_wait_loadcnt 0x0
	v_subrev_nc_u32_e32 v34, s15, v3
	s_or_b32 exec_lo, exec_lo, s3
	s_and_saveexec_b32 s3, s2
	s_cbranch_execz .LBB221_2
.LBB221_4:
	global_load_b32 v2, v2, s[8:9] offset:4 scale_offset
	s_wait_loadcnt 0x0
	v_subrev_nc_u32_e32 v22, s15, v2
	s_or_b32 exec_lo, exec_lo, s3
	s_cmp_lt_i32 s12, 1
	s_cbranch_scc1 .LBB221_41
.LBB221_5:
	s_clause 0x3
	s_load_b128 s[8:11], s[0:1], 0x40
	s_load_b64 s[20:21], s[0:1], 0x50
	s_load_b96 s[16:18], s[0:1], 0x30
	s_load_b64 s[22:23], s[0:1], 0x20
	s_ashr_i32 s5, s4, 31
	v_mbcnt_lo_u32_b32 v3, -1, 0
	s_lshl_b64 s[4:5], s[4:5], 2
	v_dual_lshlrev_b32 v24, 9, v1 :: v_dual_bitop2_b32 v23, 7, v0 bitop3:0x40
	v_dual_mov_b32 v5, 0 :: v_dual_lshlrev_b32 v4, 4, v1
	v_mul_lo_u32 v2, s14, v1
	v_dual_lshlrev_b32 v25, 2, v0 :: v_dual_bitop2_b32 v1, 4, v3 bitop3:0x14
	s_delay_alu instid0(VALU_DEP_3)
	v_dual_mov_b32 v9, v5 :: v_dual_lshlrev_b32 v8, 4, v23
	v_mul_lo_u32 v10, v23, s13
	v_lshl_or_b32 v26, v3, 2, 28
	s_wait_xcnt 0x0
	v_cmp_gt_u32_e64 s0, 0x80, v0
	v_cmp_gt_u32_e64 s1, 64, v0
	s_wait_kmcnt 0x0
	s_add_nc_u64 s[4:5], s[10:11], s[4:5]
	v_cmp_gt_u32_e64 s2, 32, v0
	s_load_b32 s7, s[4:5], 0x0
	s_wait_xcnt 0x0
	v_cmp_gt_i32_e64 s5, 32, v1
	v_xor_b32_e32 v6, 2, v3
	v_cmp_gt_u32_e64 s3, 16, v0
	v_cmp_gt_u32_e64 s4, 8, v0
	s_mov_b32 s25, 0
	v_cndmask_b32_e64 v1, v3, v1, s5
	v_cmp_gt_i32_e64 s5, 32, v6
	v_xor_b32_e32 v7, 1, v3
	v_or_b32_e32 v27, v24, v8
	s_mov_b32 s24, s13
	v_dual_lshlrev_b32 v28, 2, v1 :: v_dual_cndmask_b32 v6, v3, v6, s5
	s_delay_alu instid0(VALU_DEP_3)
	v_cmp_gt_i32_e64 s5, 32, v7
	s_mov_b32 s26, s14
	v_mov_b32_e32 v13, v5
	s_mov_b32 s36, s25
	s_mov_b32 s37, s25
	v_dual_cndmask_b32 v7, v3, v7, s5 :: v_dual_ashrrev_i32 v3, 31, v2
	s_wait_kmcnt 0x0
	s_sub_co_i32 s10, s7, s18
	s_cmp_eq_u32 s6, 0
	s_delay_alu instid0(VALU_DEP_1)
	v_dual_lshlrev_b32 v29, 2, v6 :: v_dual_lshlrev_b32 v30, 2, v7
	s_cselect_b32 s5, -1, 0
	s_abs_i32 s19, s14
	v_lshl_add_u64 v[2:3], v[2:3], 4, s[8:9]
	s_cvt_f32_u32 s11, s19
	v_add_nc_u64_e32 v[6:7], s[8:9], v[4:5]
	v_cmp_gt_u32_e64 s6, 4, v0
	v_cmp_gt_u32_e64 s7, 2, v0
	v_rcp_iflag_f32_e32 v1, s11
	v_cmp_eq_u32_e64 s8, 0, v0
	v_cmp_gt_u32_e64 s9, s14, v23
	v_dual_mov_b32 v11, v5 :: v_dual_bitop2_b32 v0, 8, v23 bitop3:0x54
	s_ashr_i32 s27, s14, 31
	s_lshl_b32 s11, s13, 3
	s_mul_u64 s[28:29], s[26:27], s[24:25]
	s_and_b32 s26, vcc_lo, s9
	v_cmp_gt_u32_e64 s9, s14, v0
	v_dual_add_nc_u32 v12, s11, v10 :: v_dual_bitop2_b32 v0, 16, v23 bitop3:0x54
	v_readfirstlane_b32 s24, v1
	v_mov_b32_e32 v15, v5
	s_and_b32 s13, vcc_lo, s9
	v_cmp_gt_u32_e64 s9, s14, v0
	v_add_nc_u32_e32 v14, s11, v12
	s_mul_f32 s24, s24, 0x4f7ffffe
	v_or_b32_e32 v0, 24, v23
	s_mov_b32 s38, s25
	s_mov_b32 s39, s25
	v_dual_mov_b32 v17, v5 :: v_dual_add_nc_u32 v16, s11, v14
	s_cvt_u32_f32 s11, s24
	v_add_nc_u64_e32 v[8:9], v[2:3], v[8:9]
	s_and_b32 s30, vcc_lo, s9
	v_cmp_gt_u32_e64 s9, s14, v0
	s_sub_co_i32 s24, 0, s19
	v_mov_b64_e32 v[0:1], s[36:37]
	v_mov_b64_e32 v[2:3], s[38:39]
	s_mul_i32 s24, s24, s11
	v_or_b32_e32 v31, 0x80, v27
	v_or_b32_e32 v32, 0x100, v27
	;; [unrolled: 1-line block ×3, first 2 shown]
	v_dual_mov_b32 v35, 1 :: v_dual_mov_b32 v20, 0
	s_mul_hi_u32 s24, s11, s24
	s_and_b32 s31, vcc_lo, s9
	s_add_co_i32 s24, s11, s24
	s_branch .LBB221_7
.LBB221_6:                              ;   in Loop: Header=BB221_7 Depth=1
	s_or_b32 exec_lo, exec_lo, s11
	s_wait_dscnt 0x0
	s_barrier_signal -1
	s_barrier_wait -1
	ds_load_b32 v20, v5
	s_add_co_i32 s10, s9, s10
	s_wait_dscnt 0x0
	s_barrier_signal -1
	s_barrier_wait -1
	v_cmp_gt_i32_e32 vcc_lo, s12, v20
	s_cbranch_vccz .LBB221_41
.LBB221_7:                              ; =>This Loop Header: Depth=1
                                        ;     Child Loop BB221_10 Depth 2
	v_dual_add_nc_u32 v18, v34, v23 :: v_dual_mov_b32 v36, s12
	v_mov_b32_e32 v19, v22
	s_mov_b32 s11, exec_lo
	ds_store_b8 v5, v5 offset:16384
	ds_store_b128 v27, v[0:3]
	ds_store_b128 v27, v[0:3] offset:128
	ds_store_b128 v27, v[0:3] offset:256
	;; [unrolled: 1-line block ×3, first 2 shown]
	s_wait_dscnt 0x0
	s_barrier_signal -1
	s_barrier_wait -1
	v_cmpx_lt_i32_e64 v18, v22
	s_cbranch_execz .LBB221_15
; %bb.8:                                ;   in Loop: Header=BB221_7 Depth=1
	v_mul_lo_u32 v21, v20, s14
	v_dual_mov_b32 v36, s12 :: v_dual_mov_b32 v19, v22
	s_mov_b32 s33, 0
	s_branch .LBB221_10
.LBB221_9:                              ;   in Loop: Header=BB221_10 Depth=2
	s_wait_xcnt 0x0
	s_or_b32 exec_lo, exec_lo, s9
	v_add_nc_u32_e32 v18, 8, v18
	s_xor_b32 s34, vcc_lo, -1
	s_delay_alu instid0(VALU_DEP_1) | instskip(SKIP_1) | instid1(SALU_CYCLE_1)
	v_cmp_ge_i32_e64 s9, v18, v22
	s_or_b32 s9, s34, s9
	s_and_b32 s9, exec_lo, s9
	s_delay_alu instid0(SALU_CYCLE_1) | instskip(NEXT) | instid1(SALU_CYCLE_1)
	s_or_b32 s33, s9, s33
	s_and_not1_b32 exec_lo, exec_lo, s33
	s_cbranch_execz .LBB221_14
.LBB221_10:                             ;   Parent Loop BB221_7 Depth=1
                                        ; =>  This Inner Loop Header: Depth=2
	global_load_b32 v4, v18, s[16:17] scale_offset
	s_wait_loadcnt 0x0
	v_subrev_nc_u32_e32 v34, s15, v4
	s_delay_alu instid0(VALU_DEP_1) | instskip(NEXT) | instid1(VALU_DEP_1)
	v_sub_nc_u32_e32 v4, 0, v34
	v_max_i32_e32 v4, v34, v4
	s_delay_alu instid0(VALU_DEP_1) | instskip(NEXT) | instid1(VALU_DEP_1)
	v_mul_u64_e32 v[38:39], s[24:25], v[4:5]
	v_mul_lo_u32 v37, v39, s19
	s_delay_alu instid0(VALU_DEP_1) | instskip(NEXT) | instid1(VALU_DEP_1)
	v_dual_sub_nc_u32 v4, v4, v37 :: v_dual_add_nc_u32 v37, 1, v39
	v_cmp_le_u32_e32 vcc_lo, s19, v4
	s_delay_alu instid0(VALU_DEP_2) | instskip(SKIP_1) | instid1(VALU_DEP_1)
	v_dual_cndmask_b32 v37, v39, v37, vcc_lo :: v_dual_ashrrev_i32 v39, 31, v34
	v_subrev_nc_u32_e32 v38, s19, v4
	v_dual_cndmask_b32 v4, v4, v38, vcc_lo :: v_dual_add_nc_u32 v38, 1, v37
	s_delay_alu instid0(VALU_DEP_1) | instskip(NEXT) | instid1(VALU_DEP_2)
	v_cmp_le_u32_e32 vcc_lo, s19, v4
	v_dual_cndmask_b32 v4, v37, v38, vcc_lo :: v_dual_bitop2_b32 v39, s27, v39 bitop3:0x14
	s_delay_alu instid0(VALU_DEP_1) | instskip(NEXT) | instid1(VALU_DEP_1)
	v_xor_b32_e32 v4, v4, v39
	v_dual_mov_b32 v4, v19 :: v_dual_sub_nc_u32 v37, v4, v39
	s_delay_alu instid0(VALU_DEP_1) | instskip(SKIP_3) | instid1(SALU_CYCLE_1)
	v_cmp_ne_u32_e64 s9, v37, v20
	v_cmp_eq_u32_e32 vcc_lo, v37, v20
	s_wait_xcnt 0x0
	s_and_saveexec_b32 s34, s9
	s_xor_b32 s9, exec_lo, s34
; %bb.11:                               ;   in Loop: Header=BB221_10 Depth=2
	v_min_i32_e32 v36, v37, v36
                                        ; implicit-def: $vgpr34
                                        ; implicit-def: $vgpr4
; %bb.12:                               ;   in Loop: Header=BB221_10 Depth=2
	s_or_saveexec_b32 s9, s9
	v_mov_b32_e32 v19, v18
	s_xor_b32 exec_lo, exec_lo, s9
	s_cbranch_execz .LBB221_9
; %bb.13:                               ;   in Loop: Header=BB221_10 Depth=2
	v_ashrrev_i32_e32 v19, 31, v18
	s_delay_alu instid0(VALU_DEP_1)
	v_lshl_add_u64 v[38:39], v[18:19], 4, s[22:23]
	v_sub_nc_u32_e32 v19, v34, v21
	global_load_b128 v[38:41], v[38:39], off
	v_lshl_add_u32 v34, v19, 4, v24
	v_mov_b32_e32 v19, v4
	ds_store_b8 v5, v35 offset:16384
	s_wait_loadcnt 0x0
	ds_store_2addr_b64 v34, v[38:39], v[40:41] offset1:1
	s_branch .LBB221_9
.LBB221_14:                             ;   in Loop: Header=BB221_7 Depth=1
	s_or_b32 exec_lo, exec_lo, s33
.LBB221_15:                             ;   in Loop: Header=BB221_7 Depth=1
	s_delay_alu instid0(SALU_CYCLE_1)
	s_or_b32 exec_lo, exec_lo, s11
	ds_bpermute_b32 v4, v28, v19
	s_wait_dscnt 0x0
	s_barrier_signal -1
	s_barrier_wait -1
	s_mov_b32 s9, 0
	v_min_i32_e32 v4, v4, v19
	ds_load_u8 v19, v5 offset:16384
	ds_bpermute_b32 v18, v29, v4
	s_wait_dscnt 0x0
	v_min_i32_e32 v4, v18, v4
	ds_bpermute_b32 v18, v30, v4
	s_wait_dscnt 0x0
	v_min_i32_e32 v4, v18, v4
	ds_bpermute_b32 v34, v26, v4
	v_and_b32_e32 v4, 1, v19
	s_delay_alu instid0(VALU_DEP_1)
	v_cmp_eq_u32_e32 vcc_lo, 0, v4
	s_cbranch_vccnz .LBB221_22
; %bb.16:                               ;   in Loop: Header=BB221_7 Depth=1
	s_ashr_i32 s11, s10, 31
	v_dual_mov_b32 v37, s10 :: v_dual_add_nc_u32 v4, s18, v20
	s_mul_u64 s[34:35], s[28:29], s[10:11]
	s_delay_alu instid0(SALU_CYCLE_1) | instskip(NEXT) | instid1(SALU_CYCLE_1)
	s_lshl_b64 s[34:35], s[34:35], 4
	v_add_nc_u64_e32 v[18:19], s[34:35], v[6:7]
	v_add_nc_u64_e32 v[20:21], s[34:35], v[8:9]
	global_store_b32 v37, v4, s[20:21] scale_offset
	s_wait_xcnt 0x0
	s_and_saveexec_b32 s9, s26
	s_cbranch_execnz .LBB221_38
; %bb.17:                               ;   in Loop: Header=BB221_7 Depth=1
	s_or_b32 exec_lo, exec_lo, s9
	s_and_saveexec_b32 s9, s13
	s_cbranch_execnz .LBB221_39
.LBB221_18:                             ;   in Loop: Header=BB221_7 Depth=1
	s_or_b32 exec_lo, exec_lo, s9
	s_and_saveexec_b32 s9, s30
	s_cbranch_execnz .LBB221_40
.LBB221_19:                             ;   in Loop: Header=BB221_7 Depth=1
	s_or_b32 exec_lo, exec_lo, s9
	s_and_saveexec_b32 s9, s31
	s_cbranch_execz .LBB221_21
.LBB221_20:                             ;   in Loop: Header=BB221_7 Depth=1
	ds_load_2addr_b64 v[38:41], v33 offset1:1
	v_add_nc_u64_e32 v[20:21], 0x180, v[20:21]
	v_lshl_add_u64 v[18:19], v[16:17], 4, v[18:19]
	s_delay_alu instid0(VALU_DEP_1)
	v_dual_cndmask_b32 v19, v19, v21, s5 :: v_dual_cndmask_b32 v18, v18, v20, s5
	s_wait_dscnt 0x0
	global_store_b128 v[18:19], v[38:41], off
.LBB221_21:                             ;   in Loop: Header=BB221_7 Depth=1
	s_wait_xcnt 0x0
	s_or_b32 exec_lo, exec_lo, s9
	s_mov_b32 s9, 1
.LBB221_22:                             ;   in Loop: Header=BB221_7 Depth=1
	s_wait_storecnt_dscnt 0x0
	s_barrier_signal -1
	s_barrier_wait -1
	ds_store_b32 v25, v36
	s_wait_dscnt 0x0
	s_barrier_signal -1
	s_barrier_wait -1
	s_and_saveexec_b32 s11, s0
	s_cbranch_execz .LBB221_24
; %bb.23:                               ;   in Loop: Header=BB221_7 Depth=1
	ds_load_2addr_stride64_b32 v[18:19], v25 offset1:2
	s_wait_dscnt 0x0
	v_min_i32_e32 v4, v19, v18
	ds_store_b32 v25, v4
.LBB221_24:                             ;   in Loop: Header=BB221_7 Depth=1
	s_or_b32 exec_lo, exec_lo, s11
	s_wait_dscnt 0x0
	s_barrier_signal -1
	s_barrier_wait -1
	s_and_saveexec_b32 s11, s1
	s_cbranch_execz .LBB221_26
; %bb.25:                               ;   in Loop: Header=BB221_7 Depth=1
	ds_load_2addr_stride64_b32 v[18:19], v25 offset1:1
	s_wait_dscnt 0x0
	v_min_i32_e32 v4, v19, v18
	ds_store_b32 v25, v4
.LBB221_26:                             ;   in Loop: Header=BB221_7 Depth=1
	s_or_b32 exec_lo, exec_lo, s11
	s_wait_dscnt 0x0
	s_barrier_signal -1
	s_barrier_wait -1
	s_and_saveexec_b32 s11, s2
	s_cbranch_execz .LBB221_28
; %bb.27:                               ;   in Loop: Header=BB221_7 Depth=1
	ds_load_2addr_b32 v[18:19], v25 offset1:32
	s_wait_dscnt 0x0
	v_min_i32_e32 v4, v19, v18
	ds_store_b32 v25, v4
.LBB221_28:                             ;   in Loop: Header=BB221_7 Depth=1
	s_or_b32 exec_lo, exec_lo, s11
	s_wait_dscnt 0x0
	s_barrier_signal -1
	s_barrier_wait -1
	s_and_saveexec_b32 s11, s3
	s_cbranch_execz .LBB221_30
; %bb.29:                               ;   in Loop: Header=BB221_7 Depth=1
	ds_load_2addr_b32 v[18:19], v25 offset1:16
	s_wait_dscnt 0x0
	v_min_i32_e32 v4, v19, v18
	ds_store_b32 v25, v4
.LBB221_30:                             ;   in Loop: Header=BB221_7 Depth=1
	;; [unrolled: 12-line block ×5, first 2 shown]
	s_or_b32 exec_lo, exec_lo, s11
	s_wait_dscnt 0x0
	s_barrier_signal -1
	s_barrier_wait -1
	s_and_saveexec_b32 s11, s8
	s_cbranch_execz .LBB221_6
; %bb.37:                               ;   in Loop: Header=BB221_7 Depth=1
	ds_load_b64 v[18:19], v5
	s_wait_dscnt 0x0
	v_min_i32_e32 v4, v19, v18
	ds_store_b32 v5, v4
	s_branch .LBB221_6
.LBB221_38:                             ;   in Loop: Header=BB221_7 Depth=1
	ds_load_2addr_b64 v[38:41], v27 offset1:1
	v_lshl_add_u64 v[42:43], v[10:11], 4, v[18:19]
	s_delay_alu instid0(VALU_DEP_1)
	v_dual_cndmask_b32 v43, v43, v21, s5 :: v_dual_cndmask_b32 v42, v42, v20, s5
	s_wait_dscnt 0x0
	global_store_b128 v[42:43], v[38:41], off
	s_wait_xcnt 0x0
	s_or_b32 exec_lo, exec_lo, s9
	s_and_saveexec_b32 s9, s13
	s_cbranch_execz .LBB221_18
.LBB221_39:                             ;   in Loop: Header=BB221_7 Depth=1
	ds_load_2addr_b64 v[38:41], v31 offset1:1
	v_add_nc_u64_e32 v[42:43], 0x80, v[20:21]
	v_lshl_add_u64 v[44:45], v[12:13], 4, v[18:19]
	s_delay_alu instid0(VALU_DEP_1)
	v_dual_cndmask_b32 v43, v45, v43, s5 :: v_dual_cndmask_b32 v42, v44, v42, s5
	s_wait_dscnt 0x0
	global_store_b128 v[42:43], v[38:41], off
	s_wait_xcnt 0x0
	s_or_b32 exec_lo, exec_lo, s9
	s_and_saveexec_b32 s9, s30
	s_cbranch_execz .LBB221_19
.LBB221_40:                             ;   in Loop: Header=BB221_7 Depth=1
	ds_load_2addr_b64 v[38:41], v32 offset1:1
	v_add_nc_u64_e32 v[42:43], 0x100, v[20:21]
	v_lshl_add_u64 v[44:45], v[14:15], 4, v[18:19]
	s_delay_alu instid0(VALU_DEP_1)
	v_dual_cndmask_b32 v43, v45, v43, s5 :: v_dual_cndmask_b32 v42, v44, v42, s5
	s_wait_dscnt 0x0
	global_store_b128 v[42:43], v[38:41], off
	s_wait_xcnt 0x0
	s_or_b32 exec_lo, exec_lo, s9
	s_and_saveexec_b32 s9, s31
	s_cbranch_execnz .LBB221_20
	s_branch .LBB221_21
.LBB221_41:
	s_endpgm
	.section	.rodata,"a",@progbits
	.p2align	6, 0x0
	.amdhsa_kernel _ZN9rocsparseL40csr2gebsr_block_per_row_multipass_kernelILj256ELj32ELj32E21rocsparse_complex_numIdEEEv20rocsparse_direction_iiiiii21rocsparse_index_base_PKT2_PKiS9_S4_PS5_PiSB_
		.amdhsa_group_segment_fixed_size 16392
		.amdhsa_private_segment_fixed_size 0
		.amdhsa_kernarg_size 88
		.amdhsa_user_sgpr_count 2
		.amdhsa_user_sgpr_dispatch_ptr 0
		.amdhsa_user_sgpr_queue_ptr 0
		.amdhsa_user_sgpr_kernarg_segment_ptr 1
		.amdhsa_user_sgpr_dispatch_id 0
		.amdhsa_user_sgpr_kernarg_preload_length 0
		.amdhsa_user_sgpr_kernarg_preload_offset 0
		.amdhsa_user_sgpr_private_segment_size 0
		.amdhsa_wavefront_size32 1
		.amdhsa_uses_dynamic_stack 0
		.amdhsa_enable_private_segment 0
		.amdhsa_system_sgpr_workgroup_id_x 1
		.amdhsa_system_sgpr_workgroup_id_y 0
		.amdhsa_system_sgpr_workgroup_id_z 0
		.amdhsa_system_sgpr_workgroup_info 0
		.amdhsa_system_vgpr_workitem_id 0
		.amdhsa_next_free_vgpr 46
		.amdhsa_next_free_sgpr 40
		.amdhsa_named_barrier_count 0
		.amdhsa_reserve_vcc 1
		.amdhsa_float_round_mode_32 0
		.amdhsa_float_round_mode_16_64 0
		.amdhsa_float_denorm_mode_32 3
		.amdhsa_float_denorm_mode_16_64 3
		.amdhsa_fp16_overflow 0
		.amdhsa_memory_ordered 1
		.amdhsa_forward_progress 1
		.amdhsa_inst_pref_size 17
		.amdhsa_round_robin_scheduling 0
		.amdhsa_exception_fp_ieee_invalid_op 0
		.amdhsa_exception_fp_denorm_src 0
		.amdhsa_exception_fp_ieee_div_zero 0
		.amdhsa_exception_fp_ieee_overflow 0
		.amdhsa_exception_fp_ieee_underflow 0
		.amdhsa_exception_fp_ieee_inexact 0
		.amdhsa_exception_int_div_zero 0
	.end_amdhsa_kernel
	.section	.text._ZN9rocsparseL40csr2gebsr_block_per_row_multipass_kernelILj256ELj32ELj32E21rocsparse_complex_numIdEEEv20rocsparse_direction_iiiiii21rocsparse_index_base_PKT2_PKiS9_S4_PS5_PiSB_,"axG",@progbits,_ZN9rocsparseL40csr2gebsr_block_per_row_multipass_kernelILj256ELj32ELj32E21rocsparse_complex_numIdEEEv20rocsparse_direction_iiiiii21rocsparse_index_base_PKT2_PKiS9_S4_PS5_PiSB_,comdat
.Lfunc_end221:
	.size	_ZN9rocsparseL40csr2gebsr_block_per_row_multipass_kernelILj256ELj32ELj32E21rocsparse_complex_numIdEEEv20rocsparse_direction_iiiiii21rocsparse_index_base_PKT2_PKiS9_S4_PS5_PiSB_, .Lfunc_end221-_ZN9rocsparseL40csr2gebsr_block_per_row_multipass_kernelILj256ELj32ELj32E21rocsparse_complex_numIdEEEv20rocsparse_direction_iiiiii21rocsparse_index_base_PKT2_PKiS9_S4_PS5_PiSB_
                                        ; -- End function
	.set _ZN9rocsparseL40csr2gebsr_block_per_row_multipass_kernelILj256ELj32ELj32E21rocsparse_complex_numIdEEEv20rocsparse_direction_iiiiii21rocsparse_index_base_PKT2_PKiS9_S4_PS5_PiSB_.num_vgpr, 46
	.set _ZN9rocsparseL40csr2gebsr_block_per_row_multipass_kernelILj256ELj32ELj32E21rocsparse_complex_numIdEEEv20rocsparse_direction_iiiiii21rocsparse_index_base_PKT2_PKiS9_S4_PS5_PiSB_.num_agpr, 0
	.set _ZN9rocsparseL40csr2gebsr_block_per_row_multipass_kernelILj256ELj32ELj32E21rocsparse_complex_numIdEEEv20rocsparse_direction_iiiiii21rocsparse_index_base_PKT2_PKiS9_S4_PS5_PiSB_.numbered_sgpr, 40
	.set _ZN9rocsparseL40csr2gebsr_block_per_row_multipass_kernelILj256ELj32ELj32E21rocsparse_complex_numIdEEEv20rocsparse_direction_iiiiii21rocsparse_index_base_PKT2_PKiS9_S4_PS5_PiSB_.num_named_barrier, 0
	.set _ZN9rocsparseL40csr2gebsr_block_per_row_multipass_kernelILj256ELj32ELj32E21rocsparse_complex_numIdEEEv20rocsparse_direction_iiiiii21rocsparse_index_base_PKT2_PKiS9_S4_PS5_PiSB_.private_seg_size, 0
	.set _ZN9rocsparseL40csr2gebsr_block_per_row_multipass_kernelILj256ELj32ELj32E21rocsparse_complex_numIdEEEv20rocsparse_direction_iiiiii21rocsparse_index_base_PKT2_PKiS9_S4_PS5_PiSB_.uses_vcc, 1
	.set _ZN9rocsparseL40csr2gebsr_block_per_row_multipass_kernelILj256ELj32ELj32E21rocsparse_complex_numIdEEEv20rocsparse_direction_iiiiii21rocsparse_index_base_PKT2_PKiS9_S4_PS5_PiSB_.uses_flat_scratch, 0
	.set _ZN9rocsparseL40csr2gebsr_block_per_row_multipass_kernelILj256ELj32ELj32E21rocsparse_complex_numIdEEEv20rocsparse_direction_iiiiii21rocsparse_index_base_PKT2_PKiS9_S4_PS5_PiSB_.has_dyn_sized_stack, 0
	.set _ZN9rocsparseL40csr2gebsr_block_per_row_multipass_kernelILj256ELj32ELj32E21rocsparse_complex_numIdEEEv20rocsparse_direction_iiiiii21rocsparse_index_base_PKT2_PKiS9_S4_PS5_PiSB_.has_recursion, 0
	.set _ZN9rocsparseL40csr2gebsr_block_per_row_multipass_kernelILj256ELj32ELj32E21rocsparse_complex_numIdEEEv20rocsparse_direction_iiiiii21rocsparse_index_base_PKT2_PKiS9_S4_PS5_PiSB_.has_indirect_call, 0
	.section	.AMDGPU.csdata,"",@progbits
; Kernel info:
; codeLenInByte = 2108
; TotalNumSgprs: 42
; NumVgprs: 46
; ScratchSize: 0
; MemoryBound: 0
; FloatMode: 240
; IeeeMode: 1
; LDSByteSize: 16392 bytes/workgroup (compile time only)
; SGPRBlocks: 0
; VGPRBlocks: 2
; NumSGPRsForWavesPerEU: 42
; NumVGPRsForWavesPerEU: 46
; NamedBarCnt: 0
; Occupancy: 16
; WaveLimiterHint : 0
; COMPUTE_PGM_RSRC2:SCRATCH_EN: 0
; COMPUTE_PGM_RSRC2:USER_SGPR: 2
; COMPUTE_PGM_RSRC2:TRAP_HANDLER: 0
; COMPUTE_PGM_RSRC2:TGID_X_EN: 1
; COMPUTE_PGM_RSRC2:TGID_Y_EN: 0
; COMPUTE_PGM_RSRC2:TGID_Z_EN: 0
; COMPUTE_PGM_RSRC2:TIDIG_COMP_CNT: 0
	.section	.text._ZN9rocsparseL40csr2gebsr_block_per_row_multipass_kernelILj256ELj32ELj64E21rocsparse_complex_numIdEEEv20rocsparse_direction_iiiiii21rocsparse_index_base_PKT2_PKiS9_S4_PS5_PiSB_,"axG",@progbits,_ZN9rocsparseL40csr2gebsr_block_per_row_multipass_kernelILj256ELj32ELj64E21rocsparse_complex_numIdEEEv20rocsparse_direction_iiiiii21rocsparse_index_base_PKT2_PKiS9_S4_PS5_PiSB_,comdat
	.globl	_ZN9rocsparseL40csr2gebsr_block_per_row_multipass_kernelILj256ELj32ELj64E21rocsparse_complex_numIdEEEv20rocsparse_direction_iiiiii21rocsparse_index_base_PKT2_PKiS9_S4_PS5_PiSB_ ; -- Begin function _ZN9rocsparseL40csr2gebsr_block_per_row_multipass_kernelILj256ELj32ELj64E21rocsparse_complex_numIdEEEv20rocsparse_direction_iiiiii21rocsparse_index_base_PKT2_PKiS9_S4_PS5_PiSB_
	.p2align	8
	.type	_ZN9rocsparseL40csr2gebsr_block_per_row_multipass_kernelILj256ELj32ELj64E21rocsparse_complex_numIdEEEv20rocsparse_direction_iiiiii21rocsparse_index_base_PKT2_PKiS9_S4_PS5_PiSB_,@function
_ZN9rocsparseL40csr2gebsr_block_per_row_multipass_kernelILj256ELj32ELj64E21rocsparse_complex_numIdEEEv20rocsparse_direction_iiiiii21rocsparse_index_base_PKT2_PKiS9_S4_PS5_PiSB_: ; @_ZN9rocsparseL40csr2gebsr_block_per_row_multipass_kernelILj256ELj32ELj64E21rocsparse_complex_numIdEEEv20rocsparse_direction_iiiiii21rocsparse_index_base_PKT2_PKiS9_S4_PS5_PiSB_
; %bb.0:
	s_clause 0x1
	s_load_b128 s[12:15], s[0:1], 0x10
	s_load_b64 s[6:7], s[0:1], 0x0
	s_bfe_u32 s2, ttmp6, 0x4000c
	s_and_b32 s3, ttmp6, 15
	s_add_co_i32 s2, s2, 1
	s_getreg_b32 s4, hwreg(HW_REG_IB_STS2, 6, 4)
	s_mul_i32 s2, ttmp9, s2
	v_dual_mov_b32 v30, 0 :: v_dual_lshrrev_b32 v1, 3, v0
	s_add_co_i32 s3, s3, s2
	s_cmp_eq_u32 s4, 0
	s_load_b64 s[8:9], s[0:1], 0x28
	s_cselect_b32 s4, ttmp9, s3
	v_mov_b32_e32 v46, 0
	s_wait_kmcnt 0x0
	v_mad_u32 v2, s13, s4, v1
	v_cmp_gt_i32_e32 vcc_lo, s13, v1
	s_delay_alu instid0(VALU_DEP_2) | instskip(SKIP_1) | instid1(SALU_CYCLE_1)
	v_cmp_gt_i32_e64 s2, s7, v2
	s_and_b32 s2, vcc_lo, s2
	s_and_saveexec_b32 s3, s2
	s_cbranch_execnz .LBB222_3
; %bb.1:
	s_or_b32 exec_lo, exec_lo, s3
	s_and_saveexec_b32 s3, s2
	s_cbranch_execnz .LBB222_4
.LBB222_2:
	s_or_b32 exec_lo, exec_lo, s3
	s_cmp_lt_i32 s12, 1
	s_cbranch_scc0 .LBB222_5
	s_branch .LBB222_49
.LBB222_3:
	global_load_b32 v3, v2, s[8:9] scale_offset
	s_wait_loadcnt 0x0
	v_subrev_nc_u32_e32 v46, s15, v3
	s_or_b32 exec_lo, exec_lo, s3
	s_and_saveexec_b32 s3, s2
	s_cbranch_execz .LBB222_2
.LBB222_4:
	global_load_b32 v2, v2, s[8:9] offset:4 scale_offset
	s_wait_loadcnt 0x0
	v_subrev_nc_u32_e32 v30, s15, v2
	s_or_b32 exec_lo, exec_lo, s3
	s_cmp_lt_i32 s12, 1
	s_cbranch_scc1 .LBB222_49
.LBB222_5:
	s_clause 0x3
	s_load_b128 s[8:11], s[0:1], 0x40
	s_load_b64 s[20:21], s[0:1], 0x50
	s_load_b96 s[16:18], s[0:1], 0x30
	s_load_b64 s[22:23], s[0:1], 0x20
	v_mbcnt_lo_u32_b32 v3, -1, 0
	s_ashr_i32 s5, s4, 31
	v_dual_lshlrev_b32 v32, 10, v1 :: v_dual_bitop2_b32 v31, 7, v0 bitop3:0x40
	s_lshl_b64 s[4:5], s[4:5], 2
	v_dual_mov_b32 v5, 0 :: v_dual_lshlrev_b32 v4, 4, v1
	v_mul_lo_u32 v2, s14, v1
	v_xor_b32_e32 v1, 4, v3
	v_mul_lo_u32 v10, v31, s13
	v_lshl_or_b32 v34, v3, 2, 28
	v_dual_mov_b32 v9, v5 :: v_dual_lshlrev_b32 v33, 2, v0
	v_lshlrev_b32_e32 v8, 4, v31
	s_wait_xcnt 0x0
	v_cmp_gt_u32_e64 s0, 0x80, v0
	v_cmp_gt_u32_e64 s1, 64, v0
	s_wait_kmcnt 0x0
	s_add_nc_u64 s[4:5], s[10:11], s[4:5]
	v_cmp_gt_u32_e64 s2, 32, v0
	s_load_b32 s7, s[4:5], 0x0
	s_wait_xcnt 0x0
	v_cmp_gt_i32_e64 s5, 32, v1
	v_xor_b32_e32 v6, 2, v3
	v_cmp_gt_u32_e64 s3, 16, v0
	v_cmp_gt_u32_e64 s4, 8, v0
	s_mov_b32 s25, 0
	v_cndmask_b32_e64 v1, v3, v1, s5
	v_cmp_gt_i32_e64 s5, 32, v6
	v_xor_b32_e32 v7, 1, v3
	s_mov_b32 s24, s13
	s_mov_b32 s26, s14
	v_dual_lshlrev_b32 v36, 2, v1 :: v_dual_bitop2_b32 v35, v32, v8 bitop3:0x54
	v_cndmask_b32_e64 v6, v3, v6, s5
	v_cmp_gt_i32_e64 s5, 32, v7
	v_dual_mov_b32 v13, v5 :: v_dual_bitop2_b32 v1, 24, v31 bitop3:0x54
	v_dual_mov_b32 v17, v5 :: v_dual_mov_b32 v21, v5
	s_delay_alu instid0(VALU_DEP_3) | instskip(SKIP_3) | instid1(VALU_DEP_1)
	v_dual_cndmask_b32 v7, v3, v7, s5 :: v_dual_ashrrev_i32 v3, 31, v2
	s_wait_kmcnt 0x0
	s_sub_co_i32 s28, s7, s18
	s_cmp_eq_u32 s6, 0
	v_dual_lshlrev_b32 v37, 2, v6 :: v_dual_lshlrev_b32 v38, 2, v7
	v_lshl_add_u64 v[2:3], v[2:3], 4, s[8:9]
	v_add_nc_u64_e32 v[6:7], s[8:9], v[4:5]
	v_cmp_gt_u32_e64 s6, 4, v0
	v_cmp_gt_u32_e64 s7, 2, v0
	v_cmp_eq_u32_e64 s8, 0, v0
	v_cmp_gt_u32_e64 s9, s14, v31
	v_dual_mov_b32 v11, v5 :: v_dual_bitop2_b32 v0, 8, v31 bitop3:0x54
	s_cselect_b32 s5, -1, 0
	s_ashr_i32 s27, s14, 31
	s_and_b32 s11, vcc_lo, s9
	s_mul_u64 s[30:31], s[26:27], s[24:25]
	s_lshl_b32 s24, s13, 3
	v_cmp_gt_u32_e64 s9, s14, v0
	v_dual_add_nc_u32 v12, s24, v10 :: v_dual_bitop2_b32 v0, 16, v31 bitop3:0x54
	s_abs_i32 s33, s14
	v_mov_b32_e32 v15, v5
	s_and_b32 s13, vcc_lo, s9
	s_delay_alu instid0(VALU_DEP_2)
	v_cmp_gt_u32_e64 s10, s14, v0
	v_add_nc_u32_e32 v14, s24, v12
	v_cmp_gt_u32_e64 s9, s14, v1
	v_or_b32_e32 v1, 40, v31
	v_or_b32_e32 v0, 32, v31
	s_cvt_f32_u32 s29, s33
	v_add_nc_u32_e32 v16, s24, v14
	s_and_b32 s19, vcc_lo, s10
	v_cmp_gt_u32_e64 s10, s14, v1
	v_rcp_iflag_f32_e32 v1, s29
	s_and_b32 s26, vcc_lo, s9
	v_add_nc_u32_e32 v18, s24, v16
	v_cmp_gt_u32_e64 s9, s14, v0
	v_dual_mov_b32 v19, v5 :: v_dual_bitop2_b32 v0, 48, v31 bitop3:0x54
	s_delay_alu instid0(VALU_DEP_3) | instskip(NEXT) | instid1(TRANS32_DEP_1)
	v_dual_mov_b32 v23, v5 :: v_dual_add_nc_u32 v20, s24, v18
	v_readfirstlane_b32 s29, v1
	s_and_b32 s34, vcc_lo, s9
	v_cmp_gt_u32_e64 s9, s14, v0
	v_dual_add_nc_u32 v22, s24, v20 :: v_dual_bitop2_b32 v0, 56, v31 bitop3:0x54
	s_mul_f32 s29, s29, 0x4f7ffffe
	s_mov_b32 s36, s25
	s_mov_b32 s37, s25
	;; [unrolled: 1-line block ×3, first 2 shown]
	v_dual_mov_b32 v25, v5 :: v_dual_add_nc_u32 v24, s24, v22
	s_cvt_u32_f32 s24, s29
	s_mov_b32 s39, s25
	v_add_nc_u64_e32 v[8:9], v[2:3], v[8:9]
	s_and_b32 s35, vcc_lo, s9
	v_cmp_gt_u32_e64 s9, s14, v0
	s_sub_co_i32 s29, 0, s33
	v_mov_b64_e32 v[0:1], s[36:37]
	v_mov_b64_e32 v[2:3], s[38:39]
	s_mul_i32 s29, s29, s24
	v_or_b32_e32 v39, 0x80, v35
	v_or_b32_e32 v40, 0x100, v35
	;; [unrolled: 1-line block ×7, first 2 shown]
	v_dual_mov_b32 v47, 1 :: v_dual_mov_b32 v28, 0
	s_mul_hi_u32 s29, s24, s29
	s_and_b32 s10, vcc_lo, s10
	s_and_b32 s36, vcc_lo, s9
	s_add_co_i32 s24, s24, s29
	s_branch .LBB222_7
.LBB222_6:                              ;   in Loop: Header=BB222_7 Depth=1
	s_or_b32 exec_lo, exec_lo, s29
	s_wait_dscnt 0x0
	s_barrier_signal -1
	s_barrier_wait -1
	ds_load_b32 v28, v5
	s_add_co_i32 s28, s9, s28
	s_wait_dscnt 0x0
	s_barrier_signal -1
	s_barrier_wait -1
	v_cmp_gt_i32_e32 vcc_lo, s12, v28
	s_cbranch_vccz .LBB222_49
.LBB222_7:                              ; =>This Loop Header: Depth=1
                                        ;     Child Loop BB222_10 Depth 2
	v_dual_add_nc_u32 v26, v46, v31 :: v_dual_mov_b32 v48, s12
	v_mov_b32_e32 v27, v30
	s_mov_b32 s29, exec_lo
	ds_store_b8 v5, v5 offset:32768
	ds_store_b128 v35, v[0:3]
	ds_store_b128 v35, v[0:3] offset:128
	ds_store_b128 v35, v[0:3] offset:256
	;; [unrolled: 1-line block ×7, first 2 shown]
	s_wait_dscnt 0x0
	s_barrier_signal -1
	s_barrier_wait -1
	v_cmpx_lt_i32_e64 v26, v30
	s_cbranch_execz .LBB222_15
; %bb.8:                                ;   in Loop: Header=BB222_7 Depth=1
	v_mul_lo_u32 v29, v28, s14
	v_dual_mov_b32 v48, s12 :: v_dual_mov_b32 v27, v30
	s_mov_b32 s37, 0
	s_branch .LBB222_10
.LBB222_9:                              ;   in Loop: Header=BB222_10 Depth=2
	s_wait_xcnt 0x0
	s_or_b32 exec_lo, exec_lo, s9
	v_add_nc_u32_e32 v26, 8, v26
	s_xor_b32 s38, vcc_lo, -1
	s_delay_alu instid0(VALU_DEP_1) | instskip(SKIP_1) | instid1(SALU_CYCLE_1)
	v_cmp_ge_i32_e64 s9, v26, v30
	s_or_b32 s9, s38, s9
	s_and_b32 s9, exec_lo, s9
	s_delay_alu instid0(SALU_CYCLE_1) | instskip(NEXT) | instid1(SALU_CYCLE_1)
	s_or_b32 s37, s9, s37
	s_and_not1_b32 exec_lo, exec_lo, s37
	s_cbranch_execz .LBB222_14
.LBB222_10:                             ;   Parent Loop BB222_7 Depth=1
                                        ; =>  This Inner Loop Header: Depth=2
	global_load_b32 v4, v26, s[16:17] scale_offset
	s_wait_loadcnt 0x0
	v_subrev_nc_u32_e32 v46, s15, v4
	s_delay_alu instid0(VALU_DEP_1) | instskip(NEXT) | instid1(VALU_DEP_1)
	v_sub_nc_u32_e32 v4, 0, v46
	v_max_i32_e32 v4, v46, v4
	s_delay_alu instid0(VALU_DEP_1) | instskip(NEXT) | instid1(VALU_DEP_1)
	v_mul_u64_e32 v[50:51], s[24:25], v[4:5]
	v_mul_lo_u32 v49, v51, s33
	s_delay_alu instid0(VALU_DEP_1) | instskip(NEXT) | instid1(VALU_DEP_1)
	v_dual_sub_nc_u32 v4, v4, v49 :: v_dual_add_nc_u32 v49, 1, v51
	v_cmp_le_u32_e32 vcc_lo, s33, v4
	s_delay_alu instid0(VALU_DEP_2) | instskip(SKIP_1) | instid1(VALU_DEP_1)
	v_dual_cndmask_b32 v49, v51, v49, vcc_lo :: v_dual_ashrrev_i32 v51, 31, v46
	v_subrev_nc_u32_e32 v50, s33, v4
	v_dual_cndmask_b32 v4, v4, v50, vcc_lo :: v_dual_add_nc_u32 v50, 1, v49
	s_delay_alu instid0(VALU_DEP_1) | instskip(NEXT) | instid1(VALU_DEP_2)
	v_cmp_le_u32_e32 vcc_lo, s33, v4
	v_dual_cndmask_b32 v4, v49, v50, vcc_lo :: v_dual_bitop2_b32 v51, s27, v51 bitop3:0x14
	s_delay_alu instid0(VALU_DEP_1) | instskip(NEXT) | instid1(VALU_DEP_1)
	v_xor_b32_e32 v4, v4, v51
	v_dual_mov_b32 v4, v27 :: v_dual_sub_nc_u32 v49, v4, v51
	s_delay_alu instid0(VALU_DEP_1) | instskip(SKIP_3) | instid1(SALU_CYCLE_1)
	v_cmp_ne_u32_e64 s9, v49, v28
	v_cmp_eq_u32_e32 vcc_lo, v49, v28
	s_wait_xcnt 0x0
	s_and_saveexec_b32 s38, s9
	s_xor_b32 s9, exec_lo, s38
; %bb.11:                               ;   in Loop: Header=BB222_10 Depth=2
	v_min_i32_e32 v48, v49, v48
                                        ; implicit-def: $vgpr46
                                        ; implicit-def: $vgpr4
; %bb.12:                               ;   in Loop: Header=BB222_10 Depth=2
	s_or_saveexec_b32 s9, s9
	v_mov_b32_e32 v27, v26
	s_xor_b32 exec_lo, exec_lo, s9
	s_cbranch_execz .LBB222_9
; %bb.13:                               ;   in Loop: Header=BB222_10 Depth=2
	v_ashrrev_i32_e32 v27, 31, v26
	s_delay_alu instid0(VALU_DEP_1)
	v_lshl_add_u64 v[50:51], v[26:27], 4, s[22:23]
	v_sub_nc_u32_e32 v27, v46, v29
	global_load_b128 v[50:53], v[50:51], off
	v_lshl_add_u32 v46, v27, 4, v32
	v_mov_b32_e32 v27, v4
	ds_store_b8 v5, v47 offset:32768
	s_wait_loadcnt 0x0
	ds_store_2addr_b64 v46, v[50:51], v[52:53] offset1:1
	s_branch .LBB222_9
.LBB222_14:                             ;   in Loop: Header=BB222_7 Depth=1
	s_or_b32 exec_lo, exec_lo, s37
.LBB222_15:                             ;   in Loop: Header=BB222_7 Depth=1
	s_delay_alu instid0(SALU_CYCLE_1)
	s_or_b32 exec_lo, exec_lo, s29
	ds_bpermute_b32 v4, v36, v27
	s_wait_dscnt 0x0
	s_barrier_signal -1
	s_barrier_wait -1
	s_mov_b32 s9, 0
	v_min_i32_e32 v4, v4, v27
	ds_load_u8 v27, v5 offset:32768
	ds_bpermute_b32 v26, v37, v4
	s_wait_dscnt 0x0
	v_min_i32_e32 v4, v26, v4
	ds_bpermute_b32 v26, v38, v4
	s_wait_dscnt 0x0
	v_min_i32_e32 v4, v26, v4
	ds_bpermute_b32 v46, v34, v4
	v_and_b32_e32 v4, 1, v27
	s_delay_alu instid0(VALU_DEP_1)
	v_cmp_eq_u32_e32 vcc_lo, 0, v4
	s_cbranch_vccnz .LBB222_26
; %bb.16:                               ;   in Loop: Header=BB222_7 Depth=1
	s_ashr_i32 s29, s28, 31
	v_dual_mov_b32 v49, s28 :: v_dual_add_nc_u32 v4, s18, v28
	s_mul_u64 s[38:39], s[30:31], s[28:29]
	s_delay_alu instid0(SALU_CYCLE_1) | instskip(NEXT) | instid1(SALU_CYCLE_1)
	s_lshl_b64 s[38:39], s[38:39], 4
	v_add_nc_u64_e32 v[26:27], s[38:39], v[6:7]
	v_add_nc_u64_e32 v[28:29], s[38:39], v[8:9]
	global_store_b32 v49, v4, s[20:21] scale_offset
	s_wait_xcnt 0x0
	s_and_saveexec_b32 s9, s11
	s_cbranch_execnz .LBB222_42
; %bb.17:                               ;   in Loop: Header=BB222_7 Depth=1
	s_or_b32 exec_lo, exec_lo, s9
	s_and_saveexec_b32 s9, s13
	s_cbranch_execnz .LBB222_43
.LBB222_18:                             ;   in Loop: Header=BB222_7 Depth=1
	s_or_b32 exec_lo, exec_lo, s9
	s_and_saveexec_b32 s9, s19
	s_cbranch_execnz .LBB222_44
.LBB222_19:                             ;   in Loop: Header=BB222_7 Depth=1
	s_or_b32 exec_lo, exec_lo, s9
	s_and_saveexec_b32 s9, s26
	s_cbranch_execnz .LBB222_45
.LBB222_20:                             ;   in Loop: Header=BB222_7 Depth=1
	s_or_b32 exec_lo, exec_lo, s9
	s_and_saveexec_b32 s9, s34
	s_cbranch_execnz .LBB222_46
.LBB222_21:                             ;   in Loop: Header=BB222_7 Depth=1
	s_or_b32 exec_lo, exec_lo, s9
	s_and_saveexec_b32 s9, s10
	s_cbranch_execnz .LBB222_47
.LBB222_22:                             ;   in Loop: Header=BB222_7 Depth=1
	s_or_b32 exec_lo, exec_lo, s9
	s_and_saveexec_b32 s9, s35
	s_cbranch_execnz .LBB222_48
.LBB222_23:                             ;   in Loop: Header=BB222_7 Depth=1
	s_or_b32 exec_lo, exec_lo, s9
	s_and_saveexec_b32 s9, s36
	s_cbranch_execz .LBB222_25
.LBB222_24:                             ;   in Loop: Header=BB222_7 Depth=1
	ds_load_2addr_b64 v[50:53], v45 offset1:1
	v_add_nc_u64_e32 v[28:29], 0x380, v[28:29]
	v_lshl_add_u64 v[26:27], v[24:25], 4, v[26:27]
	s_delay_alu instid0(VALU_DEP_1)
	v_dual_cndmask_b32 v27, v27, v29, s5 :: v_dual_cndmask_b32 v26, v26, v28, s5
	s_wait_dscnt 0x0
	global_store_b128 v[26:27], v[50:53], off
.LBB222_25:                             ;   in Loop: Header=BB222_7 Depth=1
	s_wait_xcnt 0x0
	s_or_b32 exec_lo, exec_lo, s9
	s_mov_b32 s9, 1
.LBB222_26:                             ;   in Loop: Header=BB222_7 Depth=1
	s_wait_storecnt_dscnt 0x0
	s_barrier_signal -1
	s_barrier_wait -1
	ds_store_b32 v33, v48
	s_wait_dscnt 0x0
	s_barrier_signal -1
	s_barrier_wait -1
	s_and_saveexec_b32 s29, s0
	s_cbranch_execz .LBB222_28
; %bb.27:                               ;   in Loop: Header=BB222_7 Depth=1
	ds_load_2addr_stride64_b32 v[26:27], v33 offset1:2
	s_wait_dscnt 0x0
	v_min_i32_e32 v4, v27, v26
	ds_store_b32 v33, v4
.LBB222_28:                             ;   in Loop: Header=BB222_7 Depth=1
	s_or_b32 exec_lo, exec_lo, s29
	s_wait_dscnt 0x0
	s_barrier_signal -1
	s_barrier_wait -1
	s_and_saveexec_b32 s29, s1
	s_cbranch_execz .LBB222_30
; %bb.29:                               ;   in Loop: Header=BB222_7 Depth=1
	ds_load_2addr_stride64_b32 v[26:27], v33 offset1:1
	s_wait_dscnt 0x0
	v_min_i32_e32 v4, v27, v26
	ds_store_b32 v33, v4
.LBB222_30:                             ;   in Loop: Header=BB222_7 Depth=1
	s_or_b32 exec_lo, exec_lo, s29
	s_wait_dscnt 0x0
	s_barrier_signal -1
	s_barrier_wait -1
	s_and_saveexec_b32 s29, s2
	s_cbranch_execz .LBB222_32
; %bb.31:                               ;   in Loop: Header=BB222_7 Depth=1
	ds_load_2addr_b32 v[26:27], v33 offset1:32
	s_wait_dscnt 0x0
	v_min_i32_e32 v4, v27, v26
	ds_store_b32 v33, v4
.LBB222_32:                             ;   in Loop: Header=BB222_7 Depth=1
	s_or_b32 exec_lo, exec_lo, s29
	s_wait_dscnt 0x0
	s_barrier_signal -1
	s_barrier_wait -1
	s_and_saveexec_b32 s29, s3
	s_cbranch_execz .LBB222_34
; %bb.33:                               ;   in Loop: Header=BB222_7 Depth=1
	ds_load_2addr_b32 v[26:27], v33 offset1:16
	s_wait_dscnt 0x0
	v_min_i32_e32 v4, v27, v26
	ds_store_b32 v33, v4
.LBB222_34:                             ;   in Loop: Header=BB222_7 Depth=1
	s_or_b32 exec_lo, exec_lo, s29
	s_wait_dscnt 0x0
	s_barrier_signal -1
	s_barrier_wait -1
	s_and_saveexec_b32 s29, s4
	s_cbranch_execz .LBB222_36
; %bb.35:                               ;   in Loop: Header=BB222_7 Depth=1
	ds_load_2addr_b32 v[26:27], v33 offset1:8
	s_wait_dscnt 0x0
	v_min_i32_e32 v4, v27, v26
	ds_store_b32 v33, v4
.LBB222_36:                             ;   in Loop: Header=BB222_7 Depth=1
	s_or_b32 exec_lo, exec_lo, s29
	s_wait_dscnt 0x0
	s_barrier_signal -1
	s_barrier_wait -1
	s_and_saveexec_b32 s29, s6
	s_cbranch_execz .LBB222_38
; %bb.37:                               ;   in Loop: Header=BB222_7 Depth=1
	ds_load_2addr_b32 v[26:27], v33 offset1:4
	s_wait_dscnt 0x0
	v_min_i32_e32 v4, v27, v26
	ds_store_b32 v33, v4
.LBB222_38:                             ;   in Loop: Header=BB222_7 Depth=1
	s_or_b32 exec_lo, exec_lo, s29
	s_wait_dscnt 0x0
	s_barrier_signal -1
	s_barrier_wait -1
	s_and_saveexec_b32 s29, s7
	s_cbranch_execz .LBB222_40
; %bb.39:                               ;   in Loop: Header=BB222_7 Depth=1
	ds_load_2addr_b32 v[26:27], v33 offset1:2
	s_wait_dscnt 0x0
	v_min_i32_e32 v4, v27, v26
	ds_store_b32 v33, v4
.LBB222_40:                             ;   in Loop: Header=BB222_7 Depth=1
	s_or_b32 exec_lo, exec_lo, s29
	s_wait_dscnt 0x0
	s_barrier_signal -1
	s_barrier_wait -1
	s_and_saveexec_b32 s29, s8
	s_cbranch_execz .LBB222_6
; %bb.41:                               ;   in Loop: Header=BB222_7 Depth=1
	ds_load_b64 v[26:27], v5
	s_wait_dscnt 0x0
	v_min_i32_e32 v4, v27, v26
	ds_store_b32 v5, v4
	s_branch .LBB222_6
.LBB222_42:                             ;   in Loop: Header=BB222_7 Depth=1
	ds_load_2addr_b64 v[50:53], v35 offset1:1
	v_lshl_add_u64 v[54:55], v[10:11], 4, v[26:27]
	s_delay_alu instid0(VALU_DEP_1)
	v_dual_cndmask_b32 v55, v55, v29, s5 :: v_dual_cndmask_b32 v54, v54, v28, s5
	s_wait_dscnt 0x0
	global_store_b128 v[54:55], v[50:53], off
	s_wait_xcnt 0x0
	s_or_b32 exec_lo, exec_lo, s9
	s_and_saveexec_b32 s9, s13
	s_cbranch_execz .LBB222_18
.LBB222_43:                             ;   in Loop: Header=BB222_7 Depth=1
	ds_load_2addr_b64 v[50:53], v39 offset1:1
	v_add_nc_u64_e32 v[54:55], 0x80, v[28:29]
	v_lshl_add_u64 v[56:57], v[12:13], 4, v[26:27]
	s_delay_alu instid0(VALU_DEP_1)
	v_dual_cndmask_b32 v55, v57, v55, s5 :: v_dual_cndmask_b32 v54, v56, v54, s5
	s_wait_dscnt 0x0
	global_store_b128 v[54:55], v[50:53], off
	s_wait_xcnt 0x0
	s_or_b32 exec_lo, exec_lo, s9
	s_and_saveexec_b32 s9, s19
	s_cbranch_execz .LBB222_19
.LBB222_44:                             ;   in Loop: Header=BB222_7 Depth=1
	ds_load_2addr_b64 v[50:53], v40 offset1:1
	v_add_nc_u64_e32 v[54:55], 0x100, v[28:29]
	v_lshl_add_u64 v[56:57], v[14:15], 4, v[26:27]
	s_delay_alu instid0(VALU_DEP_1)
	v_dual_cndmask_b32 v55, v57, v55, s5 :: v_dual_cndmask_b32 v54, v56, v54, s5
	s_wait_dscnt 0x0
	global_store_b128 v[54:55], v[50:53], off
	s_wait_xcnt 0x0
	s_or_b32 exec_lo, exec_lo, s9
	s_and_saveexec_b32 s9, s26
	s_cbranch_execz .LBB222_20
.LBB222_45:                             ;   in Loop: Header=BB222_7 Depth=1
	ds_load_2addr_b64 v[50:53], v41 offset1:1
	v_add_nc_u64_e32 v[54:55], 0x180, v[28:29]
	v_lshl_add_u64 v[56:57], v[16:17], 4, v[26:27]
	s_delay_alu instid0(VALU_DEP_1)
	v_dual_cndmask_b32 v55, v57, v55, s5 :: v_dual_cndmask_b32 v54, v56, v54, s5
	s_wait_dscnt 0x0
	global_store_b128 v[54:55], v[50:53], off
	s_wait_xcnt 0x0
	s_or_b32 exec_lo, exec_lo, s9
	s_and_saveexec_b32 s9, s34
	s_cbranch_execz .LBB222_21
.LBB222_46:                             ;   in Loop: Header=BB222_7 Depth=1
	ds_load_2addr_b64 v[50:53], v42 offset1:1
	v_add_nc_u64_e32 v[54:55], 0x200, v[28:29]
	v_lshl_add_u64 v[56:57], v[18:19], 4, v[26:27]
	s_delay_alu instid0(VALU_DEP_1)
	v_dual_cndmask_b32 v55, v57, v55, s5 :: v_dual_cndmask_b32 v54, v56, v54, s5
	s_wait_dscnt 0x0
	global_store_b128 v[54:55], v[50:53], off
	s_wait_xcnt 0x0
	s_or_b32 exec_lo, exec_lo, s9
	s_and_saveexec_b32 s9, s10
	s_cbranch_execz .LBB222_22
.LBB222_47:                             ;   in Loop: Header=BB222_7 Depth=1
	ds_load_2addr_b64 v[50:53], v43 offset1:1
	v_add_nc_u64_e32 v[54:55], 0x280, v[28:29]
	v_lshl_add_u64 v[56:57], v[20:21], 4, v[26:27]
	s_delay_alu instid0(VALU_DEP_1)
	v_dual_cndmask_b32 v55, v57, v55, s5 :: v_dual_cndmask_b32 v54, v56, v54, s5
	s_wait_dscnt 0x0
	global_store_b128 v[54:55], v[50:53], off
	s_wait_xcnt 0x0
	s_or_b32 exec_lo, exec_lo, s9
	s_and_saveexec_b32 s9, s35
	s_cbranch_execz .LBB222_23
.LBB222_48:                             ;   in Loop: Header=BB222_7 Depth=1
	ds_load_2addr_b64 v[50:53], v44 offset1:1
	v_add_nc_u64_e32 v[54:55], 0x300, v[28:29]
	v_lshl_add_u64 v[56:57], v[22:23], 4, v[26:27]
	s_delay_alu instid0(VALU_DEP_1)
	v_dual_cndmask_b32 v55, v57, v55, s5 :: v_dual_cndmask_b32 v54, v56, v54, s5
	s_wait_dscnt 0x0
	global_store_b128 v[54:55], v[50:53], off
	s_wait_xcnt 0x0
	s_or_b32 exec_lo, exec_lo, s9
	s_and_saveexec_b32 s9, s36
	s_cbranch_execnz .LBB222_24
	s_branch .LBB222_25
.LBB222_49:
	s_endpgm
	.section	.rodata,"a",@progbits
	.p2align	6, 0x0
	.amdhsa_kernel _ZN9rocsparseL40csr2gebsr_block_per_row_multipass_kernelILj256ELj32ELj64E21rocsparse_complex_numIdEEEv20rocsparse_direction_iiiiii21rocsparse_index_base_PKT2_PKiS9_S4_PS5_PiSB_
		.amdhsa_group_segment_fixed_size 32776
		.amdhsa_private_segment_fixed_size 0
		.amdhsa_kernarg_size 88
		.amdhsa_user_sgpr_count 2
		.amdhsa_user_sgpr_dispatch_ptr 0
		.amdhsa_user_sgpr_queue_ptr 0
		.amdhsa_user_sgpr_kernarg_segment_ptr 1
		.amdhsa_user_sgpr_dispatch_id 0
		.amdhsa_user_sgpr_kernarg_preload_length 0
		.amdhsa_user_sgpr_kernarg_preload_offset 0
		.amdhsa_user_sgpr_private_segment_size 0
		.amdhsa_wavefront_size32 1
		.amdhsa_uses_dynamic_stack 0
		.amdhsa_enable_private_segment 0
		.amdhsa_system_sgpr_workgroup_id_x 1
		.amdhsa_system_sgpr_workgroup_id_y 0
		.amdhsa_system_sgpr_workgroup_id_z 0
		.amdhsa_system_sgpr_workgroup_info 0
		.amdhsa_system_vgpr_workitem_id 0
		.amdhsa_next_free_vgpr 58
		.amdhsa_next_free_sgpr 40
		.amdhsa_named_barrier_count 0
		.amdhsa_reserve_vcc 1
		.amdhsa_float_round_mode_32 0
		.amdhsa_float_round_mode_16_64 0
		.amdhsa_float_denorm_mode_32 3
		.amdhsa_float_denorm_mode_16_64 3
		.amdhsa_fp16_overflow 0
		.amdhsa_memory_ordered 1
		.amdhsa_forward_progress 1
		.amdhsa_inst_pref_size 21
		.amdhsa_round_robin_scheduling 0
		.amdhsa_exception_fp_ieee_invalid_op 0
		.amdhsa_exception_fp_denorm_src 0
		.amdhsa_exception_fp_ieee_div_zero 0
		.amdhsa_exception_fp_ieee_overflow 0
		.amdhsa_exception_fp_ieee_underflow 0
		.amdhsa_exception_fp_ieee_inexact 0
		.amdhsa_exception_int_div_zero 0
	.end_amdhsa_kernel
	.section	.text._ZN9rocsparseL40csr2gebsr_block_per_row_multipass_kernelILj256ELj32ELj64E21rocsparse_complex_numIdEEEv20rocsparse_direction_iiiiii21rocsparse_index_base_PKT2_PKiS9_S4_PS5_PiSB_,"axG",@progbits,_ZN9rocsparseL40csr2gebsr_block_per_row_multipass_kernelILj256ELj32ELj64E21rocsparse_complex_numIdEEEv20rocsparse_direction_iiiiii21rocsparse_index_base_PKT2_PKiS9_S4_PS5_PiSB_,comdat
.Lfunc_end222:
	.size	_ZN9rocsparseL40csr2gebsr_block_per_row_multipass_kernelILj256ELj32ELj64E21rocsparse_complex_numIdEEEv20rocsparse_direction_iiiiii21rocsparse_index_base_PKT2_PKiS9_S4_PS5_PiSB_, .Lfunc_end222-_ZN9rocsparseL40csr2gebsr_block_per_row_multipass_kernelILj256ELj32ELj64E21rocsparse_complex_numIdEEEv20rocsparse_direction_iiiiii21rocsparse_index_base_PKT2_PKiS9_S4_PS5_PiSB_
                                        ; -- End function
	.set _ZN9rocsparseL40csr2gebsr_block_per_row_multipass_kernelILj256ELj32ELj64E21rocsparse_complex_numIdEEEv20rocsparse_direction_iiiiii21rocsparse_index_base_PKT2_PKiS9_S4_PS5_PiSB_.num_vgpr, 58
	.set _ZN9rocsparseL40csr2gebsr_block_per_row_multipass_kernelILj256ELj32ELj64E21rocsparse_complex_numIdEEEv20rocsparse_direction_iiiiii21rocsparse_index_base_PKT2_PKiS9_S4_PS5_PiSB_.num_agpr, 0
	.set _ZN9rocsparseL40csr2gebsr_block_per_row_multipass_kernelILj256ELj32ELj64E21rocsparse_complex_numIdEEEv20rocsparse_direction_iiiiii21rocsparse_index_base_PKT2_PKiS9_S4_PS5_PiSB_.numbered_sgpr, 40
	.set _ZN9rocsparseL40csr2gebsr_block_per_row_multipass_kernelILj256ELj32ELj64E21rocsparse_complex_numIdEEEv20rocsparse_direction_iiiiii21rocsparse_index_base_PKT2_PKiS9_S4_PS5_PiSB_.num_named_barrier, 0
	.set _ZN9rocsparseL40csr2gebsr_block_per_row_multipass_kernelILj256ELj32ELj64E21rocsparse_complex_numIdEEEv20rocsparse_direction_iiiiii21rocsparse_index_base_PKT2_PKiS9_S4_PS5_PiSB_.private_seg_size, 0
	.set _ZN9rocsparseL40csr2gebsr_block_per_row_multipass_kernelILj256ELj32ELj64E21rocsparse_complex_numIdEEEv20rocsparse_direction_iiiiii21rocsparse_index_base_PKT2_PKiS9_S4_PS5_PiSB_.uses_vcc, 1
	.set _ZN9rocsparseL40csr2gebsr_block_per_row_multipass_kernelILj256ELj32ELj64E21rocsparse_complex_numIdEEEv20rocsparse_direction_iiiiii21rocsparse_index_base_PKT2_PKiS9_S4_PS5_PiSB_.uses_flat_scratch, 0
	.set _ZN9rocsparseL40csr2gebsr_block_per_row_multipass_kernelILj256ELj32ELj64E21rocsparse_complex_numIdEEEv20rocsparse_direction_iiiiii21rocsparse_index_base_PKT2_PKiS9_S4_PS5_PiSB_.has_dyn_sized_stack, 0
	.set _ZN9rocsparseL40csr2gebsr_block_per_row_multipass_kernelILj256ELj32ELj64E21rocsparse_complex_numIdEEEv20rocsparse_direction_iiiiii21rocsparse_index_base_PKT2_PKiS9_S4_PS5_PiSB_.has_recursion, 0
	.set _ZN9rocsparseL40csr2gebsr_block_per_row_multipass_kernelILj256ELj32ELj64E21rocsparse_complex_numIdEEEv20rocsparse_direction_iiiiii21rocsparse_index_base_PKT2_PKiS9_S4_PS5_PiSB_.has_indirect_call, 0
	.section	.AMDGPU.csdata,"",@progbits
; Kernel info:
; codeLenInByte = 2624
; TotalNumSgprs: 42
; NumVgprs: 58
; ScratchSize: 0
; MemoryBound: 0
; FloatMode: 240
; IeeeMode: 1
; LDSByteSize: 32776 bytes/workgroup (compile time only)
; SGPRBlocks: 0
; VGPRBlocks: 3
; NumSGPRsForWavesPerEU: 42
; NumVGPRsForWavesPerEU: 58
; NamedBarCnt: 0
; Occupancy: 16
; WaveLimiterHint : 0
; COMPUTE_PGM_RSRC2:SCRATCH_EN: 0
; COMPUTE_PGM_RSRC2:USER_SGPR: 2
; COMPUTE_PGM_RSRC2:TRAP_HANDLER: 0
; COMPUTE_PGM_RSRC2:TGID_X_EN: 1
; COMPUTE_PGM_RSRC2:TGID_Y_EN: 0
; COMPUTE_PGM_RSRC2:TGID_Z_EN: 0
; COMPUTE_PGM_RSRC2:TIDIG_COMP_CNT: 0
	.section	.text._ZN9rocsparseL40csr2gebsr_block_per_row_multipass_kernelILj128ELj64ELj2E21rocsparse_complex_numIdEEEv20rocsparse_direction_iiiiii21rocsparse_index_base_PKT2_PKiS9_S4_PS5_PiSB_,"axG",@progbits,_ZN9rocsparseL40csr2gebsr_block_per_row_multipass_kernelILj128ELj64ELj2E21rocsparse_complex_numIdEEEv20rocsparse_direction_iiiiii21rocsparse_index_base_PKT2_PKiS9_S4_PS5_PiSB_,comdat
	.globl	_ZN9rocsparseL40csr2gebsr_block_per_row_multipass_kernelILj128ELj64ELj2E21rocsparse_complex_numIdEEEv20rocsparse_direction_iiiiii21rocsparse_index_base_PKT2_PKiS9_S4_PS5_PiSB_ ; -- Begin function _ZN9rocsparseL40csr2gebsr_block_per_row_multipass_kernelILj128ELj64ELj2E21rocsparse_complex_numIdEEEv20rocsparse_direction_iiiiii21rocsparse_index_base_PKT2_PKiS9_S4_PS5_PiSB_
	.p2align	8
	.type	_ZN9rocsparseL40csr2gebsr_block_per_row_multipass_kernelILj128ELj64ELj2E21rocsparse_complex_numIdEEEv20rocsparse_direction_iiiiii21rocsparse_index_base_PKT2_PKiS9_S4_PS5_PiSB_,@function
_ZN9rocsparseL40csr2gebsr_block_per_row_multipass_kernelILj128ELj64ELj2E21rocsparse_complex_numIdEEEv20rocsparse_direction_iiiiii21rocsparse_index_base_PKT2_PKiS9_S4_PS5_PiSB_: ; @_ZN9rocsparseL40csr2gebsr_block_per_row_multipass_kernelILj128ELj64ELj2E21rocsparse_complex_numIdEEEv20rocsparse_direction_iiiiii21rocsparse_index_base_PKT2_PKiS9_S4_PS5_PiSB_
; %bb.0:
	s_clause 0x1
	s_load_b128 s[8:11], s[0:1], 0x10
	s_load_b64 s[26:27], s[0:1], 0x0
	s_bfe_u32 s2, ttmp6, 0x4000c
	s_and_b32 s3, ttmp6, 15
	s_add_co_i32 s2, s2, 1
	s_getreg_b32 s4, hwreg(HW_REG_IB_STS2, 6, 4)
	s_mul_i32 s2, ttmp9, s2
	v_dual_mov_b32 v10, 0 :: v_dual_lshrrev_b32 v1, 1, v0
	s_add_co_i32 s3, s3, s2
	s_cmp_eq_u32 s4, 0
	s_load_b64 s[4:5], s[0:1], 0x28
	s_cselect_b32 s12, ttmp9, s3
	v_mov_b32_e32 v8, 0
	s_wait_kmcnt 0x0
	v_mad_u32 v2, s9, s12, v1
	v_cmp_gt_i32_e32 vcc_lo, s9, v1
	s_delay_alu instid0(VALU_DEP_2) | instskip(SKIP_1) | instid1(SALU_CYCLE_1)
	v_cmp_gt_i32_e64 s2, s27, v2
	s_and_b32 s2, vcc_lo, s2
	s_and_saveexec_b32 s3, s2
	s_cbranch_execnz .LBB223_3
; %bb.1:
	s_or_b32 exec_lo, exec_lo, s3
	s_and_saveexec_b32 s3, s2
	s_cbranch_execnz .LBB223_4
.LBB223_2:
	s_or_b32 exec_lo, exec_lo, s3
	s_cmp_lt_i32 s8, 1
	s_cbranch_scc0 .LBB223_5
	s_branch .LBB223_33
.LBB223_3:
	global_load_b32 v3, v2, s[4:5] scale_offset
	s_wait_loadcnt 0x0
	v_subrev_nc_u32_e32 v8, s11, v3
	s_or_b32 exec_lo, exec_lo, s3
	s_and_saveexec_b32 s3, s2
	s_cbranch_execz .LBB223_2
.LBB223_4:
	global_load_b32 v2, v2, s[4:5] offset:4 scale_offset
	s_wait_loadcnt 0x0
	v_subrev_nc_u32_e32 v10, s11, v2
	s_or_b32 exec_lo, exec_lo, s3
	s_cmp_lt_i32 s8, 1
	s_cbranch_scc1 .LBB223_33
.LBB223_5:
	s_clause 0x1
	s_load_b128 s[4:7], s[0:1], 0x40
	s_load_b64 s[16:17], s[0:1], 0x50
	s_ashr_i32 s13, s12, 31
	v_dual_lshlrev_b32 v12, 4, v0 :: v_dual_bitop2_b32 v11, 1, v0 bitop3:0x40
	s_lshl_b64 s[2:3], s[12:13], 2
	v_mul_lo_u32 v2, s10, v1
	v_mov_b32_e32 v5, 0
	s_delay_alu instid0(VALU_DEP_3)
	v_mul_lo_u32 v4, s9, v11
	s_mov_b32 s20, s9
	v_mbcnt_lo_u32_b32 v16, -1, 0
	v_and_b32_e32 v9, 0x7e, v0
	v_mul_i32_i24_e32 v17, -12, v0
	s_mov_b32 s21, 0
	s_mov_b32 s22, s10
	v_lshl_or_b32 v15, v16, 2, 4
	v_dual_mov_b32 v13, 1 :: v_dual_ashrrev_i32 v3, 31, v2
	v_lshlrev_b32_e32 v14, 4, v9
	v_add_nc_u32_e32 v17, v12, v17
	s_wait_kmcnt 0x0
	s_add_nc_u64 s[2:3], s[6:7], s[2:3]
	s_load_b32 s6, s[2:3], 0x0
	s_clause 0x1
	s_load_b96 s[12:14], s[0:1], 0x30
	s_load_b64 s[18:19], s[0:1], 0x20
	s_wait_xcnt 0x0
	v_cmp_gt_u32_e64 s2, s10, v11
	v_lshl_add_u64 v[6:7], v[4:5], 4, s[4:5]
	v_lshlrev_b32_e32 v4, 4, v1
	v_lshl_add_u64 v[2:3], v[2:3], 4, s[4:5]
	v_cmp_gt_u32_e64 s0, 64, v0
	s_and_b32 s9, vcc_lo, s2
	v_cmp_gt_u32_e64 s1, 32, v0
	v_add_nc_u64_e32 v[6:7], v[6:7], v[4:5]
	v_lshlrev_b32_e32 v4, 4, v11
	v_cmp_gt_u32_e64 s2, 16, v0
	v_cmp_gt_u32_e64 s3, 8, v0
	;; [unrolled: 1-line block ×4, first 2 shown]
	v_add_nc_u64_e32 v[18:19], v[2:3], v[4:5]
	v_dual_mov_b32 v3, v5 :: v_dual_bitop2_b32 v2, 1, v16 bitop3:0x14
	s_wait_kmcnt 0x0
	s_sub_co_i32 s24, s6, s14
	s_cmp_eq_u32 s26, 0
	s_delay_alu instid0(VALU_DEP_1)
	v_cmp_gt_i32_e64 s7, 32, v2
	s_cselect_b32 vcc_lo, -1, 0
	s_abs_i32 s15, s10
	v_cndmask_b32_e32 v6, v6, v18, vcc_lo
	s_cvt_f32_u32 s6, s15
	v_cndmask_b32_e64 v4, v16, v2, s7
	s_sub_co_i32 s25, 0, s15
	v_mov_b32_e32 v2, v5
	v_rcp_iflag_f32_e32 v1, s6
	v_cmp_eq_u32_e64 s6, 0, v0
	v_dual_mov_b32 v0, v5 :: v_dual_mov_b32 v18, 0
	v_cndmask_b32_e32 v7, v7, v19, vcc_lo
	s_delay_alu instid0(TRANS32_DEP_1) | instskip(SKIP_3) | instid1(SALU_CYCLE_1)
	v_readfirstlane_b32 s23, v1
	v_dual_mov_b32 v1, v5 :: v_dual_lshlrev_b32 v16, 2, v4
	s_mul_f32 s7, s23, 0x4f7ffffe
	s_ashr_i32 s23, s10, 31
	s_mul_u64 s[26:27], s[22:23], s[20:21]
	s_delay_alu instid0(SALU_CYCLE_1) | instskip(NEXT) | instid1(SALU_CYCLE_3)
	s_cvt_u32_f32 s7, s7
	s_mul_i32 s25, s25, s7
	s_delay_alu instid0(SALU_CYCLE_1) | instskip(NEXT) | instid1(SALU_CYCLE_1)
	s_mul_hi_u32 s25, s7, s25
	s_add_co_i32 s20, s7, s25
	s_branch .LBB223_7
.LBB223_6:                              ;   in Loop: Header=BB223_7 Depth=1
	s_or_b32 exec_lo, exec_lo, s22
	s_wait_dscnt 0x0
	s_barrier_signal -1
	s_barrier_wait -1
	ds_load_b32 v18, v5
	s_add_co_i32 s24, s7, s24
	s_wait_dscnt 0x0
	s_barrier_signal -1
	s_barrier_wait -1
	v_cmp_gt_i32_e32 vcc_lo, s8, v18
	s_cbranch_vccz .LBB223_33
.LBB223_7:                              ; =>This Loop Header: Depth=1
                                        ;     Child Loop BB223_10 Depth 2
	v_dual_mov_b32 v19, s8 :: v_dual_add_nc_u32 v8, v8, v11
	v_mov_b32_e32 v9, v10
	s_mov_b32 s22, exec_lo
	ds_store_b8 v5, v5 offset:2048
	ds_store_b128 v12, v[0:3]
	s_wait_dscnt 0x0
	s_barrier_signal -1
	s_barrier_wait -1
	v_cmpx_lt_i32_e64 v8, v10
	s_cbranch_execz .LBB223_15
; %bb.8:                                ;   in Loop: Header=BB223_7 Depth=1
	v_mul_lo_u32 v20, v18, s10
	v_dual_mov_b32 v19, s8 :: v_dual_mov_b32 v9, v10
	s_mov_b32 s25, 0
	s_branch .LBB223_10
.LBB223_9:                              ;   in Loop: Header=BB223_10 Depth=2
	s_wait_xcnt 0x0
	s_or_b32 exec_lo, exec_lo, s7
	v_add_nc_u32_e32 v8, 2, v8
	s_xor_b32 s28, vcc_lo, -1
	s_delay_alu instid0(VALU_DEP_1) | instskip(SKIP_1) | instid1(SALU_CYCLE_1)
	v_cmp_ge_i32_e64 s7, v8, v10
	s_or_b32 s7, s28, s7
	s_and_b32 s7, exec_lo, s7
	s_delay_alu instid0(SALU_CYCLE_1) | instskip(NEXT) | instid1(SALU_CYCLE_1)
	s_or_b32 s25, s7, s25
	s_and_not1_b32 exec_lo, exec_lo, s25
	s_cbranch_execz .LBB223_14
.LBB223_10:                             ;   Parent Loop BB223_7 Depth=1
                                        ; =>  This Inner Loop Header: Depth=2
	global_load_b32 v4, v8, s[12:13] scale_offset
	s_wait_loadcnt 0x0
	v_subrev_nc_u32_e32 v21, s11, v4
	s_delay_alu instid0(VALU_DEP_1) | instskip(NEXT) | instid1(VALU_DEP_1)
	v_sub_nc_u32_e32 v4, 0, v21
	v_max_i32_e32 v4, v21, v4
	s_delay_alu instid0(VALU_DEP_1) | instskip(NEXT) | instid1(VALU_DEP_1)
	v_mul_u64_e32 v[22:23], s[20:21], v[4:5]
	v_mul_lo_u32 v22, v23, s15
	s_delay_alu instid0(VALU_DEP_1) | instskip(NEXT) | instid1(VALU_DEP_1)
	v_dual_sub_nc_u32 v4, v4, v22 :: v_dual_add_nc_u32 v22, 1, v23
	v_cmp_le_u32_e32 vcc_lo, s15, v4
	s_delay_alu instid0(VALU_DEP_2) | instskip(SKIP_1) | instid1(VALU_DEP_1)
	v_dual_cndmask_b32 v22, v23, v22 :: v_dual_ashrrev_i32 v23, 31, v21
	v_subrev_nc_u32_e32 v24, s15, v4
	v_dual_cndmask_b32 v4, v4, v24, vcc_lo :: v_dual_add_nc_u32 v24, 1, v22
	s_delay_alu instid0(VALU_DEP_1) | instskip(NEXT) | instid1(VALU_DEP_2)
	v_cmp_le_u32_e32 vcc_lo, s15, v4
	v_dual_cndmask_b32 v4, v22, v24, vcc_lo :: v_dual_bitop2_b32 v23, s23, v23 bitop3:0x14
	s_delay_alu instid0(VALU_DEP_1) | instskip(NEXT) | instid1(VALU_DEP_1)
	v_xor_b32_e32 v4, v4, v23
	v_dual_sub_nc_u32 v22, v4, v23 :: v_dual_mov_b32 v4, v9
	s_delay_alu instid0(VALU_DEP_1) | instskip(SKIP_3) | instid1(SALU_CYCLE_1)
	v_cmp_ne_u32_e64 s7, v22, v18
	v_cmp_eq_u32_e32 vcc_lo, v22, v18
	s_wait_xcnt 0x0
	s_and_saveexec_b32 s28, s7
	s_xor_b32 s7, exec_lo, s28
; %bb.11:                               ;   in Loop: Header=BB223_10 Depth=2
	v_min_i32_e32 v19, v22, v19
                                        ; implicit-def: $vgpr21
                                        ; implicit-def: $vgpr4
; %bb.12:                               ;   in Loop: Header=BB223_10 Depth=2
	s_or_saveexec_b32 s7, s7
	v_mov_b32_e32 v9, v8
	s_xor_b32 exec_lo, exec_lo, s7
	s_cbranch_execz .LBB223_9
; %bb.13:                               ;   in Loop: Header=BB223_10 Depth=2
	v_ashrrev_i32_e32 v9, 31, v8
	s_delay_alu instid0(VALU_DEP_1)
	v_lshl_add_u64 v[22:23], v[8:9], 4, s[18:19]
	v_sub_nc_u32_e32 v9, v21, v20
	global_load_b128 v[22:25], v[22:23], off
	v_lshl_add_u32 v21, v9, 4, v14
	v_mov_b32_e32 v9, v4
	ds_store_b8 v5, v13 offset:2048
	s_wait_loadcnt 0x0
	ds_store_2addr_b64 v21, v[22:23], v[24:25] offset1:1
	s_branch .LBB223_9
.LBB223_14:                             ;   in Loop: Header=BB223_7 Depth=1
	s_or_b32 exec_lo, exec_lo, s25
.LBB223_15:                             ;   in Loop: Header=BB223_7 Depth=1
	s_delay_alu instid0(SALU_CYCLE_1)
	s_or_b32 exec_lo, exec_lo, s22
	ds_bpermute_b32 v4, v16, v9
	s_wait_dscnt 0x0
	s_barrier_signal -1
	s_barrier_wait -1
	ds_load_u8 v20, v5 offset:2048
	s_mov_b32 s7, 0
	v_min_i32_e32 v4, v4, v9
	ds_bpermute_b32 v8, v15, v4
	s_wait_dscnt 0x1
	v_and_b32_e32 v4, 1, v20
	s_delay_alu instid0(VALU_DEP_1)
	v_cmp_eq_u32_e32 vcc_lo, 0, v4
	s_cbranch_vccnz .LBB223_19
; %bb.16:                               ;   in Loop: Header=BB223_7 Depth=1
	v_dual_mov_b32 v9, s24 :: v_dual_add_nc_u32 v4, s14, v18
	global_store_b32 v9, v4, s[16:17] scale_offset
	s_wait_xcnt 0x0
	s_and_saveexec_b32 s7, s9
	s_cbranch_execz .LBB223_18
; %bb.17:                               ;   in Loop: Header=BB223_7 Depth=1
	ds_load_2addr_b64 v[20:23], v12 offset1:1
	s_ashr_i32 s25, s24, 31
	s_delay_alu instid0(SALU_CYCLE_1) | instskip(NEXT) | instid1(SALU_CYCLE_1)
	s_mul_u64 s[28:29], s[26:27], s[24:25]
	v_lshl_add_u64 v[24:25], s[28:29], 4, v[6:7]
	s_wait_dscnt 0x0
	global_store_b128 v[24:25], v[20:23], off
.LBB223_18:                             ;   in Loop: Header=BB223_7 Depth=1
	s_wait_xcnt 0x0
	s_or_b32 exec_lo, exec_lo, s7
	s_mov_b32 s7, 1
.LBB223_19:                             ;   in Loop: Header=BB223_7 Depth=1
	s_wait_storecnt_dscnt 0x0
	s_barrier_signal -1
	s_barrier_wait -1
	ds_store_b32 v17, v19
	s_wait_dscnt 0x0
	s_barrier_signal -1
	s_barrier_wait -1
	s_and_saveexec_b32 s22, s0
	s_cbranch_execz .LBB223_21
; %bb.20:                               ;   in Loop: Header=BB223_7 Depth=1
	ds_load_2addr_stride64_b32 v[18:19], v17 offset1:1
	s_wait_dscnt 0x0
	v_min_i32_e32 v4, v19, v18
	ds_store_b32 v17, v4
.LBB223_21:                             ;   in Loop: Header=BB223_7 Depth=1
	s_or_b32 exec_lo, exec_lo, s22
	s_wait_dscnt 0x0
	s_barrier_signal -1
	s_barrier_wait -1
	s_and_saveexec_b32 s22, s1
	s_cbranch_execz .LBB223_23
; %bb.22:                               ;   in Loop: Header=BB223_7 Depth=1
	ds_load_2addr_b32 v[18:19], v17 offset1:32
	s_wait_dscnt 0x0
	v_min_i32_e32 v4, v19, v18
	ds_store_b32 v17, v4
.LBB223_23:                             ;   in Loop: Header=BB223_7 Depth=1
	s_or_b32 exec_lo, exec_lo, s22
	s_wait_dscnt 0x0
	s_barrier_signal -1
	s_barrier_wait -1
	s_and_saveexec_b32 s22, s2
	s_cbranch_execz .LBB223_25
; %bb.24:                               ;   in Loop: Header=BB223_7 Depth=1
	ds_load_2addr_b32 v[18:19], v17 offset1:16
	s_wait_dscnt 0x0
	v_min_i32_e32 v4, v19, v18
	ds_store_b32 v17, v4
.LBB223_25:                             ;   in Loop: Header=BB223_7 Depth=1
	;; [unrolled: 12-line block ×5, first 2 shown]
	s_or_b32 exec_lo, exec_lo, s22
	s_wait_dscnt 0x0
	s_barrier_signal -1
	s_barrier_wait -1
	s_and_saveexec_b32 s22, s6
	s_cbranch_execz .LBB223_6
; %bb.32:                               ;   in Loop: Header=BB223_7 Depth=1
	ds_load_b64 v[18:19], v5
	s_wait_dscnt 0x0
	v_min_i32_e32 v4, v19, v18
	ds_store_b32 v5, v4
	s_branch .LBB223_6
.LBB223_33:
	s_endpgm
	.section	.rodata,"a",@progbits
	.p2align	6, 0x0
	.amdhsa_kernel _ZN9rocsparseL40csr2gebsr_block_per_row_multipass_kernelILj128ELj64ELj2E21rocsparse_complex_numIdEEEv20rocsparse_direction_iiiiii21rocsparse_index_base_PKT2_PKiS9_S4_PS5_PiSB_
		.amdhsa_group_segment_fixed_size 2056
		.amdhsa_private_segment_fixed_size 0
		.amdhsa_kernarg_size 88
		.amdhsa_user_sgpr_count 2
		.amdhsa_user_sgpr_dispatch_ptr 0
		.amdhsa_user_sgpr_queue_ptr 0
		.amdhsa_user_sgpr_kernarg_segment_ptr 1
		.amdhsa_user_sgpr_dispatch_id 0
		.amdhsa_user_sgpr_kernarg_preload_length 0
		.amdhsa_user_sgpr_kernarg_preload_offset 0
		.amdhsa_user_sgpr_private_segment_size 0
		.amdhsa_wavefront_size32 1
		.amdhsa_uses_dynamic_stack 0
		.amdhsa_enable_private_segment 0
		.amdhsa_system_sgpr_workgroup_id_x 1
		.amdhsa_system_sgpr_workgroup_id_y 0
		.amdhsa_system_sgpr_workgroup_id_z 0
		.amdhsa_system_sgpr_workgroup_info 0
		.amdhsa_system_vgpr_workitem_id 0
		.amdhsa_next_free_vgpr 26
		.amdhsa_next_free_sgpr 30
		.amdhsa_named_barrier_count 0
		.amdhsa_reserve_vcc 1
		.amdhsa_float_round_mode_32 0
		.amdhsa_float_round_mode_16_64 0
		.amdhsa_float_denorm_mode_32 3
		.amdhsa_float_denorm_mode_16_64 3
		.amdhsa_fp16_overflow 0
		.amdhsa_memory_ordered 1
		.amdhsa_forward_progress 1
		.amdhsa_inst_pref_size 13
		.amdhsa_round_robin_scheduling 0
		.amdhsa_exception_fp_ieee_invalid_op 0
		.amdhsa_exception_fp_denorm_src 0
		.amdhsa_exception_fp_ieee_div_zero 0
		.amdhsa_exception_fp_ieee_overflow 0
		.amdhsa_exception_fp_ieee_underflow 0
		.amdhsa_exception_fp_ieee_inexact 0
		.amdhsa_exception_int_div_zero 0
	.end_amdhsa_kernel
	.section	.text._ZN9rocsparseL40csr2gebsr_block_per_row_multipass_kernelILj128ELj64ELj2E21rocsparse_complex_numIdEEEv20rocsparse_direction_iiiiii21rocsparse_index_base_PKT2_PKiS9_S4_PS5_PiSB_,"axG",@progbits,_ZN9rocsparseL40csr2gebsr_block_per_row_multipass_kernelILj128ELj64ELj2E21rocsparse_complex_numIdEEEv20rocsparse_direction_iiiiii21rocsparse_index_base_PKT2_PKiS9_S4_PS5_PiSB_,comdat
.Lfunc_end223:
	.size	_ZN9rocsparseL40csr2gebsr_block_per_row_multipass_kernelILj128ELj64ELj2E21rocsparse_complex_numIdEEEv20rocsparse_direction_iiiiii21rocsparse_index_base_PKT2_PKiS9_S4_PS5_PiSB_, .Lfunc_end223-_ZN9rocsparseL40csr2gebsr_block_per_row_multipass_kernelILj128ELj64ELj2E21rocsparse_complex_numIdEEEv20rocsparse_direction_iiiiii21rocsparse_index_base_PKT2_PKiS9_S4_PS5_PiSB_
                                        ; -- End function
	.set _ZN9rocsparseL40csr2gebsr_block_per_row_multipass_kernelILj128ELj64ELj2E21rocsparse_complex_numIdEEEv20rocsparse_direction_iiiiii21rocsparse_index_base_PKT2_PKiS9_S4_PS5_PiSB_.num_vgpr, 26
	.set _ZN9rocsparseL40csr2gebsr_block_per_row_multipass_kernelILj128ELj64ELj2E21rocsparse_complex_numIdEEEv20rocsparse_direction_iiiiii21rocsparse_index_base_PKT2_PKiS9_S4_PS5_PiSB_.num_agpr, 0
	.set _ZN9rocsparseL40csr2gebsr_block_per_row_multipass_kernelILj128ELj64ELj2E21rocsparse_complex_numIdEEEv20rocsparse_direction_iiiiii21rocsparse_index_base_PKT2_PKiS9_S4_PS5_PiSB_.numbered_sgpr, 30
	.set _ZN9rocsparseL40csr2gebsr_block_per_row_multipass_kernelILj128ELj64ELj2E21rocsparse_complex_numIdEEEv20rocsparse_direction_iiiiii21rocsparse_index_base_PKT2_PKiS9_S4_PS5_PiSB_.num_named_barrier, 0
	.set _ZN9rocsparseL40csr2gebsr_block_per_row_multipass_kernelILj128ELj64ELj2E21rocsparse_complex_numIdEEEv20rocsparse_direction_iiiiii21rocsparse_index_base_PKT2_PKiS9_S4_PS5_PiSB_.private_seg_size, 0
	.set _ZN9rocsparseL40csr2gebsr_block_per_row_multipass_kernelILj128ELj64ELj2E21rocsparse_complex_numIdEEEv20rocsparse_direction_iiiiii21rocsparse_index_base_PKT2_PKiS9_S4_PS5_PiSB_.uses_vcc, 1
	.set _ZN9rocsparseL40csr2gebsr_block_per_row_multipass_kernelILj128ELj64ELj2E21rocsparse_complex_numIdEEEv20rocsparse_direction_iiiiii21rocsparse_index_base_PKT2_PKiS9_S4_PS5_PiSB_.uses_flat_scratch, 0
	.set _ZN9rocsparseL40csr2gebsr_block_per_row_multipass_kernelILj128ELj64ELj2E21rocsparse_complex_numIdEEEv20rocsparse_direction_iiiiii21rocsparse_index_base_PKT2_PKiS9_S4_PS5_PiSB_.has_dyn_sized_stack, 0
	.set _ZN9rocsparseL40csr2gebsr_block_per_row_multipass_kernelILj128ELj64ELj2E21rocsparse_complex_numIdEEEv20rocsparse_direction_iiiiii21rocsparse_index_base_PKT2_PKiS9_S4_PS5_PiSB_.has_recursion, 0
	.set _ZN9rocsparseL40csr2gebsr_block_per_row_multipass_kernelILj128ELj64ELj2E21rocsparse_complex_numIdEEEv20rocsparse_direction_iiiiii21rocsparse_index_base_PKT2_PKiS9_S4_PS5_PiSB_.has_indirect_call, 0
	.section	.AMDGPU.csdata,"",@progbits
; Kernel info:
; codeLenInByte = 1580
; TotalNumSgprs: 32
; NumVgprs: 26
; ScratchSize: 0
; MemoryBound: 0
; FloatMode: 240
; IeeeMode: 1
; LDSByteSize: 2056 bytes/workgroup (compile time only)
; SGPRBlocks: 0
; VGPRBlocks: 1
; NumSGPRsForWavesPerEU: 32
; NumVGPRsForWavesPerEU: 26
; NamedBarCnt: 0
; Occupancy: 16
; WaveLimiterHint : 0
; COMPUTE_PGM_RSRC2:SCRATCH_EN: 0
; COMPUTE_PGM_RSRC2:USER_SGPR: 2
; COMPUTE_PGM_RSRC2:TRAP_HANDLER: 0
; COMPUTE_PGM_RSRC2:TGID_X_EN: 1
; COMPUTE_PGM_RSRC2:TGID_Y_EN: 0
; COMPUTE_PGM_RSRC2:TGID_Z_EN: 0
; COMPUTE_PGM_RSRC2:TIDIG_COMP_CNT: 0
	.section	.text._ZN9rocsparseL40csr2gebsr_block_per_row_multipass_kernelILj256ELj64ELj4E21rocsparse_complex_numIdEEEv20rocsparse_direction_iiiiii21rocsparse_index_base_PKT2_PKiS9_S4_PS5_PiSB_,"axG",@progbits,_ZN9rocsparseL40csr2gebsr_block_per_row_multipass_kernelILj256ELj64ELj4E21rocsparse_complex_numIdEEEv20rocsparse_direction_iiiiii21rocsparse_index_base_PKT2_PKiS9_S4_PS5_PiSB_,comdat
	.globl	_ZN9rocsparseL40csr2gebsr_block_per_row_multipass_kernelILj256ELj64ELj4E21rocsparse_complex_numIdEEEv20rocsparse_direction_iiiiii21rocsparse_index_base_PKT2_PKiS9_S4_PS5_PiSB_ ; -- Begin function _ZN9rocsparseL40csr2gebsr_block_per_row_multipass_kernelILj256ELj64ELj4E21rocsparse_complex_numIdEEEv20rocsparse_direction_iiiiii21rocsparse_index_base_PKT2_PKiS9_S4_PS5_PiSB_
	.p2align	8
	.type	_ZN9rocsparseL40csr2gebsr_block_per_row_multipass_kernelILj256ELj64ELj4E21rocsparse_complex_numIdEEEv20rocsparse_direction_iiiiii21rocsparse_index_base_PKT2_PKiS9_S4_PS5_PiSB_,@function
_ZN9rocsparseL40csr2gebsr_block_per_row_multipass_kernelILj256ELj64ELj4E21rocsparse_complex_numIdEEEv20rocsparse_direction_iiiiii21rocsparse_index_base_PKT2_PKiS9_S4_PS5_PiSB_: ; @_ZN9rocsparseL40csr2gebsr_block_per_row_multipass_kernelILj256ELj64ELj4E21rocsparse_complex_numIdEEEv20rocsparse_direction_iiiiii21rocsparse_index_base_PKT2_PKiS9_S4_PS5_PiSB_
; %bb.0:
	s_clause 0x1
	s_load_b128 s[12:15], s[0:1], 0x10
	s_load_b64 s[28:29], s[0:1], 0x0
	s_bfe_u32 s2, ttmp6, 0x4000c
	s_and_b32 s3, ttmp6, 15
	s_add_co_i32 s2, s2, 1
	s_getreg_b32 s4, hwreg(HW_REG_IB_STS2, 6, 4)
	s_mul_i32 s2, ttmp9, s2
	v_dual_mov_b32 v10, 0 :: v_dual_lshrrev_b32 v1, 2, v0
	s_add_co_i32 s3, s3, s2
	s_cmp_eq_u32 s4, 0
	s_load_b64 s[6:7], s[0:1], 0x28
	s_cselect_b32 s4, ttmp9, s3
	v_mov_b32_e32 v8, 0
	s_wait_kmcnt 0x0
	v_mad_u32 v2, s13, s4, v1
	v_cmp_gt_i32_e32 vcc_lo, s13, v1
	s_delay_alu instid0(VALU_DEP_2) | instskip(SKIP_1) | instid1(SALU_CYCLE_1)
	v_cmp_gt_i32_e64 s2, s29, v2
	s_and_b32 s2, vcc_lo, s2
	s_and_saveexec_b32 s3, s2
	s_cbranch_execnz .LBB224_3
; %bb.1:
	s_or_b32 exec_lo, exec_lo, s3
	s_and_saveexec_b32 s3, s2
	s_cbranch_execnz .LBB224_4
.LBB224_2:
	s_or_b32 exec_lo, exec_lo, s3
	s_cmp_lt_i32 s12, 1
	s_cbranch_scc0 .LBB224_5
	s_branch .LBB224_35
.LBB224_3:
	global_load_b32 v3, v2, s[6:7] scale_offset
	s_wait_loadcnt 0x0
	v_subrev_nc_u32_e32 v8, s15, v3
	s_or_b32 exec_lo, exec_lo, s3
	s_and_saveexec_b32 s3, s2
	s_cbranch_execz .LBB224_2
.LBB224_4:
	global_load_b32 v2, v2, s[6:7] offset:4 scale_offset
	s_wait_loadcnt 0x0
	v_subrev_nc_u32_e32 v10, s15, v2
	s_or_b32 exec_lo, exec_lo, s3
	s_cmp_lt_i32 s12, 1
	s_cbranch_scc1 .LBB224_35
.LBB224_5:
	s_clause 0x3
	s_load_b128 s[8:11], s[0:1], 0x40
	s_load_b64 s[20:21], s[0:1], 0x50
	s_load_b96 s[16:18], s[0:1], 0x30
	s_load_b64 s[22:23], s[0:1], 0x20
	s_ashr_i32 s5, s4, 31
	v_dual_lshlrev_b32 v12, 4, v0 :: v_dual_bitop2_b32 v11, 3, v0 bitop3:0x40
	s_wait_xcnt 0x0
	s_lshl_b64 s[0:1], s[4:5], 2
	v_mul_lo_u32 v2, s14, v1
	v_mov_b32_e32 v5, 0
	v_mul_lo_u32 v4, s13, v11
	v_cmp_gt_u32_e64 s7, s14, v11
	v_and_b32_e32 v9, 0xfc, v0
	v_mbcnt_lo_u32_b32 v16, -1, 0
	s_mov_b32 s24, s13
	v_mul_i32_i24_e32 v20, -12, v0
	v_cmp_gt_u32_e64 s2, 32, v0
	v_cmp_gt_u32_e64 s3, 16, v0
	;; [unrolled: 1-line block ×3, first 2 shown]
	v_ashrrev_i32_e32 v3, 31, v2
	s_wait_kmcnt 0x0
	s_add_nc_u64 s[0:1], s[10:11], s[0:1]
	v_lshl_add_u64 v[6:7], v[4:5], 4, s[8:9]
	s_load_b32 s11, s[0:1], 0x0
	v_dual_mov_b32 v13, 1 :: v_dual_lshlrev_b32 v4, 4, v1
	v_lshl_add_u64 v[2:3], v[2:3], 4, s[8:9]
	s_and_b32 s9, vcc_lo, s7
	v_lshlrev_b32_e32 v14, 4, v9
	s_delay_alu instid0(VALU_DEP_3)
	v_add_nc_u64_e32 v[6:7], v[6:7], v[4:5]
	v_lshlrev_b32_e32 v4, 4, v11
	s_wait_xcnt 0x0
	v_cmp_gt_u32_e64 s0, 0x80, v0
	v_cmp_gt_u32_e64 s1, 64, v0
	;; [unrolled: 1-line block ×4, first 2 shown]
	v_add_nc_u64_e32 v[18:19], v[2:3], v[4:5]
	v_xor_b32_e32 v2, 2, v16
	v_cmp_eq_u32_e64 s7, 0, v0
	v_dual_mov_b32 v1, v5 :: v_dual_bitop2_b32 v4, 1, v16 bitop3:0x14
	v_mov_b32_e32 v0, v5
	v_lshl_or_b32 v15, v16, 2, 12
	s_mov_b32 s25, 0
	s_wait_kmcnt 0x0
	s_sub_co_i32 s26, s11, s18
	s_cmp_eq_u32 s28, 0
	s_mov_b32 s10, s14
	s_cselect_b32 vcc_lo, -1, 0
	s_abs_i32 s13, s14
	v_dual_cndmask_b32 v7, v7, v19 :: v_dual_cndmask_b32 v6, v6, v18
	s_cvt_f32_u32 s8, s13
	s_sub_co_i32 s19, 0, s13
	v_dual_mov_b32 v19, 0 :: v_dual_add_nc_u32 v18, v12, v20
	s_delay_alu instid0(SALU_CYCLE_1) | instskip(SKIP_1) | instid1(VALU_DEP_1)
	v_rcp_iflag_f32_e32 v3, s8
	v_cmp_gt_i32_e64 s8, 32, v2
	v_cndmask_b32_e64 v9, v16, v2, s8
	s_delay_alu instid0(TRANS32_DEP_1) | instskip(SKIP_2) | instid1(VALU_DEP_2)
	v_readfirstlane_b32 s11, v3
	v_cmp_gt_i32_e64 s8, 32, v4
	v_dual_mov_b32 v2, v5 :: v_dual_mov_b32 v3, v5
	v_cndmask_b32_e64 v4, v16, v4, s8
	s_delay_alu instid0(VALU_DEP_4) | instskip(SKIP_2) | instid1(SALU_CYCLE_1)
	s_mul_f32 s8, s11, 0x4f7ffffe
	v_lshlrev_b32_e32 v16, 2, v9
	s_ashr_i32 s11, s14, 31
	s_cvt_u32_f32 s8, s8
	v_lshlrev_b32_e32 v17, 2, v4
	s_mul_u64 s[28:29], s[10:11], s[24:25]
	s_delay_alu instid0(SALU_CYCLE_1) | instskip(NEXT) | instid1(SALU_CYCLE_1)
	s_mul_i32 s19, s19, s8
	s_mul_hi_u32 s19, s8, s19
	s_delay_alu instid0(SALU_CYCLE_1)
	s_add_co_i32 s24, s8, s19
	s_branch .LBB224_7
.LBB224_6:                              ;   in Loop: Header=BB224_7 Depth=1
	s_or_b32 exec_lo, exec_lo, s10
	s_wait_dscnt 0x0
	s_barrier_signal -1
	s_barrier_wait -1
	ds_load_b32 v19, v5
	s_add_co_i32 s26, s8, s26
	s_wait_dscnt 0x0
	s_barrier_signal -1
	s_barrier_wait -1
	v_cmp_gt_i32_e32 vcc_lo, s12, v19
	s_cbranch_vccz .LBB224_35
.LBB224_7:                              ; =>This Loop Header: Depth=1
                                        ;     Child Loop BB224_10 Depth 2
	v_dual_add_nc_u32 v8, v8, v11 :: v_dual_mov_b32 v20, s12
	v_mov_b32_e32 v9, v10
	s_mov_b32 s10, exec_lo
	ds_store_b8 v5, v5 offset:4096
	ds_store_b128 v12, v[0:3]
	s_wait_dscnt 0x0
	s_barrier_signal -1
	s_barrier_wait -1
	v_cmpx_lt_i32_e64 v8, v10
	s_cbranch_execz .LBB224_15
; %bb.8:                                ;   in Loop: Header=BB224_7 Depth=1
	v_mul_lo_u32 v21, v19, s14
	v_dual_mov_b32 v20, s12 :: v_dual_mov_b32 v9, v10
	s_mov_b32 s19, 0
	s_branch .LBB224_10
.LBB224_9:                              ;   in Loop: Header=BB224_10 Depth=2
	s_wait_xcnt 0x0
	s_or_b32 exec_lo, exec_lo, s8
	v_add_nc_u32_e32 v8, 4, v8
	s_xor_b32 s27, vcc_lo, -1
	s_delay_alu instid0(VALU_DEP_1) | instskip(SKIP_1) | instid1(SALU_CYCLE_1)
	v_cmp_ge_i32_e64 s8, v8, v10
	s_or_b32 s8, s27, s8
	s_and_b32 s8, exec_lo, s8
	s_delay_alu instid0(SALU_CYCLE_1) | instskip(NEXT) | instid1(SALU_CYCLE_1)
	s_or_b32 s19, s8, s19
	s_and_not1_b32 exec_lo, exec_lo, s19
	s_cbranch_execz .LBB224_14
.LBB224_10:                             ;   Parent Loop BB224_7 Depth=1
                                        ; =>  This Inner Loop Header: Depth=2
	global_load_b32 v4, v8, s[16:17] scale_offset
	s_wait_loadcnt 0x0
	v_subrev_nc_u32_e32 v22, s15, v4
	s_delay_alu instid0(VALU_DEP_1) | instskip(NEXT) | instid1(VALU_DEP_1)
	v_sub_nc_u32_e32 v4, 0, v22
	v_max_i32_e32 v4, v22, v4
	s_delay_alu instid0(VALU_DEP_1) | instskip(NEXT) | instid1(VALU_DEP_1)
	v_mul_u64_e32 v[24:25], s[24:25], v[4:5]
	v_mul_lo_u32 v23, v25, s13
	s_delay_alu instid0(VALU_DEP_1) | instskip(NEXT) | instid1(VALU_DEP_1)
	v_dual_sub_nc_u32 v4, v4, v23 :: v_dual_add_nc_u32 v23, 1, v25
	v_cmp_le_u32_e32 vcc_lo, s13, v4
	s_delay_alu instid0(VALU_DEP_2) | instskip(SKIP_1) | instid1(VALU_DEP_1)
	v_dual_cndmask_b32 v23, v25, v23, vcc_lo :: v_dual_ashrrev_i32 v25, 31, v22
	v_subrev_nc_u32_e32 v24, s13, v4
	v_dual_cndmask_b32 v4, v4, v24, vcc_lo :: v_dual_add_nc_u32 v24, 1, v23
	s_delay_alu instid0(VALU_DEP_1) | instskip(NEXT) | instid1(VALU_DEP_2)
	v_cmp_le_u32_e32 vcc_lo, s13, v4
	v_dual_cndmask_b32 v4, v23, v24, vcc_lo :: v_dual_bitop2_b32 v25, s11, v25 bitop3:0x14
	s_delay_alu instid0(VALU_DEP_1) | instskip(NEXT) | instid1(VALU_DEP_1)
	v_xor_b32_e32 v4, v4, v25
	v_dual_mov_b32 v4, v9 :: v_dual_sub_nc_u32 v23, v4, v25
	s_delay_alu instid0(VALU_DEP_1) | instskip(SKIP_3) | instid1(SALU_CYCLE_1)
	v_cmp_ne_u32_e64 s8, v23, v19
	v_cmp_eq_u32_e32 vcc_lo, v23, v19
	s_wait_xcnt 0x0
	s_and_saveexec_b32 s27, s8
	s_xor_b32 s8, exec_lo, s27
; %bb.11:                               ;   in Loop: Header=BB224_10 Depth=2
	v_min_i32_e32 v20, v23, v20
                                        ; implicit-def: $vgpr22
                                        ; implicit-def: $vgpr4
; %bb.12:                               ;   in Loop: Header=BB224_10 Depth=2
	s_or_saveexec_b32 s8, s8
	v_mov_b32_e32 v9, v8
	s_xor_b32 exec_lo, exec_lo, s8
	s_cbranch_execz .LBB224_9
; %bb.13:                               ;   in Loop: Header=BB224_10 Depth=2
	v_ashrrev_i32_e32 v9, 31, v8
	s_delay_alu instid0(VALU_DEP_1)
	v_lshl_add_u64 v[24:25], v[8:9], 4, s[22:23]
	v_sub_nc_u32_e32 v9, v22, v21
	global_load_b128 v[24:27], v[24:25], off
	v_lshl_add_u32 v22, v9, 4, v14
	v_mov_b32_e32 v9, v4
	ds_store_b8 v5, v13 offset:4096
	s_wait_loadcnt 0x0
	ds_store_2addr_b64 v22, v[24:25], v[26:27] offset1:1
	s_branch .LBB224_9
.LBB224_14:                             ;   in Loop: Header=BB224_7 Depth=1
	s_or_b32 exec_lo, exec_lo, s19
.LBB224_15:                             ;   in Loop: Header=BB224_7 Depth=1
	s_delay_alu instid0(SALU_CYCLE_1)
	s_or_b32 exec_lo, exec_lo, s10
	ds_bpermute_b32 v4, v16, v9
	s_wait_dscnt 0x0
	s_barrier_signal -1
	s_barrier_wait -1
	s_mov_b32 s8, 0
	v_min_i32_e32 v4, v4, v9
	ds_load_u8 v9, v5 offset:4096
	ds_bpermute_b32 v8, v17, v4
	s_wait_dscnt 0x0
	v_min_i32_e32 v4, v8, v4
	ds_bpermute_b32 v8, v15, v4
	v_and_b32_e32 v4, 1, v9
	s_delay_alu instid0(VALU_DEP_1)
	v_cmp_eq_u32_e32 vcc_lo, 0, v4
	s_cbranch_vccnz .LBB224_19
; %bb.16:                               ;   in Loop: Header=BB224_7 Depth=1
	v_dual_mov_b32 v9, s26 :: v_dual_add_nc_u32 v4, s18, v19
	global_store_b32 v9, v4, s[20:21] scale_offset
	s_wait_xcnt 0x0
	s_and_saveexec_b32 s8, s9
	s_cbranch_execz .LBB224_18
; %bb.17:                               ;   in Loop: Header=BB224_7 Depth=1
	ds_load_2addr_b64 v[22:25], v12 offset1:1
	s_ashr_i32 s27, s26, 31
	s_delay_alu instid0(SALU_CYCLE_1) | instskip(NEXT) | instid1(SALU_CYCLE_1)
	s_mul_u64 s[30:31], s[28:29], s[26:27]
	v_lshl_add_u64 v[26:27], s[30:31], 4, v[6:7]
	s_wait_dscnt 0x0
	global_store_b128 v[26:27], v[22:25], off
.LBB224_18:                             ;   in Loop: Header=BB224_7 Depth=1
	s_wait_xcnt 0x0
	s_or_b32 exec_lo, exec_lo, s8
	s_mov_b32 s8, 1
.LBB224_19:                             ;   in Loop: Header=BB224_7 Depth=1
	s_wait_storecnt_dscnt 0x0
	s_barrier_signal -1
	s_barrier_wait -1
	ds_store_b32 v18, v20
	s_wait_dscnt 0x0
	s_barrier_signal -1
	s_barrier_wait -1
	s_and_saveexec_b32 s10, s0
	s_cbranch_execz .LBB224_21
; %bb.20:                               ;   in Loop: Header=BB224_7 Depth=1
	ds_load_2addr_stride64_b32 v[20:21], v18 offset1:2
	s_wait_dscnt 0x0
	v_min_i32_e32 v4, v21, v20
	ds_store_b32 v18, v4
.LBB224_21:                             ;   in Loop: Header=BB224_7 Depth=1
	s_or_b32 exec_lo, exec_lo, s10
	s_wait_dscnt 0x0
	s_barrier_signal -1
	s_barrier_wait -1
	s_and_saveexec_b32 s10, s1
	s_cbranch_execz .LBB224_23
; %bb.22:                               ;   in Loop: Header=BB224_7 Depth=1
	ds_load_2addr_stride64_b32 v[20:21], v18 offset1:1
	s_wait_dscnt 0x0
	v_min_i32_e32 v4, v21, v20
	ds_store_b32 v18, v4
.LBB224_23:                             ;   in Loop: Header=BB224_7 Depth=1
	s_or_b32 exec_lo, exec_lo, s10
	s_wait_dscnt 0x0
	s_barrier_signal -1
	s_barrier_wait -1
	s_and_saveexec_b32 s10, s2
	s_cbranch_execz .LBB224_25
; %bb.24:                               ;   in Loop: Header=BB224_7 Depth=1
	ds_load_2addr_b32 v[20:21], v18 offset1:32
	s_wait_dscnt 0x0
	v_min_i32_e32 v4, v21, v20
	ds_store_b32 v18, v4
.LBB224_25:                             ;   in Loop: Header=BB224_7 Depth=1
	s_or_b32 exec_lo, exec_lo, s10
	s_wait_dscnt 0x0
	s_barrier_signal -1
	s_barrier_wait -1
	s_and_saveexec_b32 s10, s3
	s_cbranch_execz .LBB224_27
; %bb.26:                               ;   in Loop: Header=BB224_7 Depth=1
	ds_load_2addr_b32 v[20:21], v18 offset1:16
	s_wait_dscnt 0x0
	v_min_i32_e32 v4, v21, v20
	ds_store_b32 v18, v4
.LBB224_27:                             ;   in Loop: Header=BB224_7 Depth=1
	;; [unrolled: 12-line block ×5, first 2 shown]
	s_or_b32 exec_lo, exec_lo, s10
	s_wait_dscnt 0x0
	s_barrier_signal -1
	s_barrier_wait -1
	s_and_saveexec_b32 s10, s7
	s_cbranch_execz .LBB224_6
; %bb.34:                               ;   in Loop: Header=BB224_7 Depth=1
	ds_load_b64 v[20:21], v5
	s_wait_dscnt 0x0
	v_min_i32_e32 v4, v21, v20
	ds_store_b32 v5, v4
	s_branch .LBB224_6
.LBB224_35:
	s_endpgm
	.section	.rodata,"a",@progbits
	.p2align	6, 0x0
	.amdhsa_kernel _ZN9rocsparseL40csr2gebsr_block_per_row_multipass_kernelILj256ELj64ELj4E21rocsparse_complex_numIdEEEv20rocsparse_direction_iiiiii21rocsparse_index_base_PKT2_PKiS9_S4_PS5_PiSB_
		.amdhsa_group_segment_fixed_size 4104
		.amdhsa_private_segment_fixed_size 0
		.amdhsa_kernarg_size 88
		.amdhsa_user_sgpr_count 2
		.amdhsa_user_sgpr_dispatch_ptr 0
		.amdhsa_user_sgpr_queue_ptr 0
		.amdhsa_user_sgpr_kernarg_segment_ptr 1
		.amdhsa_user_sgpr_dispatch_id 0
		.amdhsa_user_sgpr_kernarg_preload_length 0
		.amdhsa_user_sgpr_kernarg_preload_offset 0
		.amdhsa_user_sgpr_private_segment_size 0
		.amdhsa_wavefront_size32 1
		.amdhsa_uses_dynamic_stack 0
		.amdhsa_enable_private_segment 0
		.amdhsa_system_sgpr_workgroup_id_x 1
		.amdhsa_system_sgpr_workgroup_id_y 0
		.amdhsa_system_sgpr_workgroup_id_z 0
		.amdhsa_system_sgpr_workgroup_info 0
		.amdhsa_system_vgpr_workitem_id 0
		.amdhsa_next_free_vgpr 28
		.amdhsa_next_free_sgpr 32
		.amdhsa_named_barrier_count 0
		.amdhsa_reserve_vcc 1
		.amdhsa_float_round_mode_32 0
		.amdhsa_float_round_mode_16_64 0
		.amdhsa_float_denorm_mode_32 3
		.amdhsa_float_denorm_mode_16_64 3
		.amdhsa_fp16_overflow 0
		.amdhsa_memory_ordered 1
		.amdhsa_forward_progress 1
		.amdhsa_inst_pref_size 14
		.amdhsa_round_robin_scheduling 0
		.amdhsa_exception_fp_ieee_invalid_op 0
		.amdhsa_exception_fp_denorm_src 0
		.amdhsa_exception_fp_ieee_div_zero 0
		.amdhsa_exception_fp_ieee_overflow 0
		.amdhsa_exception_fp_ieee_underflow 0
		.amdhsa_exception_fp_ieee_inexact 0
		.amdhsa_exception_int_div_zero 0
	.end_amdhsa_kernel
	.section	.text._ZN9rocsparseL40csr2gebsr_block_per_row_multipass_kernelILj256ELj64ELj4E21rocsparse_complex_numIdEEEv20rocsparse_direction_iiiiii21rocsparse_index_base_PKT2_PKiS9_S4_PS5_PiSB_,"axG",@progbits,_ZN9rocsparseL40csr2gebsr_block_per_row_multipass_kernelILj256ELj64ELj4E21rocsparse_complex_numIdEEEv20rocsparse_direction_iiiiii21rocsparse_index_base_PKT2_PKiS9_S4_PS5_PiSB_,comdat
.Lfunc_end224:
	.size	_ZN9rocsparseL40csr2gebsr_block_per_row_multipass_kernelILj256ELj64ELj4E21rocsparse_complex_numIdEEEv20rocsparse_direction_iiiiii21rocsparse_index_base_PKT2_PKiS9_S4_PS5_PiSB_, .Lfunc_end224-_ZN9rocsparseL40csr2gebsr_block_per_row_multipass_kernelILj256ELj64ELj4E21rocsparse_complex_numIdEEEv20rocsparse_direction_iiiiii21rocsparse_index_base_PKT2_PKiS9_S4_PS5_PiSB_
                                        ; -- End function
	.set _ZN9rocsparseL40csr2gebsr_block_per_row_multipass_kernelILj256ELj64ELj4E21rocsparse_complex_numIdEEEv20rocsparse_direction_iiiiii21rocsparse_index_base_PKT2_PKiS9_S4_PS5_PiSB_.num_vgpr, 28
	.set _ZN9rocsparseL40csr2gebsr_block_per_row_multipass_kernelILj256ELj64ELj4E21rocsparse_complex_numIdEEEv20rocsparse_direction_iiiiii21rocsparse_index_base_PKT2_PKiS9_S4_PS5_PiSB_.num_agpr, 0
	.set _ZN9rocsparseL40csr2gebsr_block_per_row_multipass_kernelILj256ELj64ELj4E21rocsparse_complex_numIdEEEv20rocsparse_direction_iiiiii21rocsparse_index_base_PKT2_PKiS9_S4_PS5_PiSB_.numbered_sgpr, 32
	.set _ZN9rocsparseL40csr2gebsr_block_per_row_multipass_kernelILj256ELj64ELj4E21rocsparse_complex_numIdEEEv20rocsparse_direction_iiiiii21rocsparse_index_base_PKT2_PKiS9_S4_PS5_PiSB_.num_named_barrier, 0
	.set _ZN9rocsparseL40csr2gebsr_block_per_row_multipass_kernelILj256ELj64ELj4E21rocsparse_complex_numIdEEEv20rocsparse_direction_iiiiii21rocsparse_index_base_PKT2_PKiS9_S4_PS5_PiSB_.private_seg_size, 0
	.set _ZN9rocsparseL40csr2gebsr_block_per_row_multipass_kernelILj256ELj64ELj4E21rocsparse_complex_numIdEEEv20rocsparse_direction_iiiiii21rocsparse_index_base_PKT2_PKiS9_S4_PS5_PiSB_.uses_vcc, 1
	.set _ZN9rocsparseL40csr2gebsr_block_per_row_multipass_kernelILj256ELj64ELj4E21rocsparse_complex_numIdEEEv20rocsparse_direction_iiiiii21rocsparse_index_base_PKT2_PKiS9_S4_PS5_PiSB_.uses_flat_scratch, 0
	.set _ZN9rocsparseL40csr2gebsr_block_per_row_multipass_kernelILj256ELj64ELj4E21rocsparse_complex_numIdEEEv20rocsparse_direction_iiiiii21rocsparse_index_base_PKT2_PKiS9_S4_PS5_PiSB_.has_dyn_sized_stack, 0
	.set _ZN9rocsparseL40csr2gebsr_block_per_row_multipass_kernelILj256ELj64ELj4E21rocsparse_complex_numIdEEEv20rocsparse_direction_iiiiii21rocsparse_index_base_PKT2_PKiS9_S4_PS5_PiSB_.has_recursion, 0
	.set _ZN9rocsparseL40csr2gebsr_block_per_row_multipass_kernelILj256ELj64ELj4E21rocsparse_complex_numIdEEEv20rocsparse_direction_iiiiii21rocsparse_index_base_PKT2_PKiS9_S4_PS5_PiSB_.has_indirect_call, 0
	.section	.AMDGPU.csdata,"",@progbits
; Kernel info:
; codeLenInByte = 1672
; TotalNumSgprs: 34
; NumVgprs: 28
; ScratchSize: 0
; MemoryBound: 0
; FloatMode: 240
; IeeeMode: 1
; LDSByteSize: 4104 bytes/workgroup (compile time only)
; SGPRBlocks: 0
; VGPRBlocks: 1
; NumSGPRsForWavesPerEU: 34
; NumVGPRsForWavesPerEU: 28
; NamedBarCnt: 0
; Occupancy: 16
; WaveLimiterHint : 0
; COMPUTE_PGM_RSRC2:SCRATCH_EN: 0
; COMPUTE_PGM_RSRC2:USER_SGPR: 2
; COMPUTE_PGM_RSRC2:TRAP_HANDLER: 0
; COMPUTE_PGM_RSRC2:TGID_X_EN: 1
; COMPUTE_PGM_RSRC2:TGID_Y_EN: 0
; COMPUTE_PGM_RSRC2:TGID_Z_EN: 0
; COMPUTE_PGM_RSRC2:TIDIG_COMP_CNT: 0
	.section	.text._ZN9rocsparseL40csr2gebsr_block_per_row_multipass_kernelILj256ELj64ELj8E21rocsparse_complex_numIdEEEv20rocsparse_direction_iiiiii21rocsparse_index_base_PKT2_PKiS9_S4_PS5_PiSB_,"axG",@progbits,_ZN9rocsparseL40csr2gebsr_block_per_row_multipass_kernelILj256ELj64ELj8E21rocsparse_complex_numIdEEEv20rocsparse_direction_iiiiii21rocsparse_index_base_PKT2_PKiS9_S4_PS5_PiSB_,comdat
	.globl	_ZN9rocsparseL40csr2gebsr_block_per_row_multipass_kernelILj256ELj64ELj8E21rocsparse_complex_numIdEEEv20rocsparse_direction_iiiiii21rocsparse_index_base_PKT2_PKiS9_S4_PS5_PiSB_ ; -- Begin function _ZN9rocsparseL40csr2gebsr_block_per_row_multipass_kernelILj256ELj64ELj8E21rocsparse_complex_numIdEEEv20rocsparse_direction_iiiiii21rocsparse_index_base_PKT2_PKiS9_S4_PS5_PiSB_
	.p2align	8
	.type	_ZN9rocsparseL40csr2gebsr_block_per_row_multipass_kernelILj256ELj64ELj8E21rocsparse_complex_numIdEEEv20rocsparse_direction_iiiiii21rocsparse_index_base_PKT2_PKiS9_S4_PS5_PiSB_,@function
_ZN9rocsparseL40csr2gebsr_block_per_row_multipass_kernelILj256ELj64ELj8E21rocsparse_complex_numIdEEEv20rocsparse_direction_iiiiii21rocsparse_index_base_PKT2_PKiS9_S4_PS5_PiSB_: ; @_ZN9rocsparseL40csr2gebsr_block_per_row_multipass_kernelILj256ELj64ELj8E21rocsparse_complex_numIdEEEv20rocsparse_direction_iiiiii21rocsparse_index_base_PKT2_PKiS9_S4_PS5_PiSB_
; %bb.0:
	s_clause 0x1
	s_load_b128 s[12:15], s[0:1], 0x10
	s_load_b64 s[8:9], s[0:1], 0x0
	s_bfe_u32 s2, ttmp6, 0x4000c
	s_and_b32 s3, ttmp6, 15
	s_add_co_i32 s2, s2, 1
	s_getreg_b32 s4, hwreg(HW_REG_IB_STS2, 6, 4)
	s_mul_i32 s2, ttmp9, s2
	v_dual_mov_b32 v18, 0 :: v_dual_lshrrev_b32 v1, 2, v0
	s_add_co_i32 s3, s3, s2
	s_cmp_eq_u32 s4, 0
	s_load_b64 s[6:7], s[0:1], 0x28
	s_cselect_b32 s4, ttmp9, s3
	v_mov_b32_e32 v27, 0
	s_wait_kmcnt 0x0
	v_mad_u32 v2, s13, s4, v1
	v_cmp_gt_i32_e32 vcc_lo, s13, v1
	s_delay_alu instid0(VALU_DEP_2) | instskip(SKIP_1) | instid1(SALU_CYCLE_1)
	v_cmp_gt_i32_e64 s2, s9, v2
	s_and_b32 s2, vcc_lo, s2
	s_and_saveexec_b32 s3, s2
	s_cbranch_execnz .LBB225_3
; %bb.1:
	s_or_b32 exec_lo, exec_lo, s3
	s_and_saveexec_b32 s3, s2
	s_cbranch_execnz .LBB225_4
.LBB225_2:
	s_or_b32 exec_lo, exec_lo, s3
	s_cmp_lt_i32 s12, 1
	s_cbranch_scc0 .LBB225_5
	s_branch .LBB225_37
.LBB225_3:
	global_load_b32 v3, v2, s[6:7] scale_offset
	s_wait_loadcnt 0x0
	v_subrev_nc_u32_e32 v27, s15, v3
	s_or_b32 exec_lo, exec_lo, s3
	s_and_saveexec_b32 s3, s2
	s_cbranch_execz .LBB225_2
.LBB225_4:
	global_load_b32 v2, v2, s[6:7] offset:4 scale_offset
	s_wait_loadcnt 0x0
	v_subrev_nc_u32_e32 v18, s15, v2
	s_or_b32 exec_lo, exec_lo, s3
	s_cmp_lt_i32 s12, 1
	s_cbranch_scc1 .LBB225_37
.LBB225_5:
	s_clause 0x3
	s_load_b128 s[16:19], s[0:1], 0x40
	s_load_b64 s[24:25], s[0:1], 0x50
	s_load_b96 s[20:22], s[0:1], 0x30
	s_load_b64 s[26:27], s[0:1], 0x20
	s_ashr_i32 s5, s4, 31
	v_mbcnt_lo_u32_b32 v8, -1, 0
	s_wait_xcnt 0x0
	s_lshl_b64 s[0:1], s[4:5], 2
	v_dual_mov_b32 v5, 0 :: v_dual_lshlrev_b32 v4, 4, v1
	v_dual_lshlrev_b32 v20, 7, v1 :: v_dual_bitop2_b32 v19, 3, v0 bitop3:0x40
	v_xor_b32_e32 v11, 2, v8
	s_delay_alu instid0(VALU_DEP_3)
	v_dual_mov_b32 v7, v5 :: v_dual_bitop2_b32 v14, 1, v8 bitop3:0x14
	v_mov_b32_e32 v13, v5
	v_mul_lo_u32 v10, s14, v1
	v_mul_lo_u32 v6, v19, s13
	v_dual_lshlrev_b32 v21, 2, v0 :: v_dual_lshlrev_b32 v12, 4, v19
	v_lshl_or_b32 v22, v8, 2, 12
	s_wait_kmcnt 0x0
	s_add_nc_u64 s[0:1], s[18:19], s[0:1]
	v_dual_mov_b32 v9, v5 :: v_dual_bitop2_b32 v15, 4, v19 bitop3:0x54
	s_load_b32 s10, s[0:1], 0x0
	v_or_b32_e32 v23, v20, v12
	s_mov_b32 s28, s13
	v_cmp_gt_u32_e64 s9, s14, v19
	s_mov_b32 s29, 0
	s_wait_xcnt 0x0
	v_cmp_gt_u32_e64 s0, 0x80, v0
	s_mov_b32 s36, s29
	s_mov_b32 s37, s29
	;; [unrolled: 1-line block ×4, first 2 shown]
	v_cmp_gt_u32_e64 s1, 64, v0
	v_cmp_gt_u32_e64 s2, 32, v0
	;; [unrolled: 1-line block ×6, first 2 shown]
	v_cmp_eq_u32_e64 s7, 0, v0
	v_mov_b64_e32 v[0:1], s[36:37]
	v_mov_b64_e32 v[2:3], s[38:39]
	s_mov_b32 s30, s14
	s_wait_kmcnt 0x0
	s_sub_co_i32 s18, s10, s22
	s_cmp_eq_u32 s8, 0
	v_mov_b32_e32 v28, 1
	s_cselect_b32 s8, -1, 0
	s_abs_i32 s11, s14
	s_ashr_i32 s31, s14, 31
	s_cvt_f32_u32 s10, s11
	s_delay_alu instid0(SALU_CYCLE_3) | instskip(SKIP_1) | instid1(VALU_DEP_1)
	v_rcp_iflag_f32_e32 v16, s10
	v_cmp_gt_i32_e64 s10, 32, v11
	v_cndmask_b32_e64 v17, v8, v11, s10
	v_cmp_gt_i32_e64 s10, 32, v14
	s_delay_alu instid0(TRANS32_DEP_1) | instskip(SKIP_1) | instid1(VALU_DEP_3)
	v_readfirstlane_b32 s19, v16
	v_dual_ashrrev_i32 v11, 31, v10 :: v_dual_bitop2_b32 v26, 64, v23 bitop3:0x54
	v_dual_mov_b32 v16, 0 :: v_dual_cndmask_b32 v8, v8, v14, s10
	v_lshlrev_b32_e32 v24, 2, v17
	v_cmp_gt_u32_e64 s10, s14, v15
	s_delay_alu instid0(VALU_DEP_4)
	v_lshl_add_u64 v[14:15], v[10:11], 4, s[16:17]
	v_add_nc_u64_e32 v[10:11], s[16:17], v[4:5]
	v_lshlrev_b32_e32 v25, 2, v8
	v_lshl_add_u32 v8, s13, 2, v6
	s_mul_f32 s13, s19, 0x4f7ffffe
	v_add_nc_u64_e32 v[12:13], v[14:15], v[12:13]
	s_mul_u64 s[16:17], s[30:31], s[28:29]
	s_and_b32 s10, vcc_lo, s10
	s_cvt_u32_f32 s19, s13
	s_and_b32 s13, vcc_lo, s9
	s_sub_co_i32 s9, 0, s11
	s_delay_alu instid0(SALU_CYCLE_1) | instskip(NEXT) | instid1(SALU_CYCLE_1)
	s_mul_i32 s9, s9, s19
	s_mul_hi_u32 s9, s19, s9
	s_delay_alu instid0(SALU_CYCLE_1)
	s_add_co_i32 s28, s19, s9
	s_branch .LBB225_7
.LBB225_6:                              ;   in Loop: Header=BB225_7 Depth=1
	s_or_b32 exec_lo, exec_lo, s19
	s_wait_dscnt 0x0
	s_barrier_signal -1
	s_barrier_wait -1
	ds_load_b32 v16, v5
	s_add_co_i32 s18, s9, s18
	s_wait_dscnt 0x0
	s_barrier_signal -1
	s_barrier_wait -1
	v_cmp_gt_i32_e32 vcc_lo, s12, v16
	s_cbranch_vccz .LBB225_37
.LBB225_7:                              ; =>This Loop Header: Depth=1
                                        ;     Child Loop BB225_10 Depth 2
	v_dual_mov_b32 v29, s12 :: v_dual_add_nc_u32 v14, v27, v19
	v_mov_b32_e32 v15, v18
	s_mov_b32 s19, exec_lo
	ds_store_b8 v5, v5 offset:8192
	ds_store_b128 v23, v[0:3]
	ds_store_b128 v23, v[0:3] offset:64
	s_wait_dscnt 0x0
	s_barrier_signal -1
	s_barrier_wait -1
	v_cmpx_lt_i32_e64 v14, v18
	s_cbranch_execz .LBB225_15
; %bb.8:                                ;   in Loop: Header=BB225_7 Depth=1
	v_mul_lo_u32 v17, v16, s14
	v_dual_mov_b32 v29, s12 :: v_dual_mov_b32 v15, v18
	s_mov_b32 s23, 0
	s_branch .LBB225_10
.LBB225_9:                              ;   in Loop: Header=BB225_10 Depth=2
	s_wait_xcnt 0x0
	s_or_b32 exec_lo, exec_lo, s9
	v_add_nc_u32_e32 v14, 4, v14
	s_xor_b32 s30, vcc_lo, -1
	s_delay_alu instid0(VALU_DEP_1) | instskip(SKIP_1) | instid1(SALU_CYCLE_1)
	v_cmp_ge_i32_e64 s9, v14, v18
	s_or_b32 s9, s30, s9
	s_and_b32 s9, exec_lo, s9
	s_delay_alu instid0(SALU_CYCLE_1) | instskip(NEXT) | instid1(SALU_CYCLE_1)
	s_or_b32 s23, s9, s23
	s_and_not1_b32 exec_lo, exec_lo, s23
	s_cbranch_execz .LBB225_14
.LBB225_10:                             ;   Parent Loop BB225_7 Depth=1
                                        ; =>  This Inner Loop Header: Depth=2
	global_load_b32 v4, v14, s[20:21] scale_offset
	s_wait_loadcnt 0x0
	v_subrev_nc_u32_e32 v27, s15, v4
	s_delay_alu instid0(VALU_DEP_1) | instskip(NEXT) | instid1(VALU_DEP_1)
	v_sub_nc_u32_e32 v4, 0, v27
	v_max_i32_e32 v4, v27, v4
	s_delay_alu instid0(VALU_DEP_1) | instskip(NEXT) | instid1(VALU_DEP_1)
	v_mul_u64_e32 v[30:31], s[28:29], v[4:5]
	v_mul_lo_u32 v30, v31, s11
	s_delay_alu instid0(VALU_DEP_1) | instskip(NEXT) | instid1(VALU_DEP_1)
	v_dual_sub_nc_u32 v4, v4, v30 :: v_dual_add_nc_u32 v30, 1, v31
	v_cmp_le_u32_e32 vcc_lo, s11, v4
	s_delay_alu instid0(VALU_DEP_2) | instskip(SKIP_1) | instid1(VALU_DEP_1)
	v_dual_cndmask_b32 v30, v31, v30 :: v_dual_ashrrev_i32 v31, 31, v27
	v_subrev_nc_u32_e32 v32, s11, v4
	v_dual_cndmask_b32 v4, v4, v32, vcc_lo :: v_dual_add_nc_u32 v32, 1, v30
	s_delay_alu instid0(VALU_DEP_1) | instskip(NEXT) | instid1(VALU_DEP_2)
	v_cmp_le_u32_e32 vcc_lo, s11, v4
	v_dual_cndmask_b32 v4, v30, v32, vcc_lo :: v_dual_bitop2_b32 v31, s31, v31 bitop3:0x14
	s_delay_alu instid0(VALU_DEP_1) | instskip(NEXT) | instid1(VALU_DEP_1)
	v_xor_b32_e32 v4, v4, v31
	v_dual_sub_nc_u32 v30, v4, v31 :: v_dual_mov_b32 v4, v15
	s_delay_alu instid0(VALU_DEP_1) | instskip(SKIP_3) | instid1(SALU_CYCLE_1)
	v_cmp_ne_u32_e64 s9, v30, v16
	v_cmp_eq_u32_e32 vcc_lo, v30, v16
	s_wait_xcnt 0x0
	s_and_saveexec_b32 s30, s9
	s_xor_b32 s9, exec_lo, s30
; %bb.11:                               ;   in Loop: Header=BB225_10 Depth=2
	v_min_i32_e32 v29, v30, v29
                                        ; implicit-def: $vgpr27
                                        ; implicit-def: $vgpr4
; %bb.12:                               ;   in Loop: Header=BB225_10 Depth=2
	s_or_saveexec_b32 s9, s9
	v_mov_b32_e32 v15, v14
	s_xor_b32 exec_lo, exec_lo, s9
	s_cbranch_execz .LBB225_9
; %bb.13:                               ;   in Loop: Header=BB225_10 Depth=2
	v_ashrrev_i32_e32 v15, 31, v14
	s_delay_alu instid0(VALU_DEP_1)
	v_lshl_add_u64 v[30:31], v[14:15], 4, s[26:27]
	v_sub_nc_u32_e32 v15, v27, v17
	global_load_b128 v[30:33], v[30:31], off
	v_lshl_add_u32 v27, v15, 4, v20
	v_mov_b32_e32 v15, v4
	ds_store_b8 v5, v28 offset:8192
	s_wait_loadcnt 0x0
	ds_store_2addr_b64 v27, v[30:31], v[32:33] offset1:1
	s_branch .LBB225_9
.LBB225_14:                             ;   in Loop: Header=BB225_7 Depth=1
	s_or_b32 exec_lo, exec_lo, s23
.LBB225_15:                             ;   in Loop: Header=BB225_7 Depth=1
	s_delay_alu instid0(SALU_CYCLE_1)
	s_or_b32 exec_lo, exec_lo, s19
	ds_bpermute_b32 v4, v24, v15
	s_wait_dscnt 0x0
	s_barrier_signal -1
	s_barrier_wait -1
	s_mov_b32 s9, 0
	v_min_i32_e32 v4, v4, v15
	ds_load_u8 v15, v5 offset:8192
	ds_bpermute_b32 v14, v25, v4
	s_wait_dscnt 0x0
	v_min_i32_e32 v4, v14, v4
	ds_bpermute_b32 v27, v22, v4
	v_and_b32_e32 v4, 1, v15
	s_delay_alu instid0(VALU_DEP_1)
	v_cmp_eq_u32_e32 vcc_lo, 0, v4
	s_cbranch_vccnz .LBB225_21
; %bb.16:                               ;   in Loop: Header=BB225_7 Depth=1
	s_ashr_i32 s19, s18, 31
	v_dual_add_nc_u32 v4, s22, v16 :: v_dual_mov_b32 v30, s18
	s_mul_u64 s[34:35], s[16:17], s[18:19]
	s_delay_alu instid0(SALU_CYCLE_1) | instskip(NEXT) | instid1(SALU_CYCLE_1)
	s_lshl_b64 s[34:35], s[34:35], 4
	v_add_nc_u64_e32 v[14:15], s[34:35], v[10:11]
	v_add_nc_u64_e32 v[16:17], s[34:35], v[12:13]
	global_store_b32 v30, v4, s[24:25] scale_offset
	s_wait_xcnt 0x0
	s_and_saveexec_b32 s9, s13
	s_cbranch_execz .LBB225_18
; %bb.17:                               ;   in Loop: Header=BB225_7 Depth=1
	ds_load_2addr_b64 v[30:33], v23 offset1:1
	v_lshl_add_u64 v[34:35], v[6:7], 4, v[14:15]
	s_delay_alu instid0(VALU_DEP_1)
	v_dual_cndmask_b32 v35, v35, v17, s8 :: v_dual_cndmask_b32 v34, v34, v16, s8
	s_wait_dscnt 0x0
	global_store_b128 v[34:35], v[30:33], off
.LBB225_18:                             ;   in Loop: Header=BB225_7 Depth=1
	s_wait_xcnt 0x0
	s_or_b32 exec_lo, exec_lo, s9
	s_and_saveexec_b32 s9, s10
	s_cbranch_execz .LBB225_20
; %bb.19:                               ;   in Loop: Header=BB225_7 Depth=1
	ds_load_2addr_b64 v[30:33], v26 offset1:1
	v_add_nc_u64_e32 v[16:17], 64, v[16:17]
	v_lshl_add_u64 v[14:15], v[8:9], 4, v[14:15]
	s_delay_alu instid0(VALU_DEP_1)
	v_dual_cndmask_b32 v15, v15, v17, s8 :: v_dual_cndmask_b32 v14, v14, v16, s8
	s_wait_dscnt 0x0
	global_store_b128 v[14:15], v[30:33], off
.LBB225_20:                             ;   in Loop: Header=BB225_7 Depth=1
	s_wait_xcnt 0x0
	s_or_b32 exec_lo, exec_lo, s9
	s_mov_b32 s9, 1
.LBB225_21:                             ;   in Loop: Header=BB225_7 Depth=1
	s_wait_storecnt_dscnt 0x0
	s_barrier_signal -1
	s_barrier_wait -1
	ds_store_b32 v21, v29
	s_wait_dscnt 0x0
	s_barrier_signal -1
	s_barrier_wait -1
	s_and_saveexec_b32 s19, s0
	s_cbranch_execz .LBB225_23
; %bb.22:                               ;   in Loop: Header=BB225_7 Depth=1
	ds_load_2addr_stride64_b32 v[14:15], v21 offset1:2
	s_wait_dscnt 0x0
	v_min_i32_e32 v4, v15, v14
	ds_store_b32 v21, v4
.LBB225_23:                             ;   in Loop: Header=BB225_7 Depth=1
	s_or_b32 exec_lo, exec_lo, s19
	s_wait_dscnt 0x0
	s_barrier_signal -1
	s_barrier_wait -1
	s_and_saveexec_b32 s19, s1
	s_cbranch_execz .LBB225_25
; %bb.24:                               ;   in Loop: Header=BB225_7 Depth=1
	ds_load_2addr_stride64_b32 v[14:15], v21 offset1:1
	s_wait_dscnt 0x0
	v_min_i32_e32 v4, v15, v14
	ds_store_b32 v21, v4
.LBB225_25:                             ;   in Loop: Header=BB225_7 Depth=1
	s_or_b32 exec_lo, exec_lo, s19
	s_wait_dscnt 0x0
	s_barrier_signal -1
	s_barrier_wait -1
	s_and_saveexec_b32 s19, s2
	s_cbranch_execz .LBB225_27
; %bb.26:                               ;   in Loop: Header=BB225_7 Depth=1
	ds_load_2addr_b32 v[14:15], v21 offset1:32
	s_wait_dscnt 0x0
	v_min_i32_e32 v4, v15, v14
	ds_store_b32 v21, v4
.LBB225_27:                             ;   in Loop: Header=BB225_7 Depth=1
	s_or_b32 exec_lo, exec_lo, s19
	s_wait_dscnt 0x0
	s_barrier_signal -1
	s_barrier_wait -1
	s_and_saveexec_b32 s19, s3
	s_cbranch_execz .LBB225_29
; %bb.28:                               ;   in Loop: Header=BB225_7 Depth=1
	ds_load_2addr_b32 v[14:15], v21 offset1:16
	s_wait_dscnt 0x0
	v_min_i32_e32 v4, v15, v14
	ds_store_b32 v21, v4
.LBB225_29:                             ;   in Loop: Header=BB225_7 Depth=1
	;; [unrolled: 12-line block ×5, first 2 shown]
	s_or_b32 exec_lo, exec_lo, s19
	s_wait_dscnt 0x0
	s_barrier_signal -1
	s_barrier_wait -1
	s_and_saveexec_b32 s19, s7
	s_cbranch_execz .LBB225_6
; %bb.36:                               ;   in Loop: Header=BB225_7 Depth=1
	ds_load_b64 v[14:15], v5
	s_wait_dscnt 0x0
	v_min_i32_e32 v4, v15, v14
	ds_store_b32 v5, v4
	s_branch .LBB225_6
.LBB225_37:
	s_endpgm
	.section	.rodata,"a",@progbits
	.p2align	6, 0x0
	.amdhsa_kernel _ZN9rocsparseL40csr2gebsr_block_per_row_multipass_kernelILj256ELj64ELj8E21rocsparse_complex_numIdEEEv20rocsparse_direction_iiiiii21rocsparse_index_base_PKT2_PKiS9_S4_PS5_PiSB_
		.amdhsa_group_segment_fixed_size 8200
		.amdhsa_private_segment_fixed_size 0
		.amdhsa_kernarg_size 88
		.amdhsa_user_sgpr_count 2
		.amdhsa_user_sgpr_dispatch_ptr 0
		.amdhsa_user_sgpr_queue_ptr 0
		.amdhsa_user_sgpr_kernarg_segment_ptr 1
		.amdhsa_user_sgpr_dispatch_id 0
		.amdhsa_user_sgpr_kernarg_preload_length 0
		.amdhsa_user_sgpr_kernarg_preload_offset 0
		.amdhsa_user_sgpr_private_segment_size 0
		.amdhsa_wavefront_size32 1
		.amdhsa_uses_dynamic_stack 0
		.amdhsa_enable_private_segment 0
		.amdhsa_system_sgpr_workgroup_id_x 1
		.amdhsa_system_sgpr_workgroup_id_y 0
		.amdhsa_system_sgpr_workgroup_id_z 0
		.amdhsa_system_sgpr_workgroup_info 0
		.amdhsa_system_vgpr_workitem_id 0
		.amdhsa_next_free_vgpr 36
		.amdhsa_next_free_sgpr 40
		.amdhsa_named_barrier_count 0
		.amdhsa_reserve_vcc 1
		.amdhsa_float_round_mode_32 0
		.amdhsa_float_round_mode_16_64 0
		.amdhsa_float_denorm_mode_32 3
		.amdhsa_float_denorm_mode_16_64 3
		.amdhsa_fp16_overflow 0
		.amdhsa_memory_ordered 1
		.amdhsa_forward_progress 1
		.amdhsa_inst_pref_size 15
		.amdhsa_round_robin_scheduling 0
		.amdhsa_exception_fp_ieee_invalid_op 0
		.amdhsa_exception_fp_denorm_src 0
		.amdhsa_exception_fp_ieee_div_zero 0
		.amdhsa_exception_fp_ieee_overflow 0
		.amdhsa_exception_fp_ieee_underflow 0
		.amdhsa_exception_fp_ieee_inexact 0
		.amdhsa_exception_int_div_zero 0
	.end_amdhsa_kernel
	.section	.text._ZN9rocsparseL40csr2gebsr_block_per_row_multipass_kernelILj256ELj64ELj8E21rocsparse_complex_numIdEEEv20rocsparse_direction_iiiiii21rocsparse_index_base_PKT2_PKiS9_S4_PS5_PiSB_,"axG",@progbits,_ZN9rocsparseL40csr2gebsr_block_per_row_multipass_kernelILj256ELj64ELj8E21rocsparse_complex_numIdEEEv20rocsparse_direction_iiiiii21rocsparse_index_base_PKT2_PKiS9_S4_PS5_PiSB_,comdat
.Lfunc_end225:
	.size	_ZN9rocsparseL40csr2gebsr_block_per_row_multipass_kernelILj256ELj64ELj8E21rocsparse_complex_numIdEEEv20rocsparse_direction_iiiiii21rocsparse_index_base_PKT2_PKiS9_S4_PS5_PiSB_, .Lfunc_end225-_ZN9rocsparseL40csr2gebsr_block_per_row_multipass_kernelILj256ELj64ELj8E21rocsparse_complex_numIdEEEv20rocsparse_direction_iiiiii21rocsparse_index_base_PKT2_PKiS9_S4_PS5_PiSB_
                                        ; -- End function
	.set _ZN9rocsparseL40csr2gebsr_block_per_row_multipass_kernelILj256ELj64ELj8E21rocsparse_complex_numIdEEEv20rocsparse_direction_iiiiii21rocsparse_index_base_PKT2_PKiS9_S4_PS5_PiSB_.num_vgpr, 36
	.set _ZN9rocsparseL40csr2gebsr_block_per_row_multipass_kernelILj256ELj64ELj8E21rocsparse_complex_numIdEEEv20rocsparse_direction_iiiiii21rocsparse_index_base_PKT2_PKiS9_S4_PS5_PiSB_.num_agpr, 0
	.set _ZN9rocsparseL40csr2gebsr_block_per_row_multipass_kernelILj256ELj64ELj8E21rocsparse_complex_numIdEEEv20rocsparse_direction_iiiiii21rocsparse_index_base_PKT2_PKiS9_S4_PS5_PiSB_.numbered_sgpr, 40
	.set _ZN9rocsparseL40csr2gebsr_block_per_row_multipass_kernelILj256ELj64ELj8E21rocsparse_complex_numIdEEEv20rocsparse_direction_iiiiii21rocsparse_index_base_PKT2_PKiS9_S4_PS5_PiSB_.num_named_barrier, 0
	.set _ZN9rocsparseL40csr2gebsr_block_per_row_multipass_kernelILj256ELj64ELj8E21rocsparse_complex_numIdEEEv20rocsparse_direction_iiiiii21rocsparse_index_base_PKT2_PKiS9_S4_PS5_PiSB_.private_seg_size, 0
	.set _ZN9rocsparseL40csr2gebsr_block_per_row_multipass_kernelILj256ELj64ELj8E21rocsparse_complex_numIdEEEv20rocsparse_direction_iiiiii21rocsparse_index_base_PKT2_PKiS9_S4_PS5_PiSB_.uses_vcc, 1
	.set _ZN9rocsparseL40csr2gebsr_block_per_row_multipass_kernelILj256ELj64ELj8E21rocsparse_complex_numIdEEEv20rocsparse_direction_iiiiii21rocsparse_index_base_PKT2_PKiS9_S4_PS5_PiSB_.uses_flat_scratch, 0
	.set _ZN9rocsparseL40csr2gebsr_block_per_row_multipass_kernelILj256ELj64ELj8E21rocsparse_complex_numIdEEEv20rocsparse_direction_iiiiii21rocsparse_index_base_PKT2_PKiS9_S4_PS5_PiSB_.has_dyn_sized_stack, 0
	.set _ZN9rocsparseL40csr2gebsr_block_per_row_multipass_kernelILj256ELj64ELj8E21rocsparse_complex_numIdEEEv20rocsparse_direction_iiiiii21rocsparse_index_base_PKT2_PKiS9_S4_PS5_PiSB_.has_recursion, 0
	.set _ZN9rocsparseL40csr2gebsr_block_per_row_multipass_kernelILj256ELj64ELj8E21rocsparse_complex_numIdEEEv20rocsparse_direction_iiiiii21rocsparse_index_base_PKT2_PKiS9_S4_PS5_PiSB_.has_indirect_call, 0
	.section	.AMDGPU.csdata,"",@progbits
; Kernel info:
; codeLenInByte = 1812
; TotalNumSgprs: 42
; NumVgprs: 36
; ScratchSize: 0
; MemoryBound: 0
; FloatMode: 240
; IeeeMode: 1
; LDSByteSize: 8200 bytes/workgroup (compile time only)
; SGPRBlocks: 0
; VGPRBlocks: 2
; NumSGPRsForWavesPerEU: 42
; NumVGPRsForWavesPerEU: 36
; NamedBarCnt: 0
; Occupancy: 16
; WaveLimiterHint : 0
; COMPUTE_PGM_RSRC2:SCRATCH_EN: 0
; COMPUTE_PGM_RSRC2:USER_SGPR: 2
; COMPUTE_PGM_RSRC2:TRAP_HANDLER: 0
; COMPUTE_PGM_RSRC2:TGID_X_EN: 1
; COMPUTE_PGM_RSRC2:TGID_Y_EN: 0
; COMPUTE_PGM_RSRC2:TGID_Z_EN: 0
; COMPUTE_PGM_RSRC2:TIDIG_COMP_CNT: 0
	.section	.text._ZN9rocsparseL40csr2gebsr_block_per_row_multipass_kernelILj256ELj64ELj16E21rocsparse_complex_numIdEEEv20rocsparse_direction_iiiiii21rocsparse_index_base_PKT2_PKiS9_S4_PS5_PiSB_,"axG",@progbits,_ZN9rocsparseL40csr2gebsr_block_per_row_multipass_kernelILj256ELj64ELj16E21rocsparse_complex_numIdEEEv20rocsparse_direction_iiiiii21rocsparse_index_base_PKT2_PKiS9_S4_PS5_PiSB_,comdat
	.globl	_ZN9rocsparseL40csr2gebsr_block_per_row_multipass_kernelILj256ELj64ELj16E21rocsparse_complex_numIdEEEv20rocsparse_direction_iiiiii21rocsparse_index_base_PKT2_PKiS9_S4_PS5_PiSB_ ; -- Begin function _ZN9rocsparseL40csr2gebsr_block_per_row_multipass_kernelILj256ELj64ELj16E21rocsparse_complex_numIdEEEv20rocsparse_direction_iiiiii21rocsparse_index_base_PKT2_PKiS9_S4_PS5_PiSB_
	.p2align	8
	.type	_ZN9rocsparseL40csr2gebsr_block_per_row_multipass_kernelILj256ELj64ELj16E21rocsparse_complex_numIdEEEv20rocsparse_direction_iiiiii21rocsparse_index_base_PKT2_PKiS9_S4_PS5_PiSB_,@function
_ZN9rocsparseL40csr2gebsr_block_per_row_multipass_kernelILj256ELj64ELj16E21rocsparse_complex_numIdEEEv20rocsparse_direction_iiiiii21rocsparse_index_base_PKT2_PKiS9_S4_PS5_PiSB_: ; @_ZN9rocsparseL40csr2gebsr_block_per_row_multipass_kernelILj256ELj64ELj16E21rocsparse_complex_numIdEEEv20rocsparse_direction_iiiiii21rocsparse_index_base_PKT2_PKiS9_S4_PS5_PiSB_
; %bb.0:
	s_clause 0x1
	s_load_b128 s[12:15], s[0:1], 0x10
	s_load_b64 s[30:31], s[0:1], 0x0
	s_bfe_u32 s2, ttmp6, 0x4000c
	s_and_b32 s3, ttmp6, 15
	s_add_co_i32 s2, s2, 1
	s_getreg_b32 s4, hwreg(HW_REG_IB_STS2, 6, 4)
	s_mul_i32 s2, ttmp9, s2
	v_dual_mov_b32 v22, 0 :: v_dual_lshrrev_b32 v1, 2, v0
	s_add_co_i32 s3, s3, s2
	s_cmp_eq_u32 s4, 0
	s_load_b64 s[6:7], s[0:1], 0x28
	s_cselect_b32 s4, ttmp9, s3
	v_mov_b32_e32 v33, 0
	s_wait_kmcnt 0x0
	v_mad_u32 v2, s13, s4, v1
	v_cmp_gt_i32_e32 vcc_lo, s13, v1
	s_delay_alu instid0(VALU_DEP_2) | instskip(SKIP_1) | instid1(SALU_CYCLE_1)
	v_cmp_gt_i32_e64 s2, s31, v2
	s_and_b32 s2, vcc_lo, s2
	s_and_saveexec_b32 s3, s2
	s_cbranch_execnz .LBB226_3
; %bb.1:
	s_or_b32 exec_lo, exec_lo, s3
	s_and_saveexec_b32 s3, s2
	s_cbranch_execnz .LBB226_4
.LBB226_2:
	s_or_b32 exec_lo, exec_lo, s3
	s_cmp_lt_i32 s12, 1
	s_cbranch_scc0 .LBB226_5
	s_branch .LBB226_41
.LBB226_3:
	global_load_b32 v3, v2, s[6:7] scale_offset
	s_wait_loadcnt 0x0
	v_subrev_nc_u32_e32 v33, s15, v3
	s_or_b32 exec_lo, exec_lo, s3
	s_and_saveexec_b32 s3, s2
	s_cbranch_execz .LBB226_2
.LBB226_4:
	global_load_b32 v2, v2, s[6:7] offset:4 scale_offset
	s_wait_loadcnt 0x0
	v_subrev_nc_u32_e32 v22, s15, v2
	s_or_b32 exec_lo, exec_lo, s3
	s_cmp_lt_i32 s12, 1
	s_cbranch_scc1 .LBB226_41
.LBB226_5:
	s_clause 0x3
	s_load_b128 s[16:19], s[0:1], 0x40
	s_load_b64 s[10:11], s[0:1], 0x50
	s_load_b96 s[20:22], s[0:1], 0x30
	s_load_b64 s[24:25], s[0:1], 0x20
	s_ashr_i32 s5, s4, 31
	v_mbcnt_lo_u32_b32 v3, -1, 0
	s_lshl_b64 s[4:5], s[4:5], 2
	v_dual_lshlrev_b32 v24, 8, v1 :: v_dual_bitop2_b32 v23, 3, v0 bitop3:0x40
	v_dual_mov_b32 v5, 0 :: v_dual_lshlrev_b32 v4, 4, v1
	v_mul_lo_u32 v2, s14, v1
	v_dual_lshlrev_b32 v25, 2, v0 :: v_dual_bitop2_b32 v1, 2, v3 bitop3:0x14
	s_wait_xcnt 0x0
	v_cmp_gt_u32_e64 s0, 0x80, v0
	v_cmp_gt_u32_e64 s1, 64, v0
	;; [unrolled: 1-line block ×4, first 2 shown]
	v_cmp_gt_i32_e64 s8, 32, v1
	v_xor_b32_e32 v6, 1, v3
	s_wait_kmcnt 0x0
	s_add_nc_u64 s[4:5], s[18:19], s[4:5]
	v_cmp_gt_u32_e64 s6, 2, v0
	s_load_b32 s9, s[4:5], 0x0
	s_wait_xcnt 0x0
	v_cmp_gt_u32_e64 s4, 8, v0
	v_cmp_gt_u32_e64 s5, 4, v0
	v_cmp_eq_u32_e64 s7, 0, v0
	v_cndmask_b32_e64 v7, v3, v1, s8
	v_cmp_gt_i32_e64 s8, 32, v6
	v_lshlrev_b32_e32 v0, 4, v23
	v_lshl_or_b32 v26, v3, 2, 12
	s_delay_alu instid0(VALU_DEP_4) | instskip(NEXT) | instid1(VALU_DEP_3)
	v_dual_mov_b32 v1, v5 :: v_dual_lshlrev_b32 v28, 2, v7
	v_dual_cndmask_b32 v6, v3, v6, s8 :: v_dual_bitop2_b32 v27, v24, v0 bitop3:0x54
	v_ashrrev_i32_e32 v3, 31, v2
	v_mul_lo_u32 v10, v23, s13
	s_mov_b32 s27, 0
	s_mov_b32 s26, s13
	;; [unrolled: 1-line block ×3, first 2 shown]
	v_lshl_add_u64 v[2:3], v[2:3], 4, s[16:17]
	v_dual_lshlrev_b32 v29, 2, v6 :: v_dual_bitop2_b32 v30, 64, v27 bitop3:0x54
	s_wait_kmcnt 0x0
	s_sub_co_i32 s18, s9, s22
	s_cmp_eq_u32 s30, 0
	v_add_nc_u64_e32 v[8:9], v[2:3], v[0:1]
	s_cselect_b32 s8, -1, 0
	s_abs_i32 s23, s14
	v_cmp_gt_u32_e64 s9, s14, v23
	s_cvt_f32_u32 s19, s23
	v_dual_mov_b32 v11, v5 :: v_dual_bitop2_b32 v0, 4, v23 bitop3:0x54
	s_ashr_i32 s29, s14, 31
	s_delay_alu instid0(SALU_CYCLE_1)
	v_rcp_iflag_f32_e32 v1, s19
	s_lshl_b32 s19, s13, 2
	v_add_nc_u64_e32 v[6:7], s[16:17], v[4:5]
	s_mul_u64 s[16:17], s[28:29], s[26:27]
	s_and_b32 s28, vcc_lo, s9
	v_cmp_gt_u32_e64 s9, s14, v0
	v_dual_add_nc_u32 v12, s19, v10 :: v_dual_bitop2_b32 v0, 8, v23 bitop3:0x54
	v_readfirstlane_b32 s26, v1
	v_mov_b32_e32 v13, v5
	s_and_b32 s13, vcc_lo, s9
	v_cmp_gt_u32_e64 s9, s14, v0
	v_dual_mov_b32 v15, v5 :: v_dual_add_nc_u32 v14, s19, v12
	s_mul_f32 s26, s26, 0x4f7ffffe
	v_or_b32_e32 v0, 12, v23
	s_mov_b32 s36, s27
	s_delay_alu instid0(VALU_DEP_2)
	v_dual_mov_b32 v17, v5 :: v_dual_add_nc_u32 v16, s19, v14
	s_cvt_u32_f32 s19, s26
	s_mov_b32 s37, s27
	s_mov_b32 s38, s27
	;; [unrolled: 1-line block ×3, first 2 shown]
	s_and_b32 s30, vcc_lo, s9
	v_cmp_gt_u32_e64 s9, s14, v0
	s_sub_co_i32 s26, 0, s23
	v_mov_b64_e32 v[0:1], s[36:37]
	v_mov_b64_e32 v[2:3], s[38:39]
	s_mul_i32 s26, s26, s19
	v_or_b32_e32 v31, 0x80, v27
	v_or_b32_e32 v32, 0xc0, v27
	v_dual_mov_b32 v34, 1 :: v_dual_mov_b32 v20, 0
	s_mul_hi_u32 s26, s19, s26
	s_and_b32 s31, vcc_lo, s9
	s_add_co_i32 s26, s19, s26
	s_branch .LBB226_7
.LBB226_6:                              ;   in Loop: Header=BB226_7 Depth=1
	s_or_b32 exec_lo, exec_lo, s19
	s_wait_dscnt 0x0
	s_barrier_signal -1
	s_barrier_wait -1
	ds_load_b32 v20, v5
	s_add_co_i32 s18, s9, s18
	s_wait_dscnt 0x0
	s_barrier_signal -1
	s_barrier_wait -1
	v_cmp_gt_i32_e32 vcc_lo, s12, v20
	s_cbranch_vccz .LBB226_41
.LBB226_7:                              ; =>This Loop Header: Depth=1
                                        ;     Child Loop BB226_10 Depth 2
	v_dual_mov_b32 v35, s12 :: v_dual_add_nc_u32 v18, v33, v23
	v_mov_b32_e32 v19, v22
	s_mov_b32 s19, exec_lo
	ds_store_b8 v5, v5 offset:16384
	ds_store_b128 v27, v[0:3]
	ds_store_b128 v27, v[0:3] offset:64
	ds_store_b128 v27, v[0:3] offset:128
	;; [unrolled: 1-line block ×3, first 2 shown]
	s_wait_dscnt 0x0
	s_barrier_signal -1
	s_barrier_wait -1
	v_cmpx_lt_i32_e64 v18, v22
	s_cbranch_execz .LBB226_15
; %bb.8:                                ;   in Loop: Header=BB226_7 Depth=1
	v_mul_lo_u32 v21, v20, s14
	v_dual_mov_b32 v35, s12 :: v_dual_mov_b32 v19, v22
	s_mov_b32 s33, 0
	s_branch .LBB226_10
.LBB226_9:                              ;   in Loop: Header=BB226_10 Depth=2
	s_wait_xcnt 0x0
	s_or_b32 exec_lo, exec_lo, s9
	v_add_nc_u32_e32 v18, 4, v18
	s_xor_b32 s34, vcc_lo, -1
	s_delay_alu instid0(VALU_DEP_1) | instskip(SKIP_1) | instid1(SALU_CYCLE_1)
	v_cmp_ge_i32_e64 s9, v18, v22
	s_or_b32 s9, s34, s9
	s_and_b32 s9, exec_lo, s9
	s_delay_alu instid0(SALU_CYCLE_1) | instskip(NEXT) | instid1(SALU_CYCLE_1)
	s_or_b32 s33, s9, s33
	s_and_not1_b32 exec_lo, exec_lo, s33
	s_cbranch_execz .LBB226_14
.LBB226_10:                             ;   Parent Loop BB226_7 Depth=1
                                        ; =>  This Inner Loop Header: Depth=2
	global_load_b32 v4, v18, s[20:21] scale_offset
	s_wait_loadcnt 0x0
	v_subrev_nc_u32_e32 v33, s15, v4
	s_delay_alu instid0(VALU_DEP_1) | instskip(NEXT) | instid1(VALU_DEP_1)
	v_sub_nc_u32_e32 v4, 0, v33
	v_max_i32_e32 v4, v33, v4
	s_delay_alu instid0(VALU_DEP_1) | instskip(NEXT) | instid1(VALU_DEP_1)
	v_mul_u64_e32 v[36:37], s[26:27], v[4:5]
	v_mul_lo_u32 v36, v37, s23
	s_delay_alu instid0(VALU_DEP_1) | instskip(NEXT) | instid1(VALU_DEP_1)
	v_dual_sub_nc_u32 v4, v4, v36 :: v_dual_add_nc_u32 v36, 1, v37
	v_cmp_le_u32_e32 vcc_lo, s23, v4
	s_delay_alu instid0(VALU_DEP_2) | instskip(SKIP_1) | instid1(VALU_DEP_1)
	v_dual_cndmask_b32 v36, v37, v36 :: v_dual_ashrrev_i32 v37, 31, v33
	v_subrev_nc_u32_e32 v38, s23, v4
	v_dual_cndmask_b32 v4, v4, v38, vcc_lo :: v_dual_add_nc_u32 v38, 1, v36
	s_delay_alu instid0(VALU_DEP_1) | instskip(NEXT) | instid1(VALU_DEP_2)
	v_cmp_le_u32_e32 vcc_lo, s23, v4
	v_dual_cndmask_b32 v4, v36, v38, vcc_lo :: v_dual_bitop2_b32 v37, s29, v37 bitop3:0x14
	s_delay_alu instid0(VALU_DEP_1) | instskip(NEXT) | instid1(VALU_DEP_1)
	v_xor_b32_e32 v4, v4, v37
	v_dual_sub_nc_u32 v36, v4, v37 :: v_dual_mov_b32 v4, v19
	s_delay_alu instid0(VALU_DEP_1) | instskip(SKIP_3) | instid1(SALU_CYCLE_1)
	v_cmp_ne_u32_e64 s9, v36, v20
	v_cmp_eq_u32_e32 vcc_lo, v36, v20
	s_wait_xcnt 0x0
	s_and_saveexec_b32 s34, s9
	s_xor_b32 s9, exec_lo, s34
; %bb.11:                               ;   in Loop: Header=BB226_10 Depth=2
	v_min_i32_e32 v35, v36, v35
                                        ; implicit-def: $vgpr33
                                        ; implicit-def: $vgpr4
; %bb.12:                               ;   in Loop: Header=BB226_10 Depth=2
	s_or_saveexec_b32 s9, s9
	v_mov_b32_e32 v19, v18
	s_xor_b32 exec_lo, exec_lo, s9
	s_cbranch_execz .LBB226_9
; %bb.13:                               ;   in Loop: Header=BB226_10 Depth=2
	v_ashrrev_i32_e32 v19, 31, v18
	s_delay_alu instid0(VALU_DEP_1)
	v_lshl_add_u64 v[36:37], v[18:19], 4, s[24:25]
	v_sub_nc_u32_e32 v19, v33, v21
	global_load_b128 v[36:39], v[36:37], off
	v_lshl_add_u32 v33, v19, 4, v24
	v_mov_b32_e32 v19, v4
	ds_store_b8 v5, v34 offset:16384
	s_wait_loadcnt 0x0
	ds_store_2addr_b64 v33, v[36:37], v[38:39] offset1:1
	s_branch .LBB226_9
.LBB226_14:                             ;   in Loop: Header=BB226_7 Depth=1
	s_or_b32 exec_lo, exec_lo, s33
.LBB226_15:                             ;   in Loop: Header=BB226_7 Depth=1
	s_delay_alu instid0(SALU_CYCLE_1)
	s_or_b32 exec_lo, exec_lo, s19
	ds_bpermute_b32 v4, v28, v19
	s_wait_dscnt 0x0
	s_barrier_signal -1
	s_barrier_wait -1
	s_mov_b32 s9, 0
	v_min_i32_e32 v4, v4, v19
	ds_load_u8 v19, v5 offset:16384
	ds_bpermute_b32 v18, v29, v4
	s_wait_dscnt 0x0
	v_min_i32_e32 v4, v18, v4
	ds_bpermute_b32 v33, v26, v4
	v_and_b32_e32 v4, 1, v19
	s_delay_alu instid0(VALU_DEP_1)
	v_cmp_eq_u32_e32 vcc_lo, 0, v4
	s_cbranch_vccnz .LBB226_22
; %bb.16:                               ;   in Loop: Header=BB226_7 Depth=1
	s_ashr_i32 s19, s18, 31
	v_dual_add_nc_u32 v4, s22, v20 :: v_dual_mov_b32 v36, s18
	s_mul_u64 s[34:35], s[16:17], s[18:19]
	s_delay_alu instid0(SALU_CYCLE_1) | instskip(NEXT) | instid1(SALU_CYCLE_1)
	s_lshl_b64 s[34:35], s[34:35], 4
	v_add_nc_u64_e32 v[18:19], s[34:35], v[6:7]
	v_add_nc_u64_e32 v[20:21], s[34:35], v[8:9]
	global_store_b32 v36, v4, s[10:11] scale_offset
	s_wait_xcnt 0x0
	s_and_saveexec_b32 s9, s28
	s_cbranch_execnz .LBB226_38
; %bb.17:                               ;   in Loop: Header=BB226_7 Depth=1
	s_or_b32 exec_lo, exec_lo, s9
	s_and_saveexec_b32 s9, s13
	s_cbranch_execnz .LBB226_39
.LBB226_18:                             ;   in Loop: Header=BB226_7 Depth=1
	s_or_b32 exec_lo, exec_lo, s9
	s_and_saveexec_b32 s9, s30
	s_cbranch_execnz .LBB226_40
.LBB226_19:                             ;   in Loop: Header=BB226_7 Depth=1
	s_or_b32 exec_lo, exec_lo, s9
	s_and_saveexec_b32 s9, s31
	s_cbranch_execz .LBB226_21
.LBB226_20:                             ;   in Loop: Header=BB226_7 Depth=1
	ds_load_2addr_b64 v[36:39], v32 offset1:1
	v_add_nc_u64_e32 v[20:21], 0xc0, v[20:21]
	v_lshl_add_u64 v[18:19], v[16:17], 4, v[18:19]
	s_delay_alu instid0(VALU_DEP_1)
	v_dual_cndmask_b32 v19, v19, v21, s8 :: v_dual_cndmask_b32 v18, v18, v20, s8
	s_wait_dscnt 0x0
	global_store_b128 v[18:19], v[36:39], off
.LBB226_21:                             ;   in Loop: Header=BB226_7 Depth=1
	s_wait_xcnt 0x0
	s_or_b32 exec_lo, exec_lo, s9
	s_mov_b32 s9, 1
.LBB226_22:                             ;   in Loop: Header=BB226_7 Depth=1
	s_wait_storecnt_dscnt 0x0
	s_barrier_signal -1
	s_barrier_wait -1
	ds_store_b32 v25, v35
	s_wait_dscnt 0x0
	s_barrier_signal -1
	s_barrier_wait -1
	s_and_saveexec_b32 s19, s0
	s_cbranch_execz .LBB226_24
; %bb.23:                               ;   in Loop: Header=BB226_7 Depth=1
	ds_load_2addr_stride64_b32 v[18:19], v25 offset1:2
	s_wait_dscnt 0x0
	v_min_i32_e32 v4, v19, v18
	ds_store_b32 v25, v4
.LBB226_24:                             ;   in Loop: Header=BB226_7 Depth=1
	s_or_b32 exec_lo, exec_lo, s19
	s_wait_dscnt 0x0
	s_barrier_signal -1
	s_barrier_wait -1
	s_and_saveexec_b32 s19, s1
	s_cbranch_execz .LBB226_26
; %bb.25:                               ;   in Loop: Header=BB226_7 Depth=1
	ds_load_2addr_stride64_b32 v[18:19], v25 offset1:1
	s_wait_dscnt 0x0
	v_min_i32_e32 v4, v19, v18
	ds_store_b32 v25, v4
.LBB226_26:                             ;   in Loop: Header=BB226_7 Depth=1
	s_or_b32 exec_lo, exec_lo, s19
	s_wait_dscnt 0x0
	s_barrier_signal -1
	s_barrier_wait -1
	s_and_saveexec_b32 s19, s2
	s_cbranch_execz .LBB226_28
; %bb.27:                               ;   in Loop: Header=BB226_7 Depth=1
	ds_load_2addr_b32 v[18:19], v25 offset1:32
	s_wait_dscnt 0x0
	v_min_i32_e32 v4, v19, v18
	ds_store_b32 v25, v4
.LBB226_28:                             ;   in Loop: Header=BB226_7 Depth=1
	s_or_b32 exec_lo, exec_lo, s19
	s_wait_dscnt 0x0
	s_barrier_signal -1
	s_barrier_wait -1
	s_and_saveexec_b32 s19, s3
	s_cbranch_execz .LBB226_30
; %bb.29:                               ;   in Loop: Header=BB226_7 Depth=1
	ds_load_2addr_b32 v[18:19], v25 offset1:16
	s_wait_dscnt 0x0
	v_min_i32_e32 v4, v19, v18
	ds_store_b32 v25, v4
.LBB226_30:                             ;   in Loop: Header=BB226_7 Depth=1
	;; [unrolled: 12-line block ×5, first 2 shown]
	s_or_b32 exec_lo, exec_lo, s19
	s_wait_dscnt 0x0
	s_barrier_signal -1
	s_barrier_wait -1
	s_and_saveexec_b32 s19, s7
	s_cbranch_execz .LBB226_6
; %bb.37:                               ;   in Loop: Header=BB226_7 Depth=1
	ds_load_b64 v[18:19], v5
	s_wait_dscnt 0x0
	v_min_i32_e32 v4, v19, v18
	ds_store_b32 v5, v4
	s_branch .LBB226_6
.LBB226_38:                             ;   in Loop: Header=BB226_7 Depth=1
	ds_load_2addr_b64 v[36:39], v27 offset1:1
	v_lshl_add_u64 v[40:41], v[10:11], 4, v[18:19]
	s_delay_alu instid0(VALU_DEP_1)
	v_dual_cndmask_b32 v41, v41, v21, s8 :: v_dual_cndmask_b32 v40, v40, v20, s8
	s_wait_dscnt 0x0
	global_store_b128 v[40:41], v[36:39], off
	s_wait_xcnt 0x0
	s_or_b32 exec_lo, exec_lo, s9
	s_and_saveexec_b32 s9, s13
	s_cbranch_execz .LBB226_18
.LBB226_39:                             ;   in Loop: Header=BB226_7 Depth=1
	ds_load_2addr_b64 v[36:39], v30 offset1:1
	v_add_nc_u64_e32 v[40:41], 64, v[20:21]
	v_lshl_add_u64 v[42:43], v[12:13], 4, v[18:19]
	s_delay_alu instid0(VALU_DEP_1)
	v_dual_cndmask_b32 v41, v43, v41, s8 :: v_dual_cndmask_b32 v40, v42, v40, s8
	s_wait_dscnt 0x0
	global_store_b128 v[40:41], v[36:39], off
	s_wait_xcnt 0x0
	s_or_b32 exec_lo, exec_lo, s9
	s_and_saveexec_b32 s9, s30
	s_cbranch_execz .LBB226_19
.LBB226_40:                             ;   in Loop: Header=BB226_7 Depth=1
	ds_load_2addr_b64 v[36:39], v31 offset1:1
	v_add_nc_u64_e32 v[40:41], 0x80, v[20:21]
	v_lshl_add_u64 v[42:43], v[14:15], 4, v[18:19]
	s_delay_alu instid0(VALU_DEP_1)
	v_dual_cndmask_b32 v41, v43, v41, s8 :: v_dual_cndmask_b32 v40, v42, v40, s8
	s_wait_dscnt 0x0
	global_store_b128 v[40:41], v[36:39], off
	s_wait_xcnt 0x0
	s_or_b32 exec_lo, exec_lo, s9
	s_and_saveexec_b32 s9, s31
	s_cbranch_execnz .LBB226_20
	s_branch .LBB226_21
.LBB226_41:
	s_endpgm
	.section	.rodata,"a",@progbits
	.p2align	6, 0x0
	.amdhsa_kernel _ZN9rocsparseL40csr2gebsr_block_per_row_multipass_kernelILj256ELj64ELj16E21rocsparse_complex_numIdEEEv20rocsparse_direction_iiiiii21rocsparse_index_base_PKT2_PKiS9_S4_PS5_PiSB_
		.amdhsa_group_segment_fixed_size 16392
		.amdhsa_private_segment_fixed_size 0
		.amdhsa_kernarg_size 88
		.amdhsa_user_sgpr_count 2
		.amdhsa_user_sgpr_dispatch_ptr 0
		.amdhsa_user_sgpr_queue_ptr 0
		.amdhsa_user_sgpr_kernarg_segment_ptr 1
		.amdhsa_user_sgpr_dispatch_id 0
		.amdhsa_user_sgpr_kernarg_preload_length 0
		.amdhsa_user_sgpr_kernarg_preload_offset 0
		.amdhsa_user_sgpr_private_segment_size 0
		.amdhsa_wavefront_size32 1
		.amdhsa_uses_dynamic_stack 0
		.amdhsa_enable_private_segment 0
		.amdhsa_system_sgpr_workgroup_id_x 1
		.amdhsa_system_sgpr_workgroup_id_y 0
		.amdhsa_system_sgpr_workgroup_id_z 0
		.amdhsa_system_sgpr_workgroup_info 0
		.amdhsa_system_vgpr_workitem_id 0
		.amdhsa_next_free_vgpr 44
		.amdhsa_next_free_sgpr 40
		.amdhsa_named_barrier_count 0
		.amdhsa_reserve_vcc 1
		.amdhsa_float_round_mode_32 0
		.amdhsa_float_round_mode_16_64 0
		.amdhsa_float_denorm_mode_32 3
		.amdhsa_float_denorm_mode_16_64 3
		.amdhsa_fp16_overflow 0
		.amdhsa_memory_ordered 1
		.amdhsa_forward_progress 1
		.amdhsa_inst_pref_size 17
		.amdhsa_round_robin_scheduling 0
		.amdhsa_exception_fp_ieee_invalid_op 0
		.amdhsa_exception_fp_denorm_src 0
		.amdhsa_exception_fp_ieee_div_zero 0
		.amdhsa_exception_fp_ieee_overflow 0
		.amdhsa_exception_fp_ieee_underflow 0
		.amdhsa_exception_fp_ieee_inexact 0
		.amdhsa_exception_int_div_zero 0
	.end_amdhsa_kernel
	.section	.text._ZN9rocsparseL40csr2gebsr_block_per_row_multipass_kernelILj256ELj64ELj16E21rocsparse_complex_numIdEEEv20rocsparse_direction_iiiiii21rocsparse_index_base_PKT2_PKiS9_S4_PS5_PiSB_,"axG",@progbits,_ZN9rocsparseL40csr2gebsr_block_per_row_multipass_kernelILj256ELj64ELj16E21rocsparse_complex_numIdEEEv20rocsparse_direction_iiiiii21rocsparse_index_base_PKT2_PKiS9_S4_PS5_PiSB_,comdat
.Lfunc_end226:
	.size	_ZN9rocsparseL40csr2gebsr_block_per_row_multipass_kernelILj256ELj64ELj16E21rocsparse_complex_numIdEEEv20rocsparse_direction_iiiiii21rocsparse_index_base_PKT2_PKiS9_S4_PS5_PiSB_, .Lfunc_end226-_ZN9rocsparseL40csr2gebsr_block_per_row_multipass_kernelILj256ELj64ELj16E21rocsparse_complex_numIdEEEv20rocsparse_direction_iiiiii21rocsparse_index_base_PKT2_PKiS9_S4_PS5_PiSB_
                                        ; -- End function
	.set _ZN9rocsparseL40csr2gebsr_block_per_row_multipass_kernelILj256ELj64ELj16E21rocsparse_complex_numIdEEEv20rocsparse_direction_iiiiii21rocsparse_index_base_PKT2_PKiS9_S4_PS5_PiSB_.num_vgpr, 44
	.set _ZN9rocsparseL40csr2gebsr_block_per_row_multipass_kernelILj256ELj64ELj16E21rocsparse_complex_numIdEEEv20rocsparse_direction_iiiiii21rocsparse_index_base_PKT2_PKiS9_S4_PS5_PiSB_.num_agpr, 0
	.set _ZN9rocsparseL40csr2gebsr_block_per_row_multipass_kernelILj256ELj64ELj16E21rocsparse_complex_numIdEEEv20rocsparse_direction_iiiiii21rocsparse_index_base_PKT2_PKiS9_S4_PS5_PiSB_.numbered_sgpr, 40
	.set _ZN9rocsparseL40csr2gebsr_block_per_row_multipass_kernelILj256ELj64ELj16E21rocsparse_complex_numIdEEEv20rocsparse_direction_iiiiii21rocsparse_index_base_PKT2_PKiS9_S4_PS5_PiSB_.num_named_barrier, 0
	.set _ZN9rocsparseL40csr2gebsr_block_per_row_multipass_kernelILj256ELj64ELj16E21rocsparse_complex_numIdEEEv20rocsparse_direction_iiiiii21rocsparse_index_base_PKT2_PKiS9_S4_PS5_PiSB_.private_seg_size, 0
	.set _ZN9rocsparseL40csr2gebsr_block_per_row_multipass_kernelILj256ELj64ELj16E21rocsparse_complex_numIdEEEv20rocsparse_direction_iiiiii21rocsparse_index_base_PKT2_PKiS9_S4_PS5_PiSB_.uses_vcc, 1
	.set _ZN9rocsparseL40csr2gebsr_block_per_row_multipass_kernelILj256ELj64ELj16E21rocsparse_complex_numIdEEEv20rocsparse_direction_iiiiii21rocsparse_index_base_PKT2_PKiS9_S4_PS5_PiSB_.uses_flat_scratch, 0
	.set _ZN9rocsparseL40csr2gebsr_block_per_row_multipass_kernelILj256ELj64ELj16E21rocsparse_complex_numIdEEEv20rocsparse_direction_iiiiii21rocsparse_index_base_PKT2_PKiS9_S4_PS5_PiSB_.has_dyn_sized_stack, 0
	.set _ZN9rocsparseL40csr2gebsr_block_per_row_multipass_kernelILj256ELj64ELj16E21rocsparse_complex_numIdEEEv20rocsparse_direction_iiiiii21rocsparse_index_base_PKT2_PKiS9_S4_PS5_PiSB_.has_recursion, 0
	.set _ZN9rocsparseL40csr2gebsr_block_per_row_multipass_kernelILj256ELj64ELj16E21rocsparse_complex_numIdEEEv20rocsparse_direction_iiiiii21rocsparse_index_base_PKT2_PKiS9_S4_PS5_PiSB_.has_indirect_call, 0
	.section	.AMDGPU.csdata,"",@progbits
; Kernel info:
; codeLenInByte = 2068
; TotalNumSgprs: 42
; NumVgprs: 44
; ScratchSize: 0
; MemoryBound: 0
; FloatMode: 240
; IeeeMode: 1
; LDSByteSize: 16392 bytes/workgroup (compile time only)
; SGPRBlocks: 0
; VGPRBlocks: 2
; NumSGPRsForWavesPerEU: 42
; NumVGPRsForWavesPerEU: 44
; NamedBarCnt: 0
; Occupancy: 16
; WaveLimiterHint : 0
; COMPUTE_PGM_RSRC2:SCRATCH_EN: 0
; COMPUTE_PGM_RSRC2:USER_SGPR: 2
; COMPUTE_PGM_RSRC2:TRAP_HANDLER: 0
; COMPUTE_PGM_RSRC2:TGID_X_EN: 1
; COMPUTE_PGM_RSRC2:TGID_Y_EN: 0
; COMPUTE_PGM_RSRC2:TGID_Z_EN: 0
; COMPUTE_PGM_RSRC2:TIDIG_COMP_CNT: 0
	.section	.text._ZN9rocsparseL40csr2gebsr_block_per_row_multipass_kernelILj256ELj64ELj32E21rocsparse_complex_numIdEEEv20rocsparse_direction_iiiiii21rocsparse_index_base_PKT2_PKiS9_S4_PS5_PiSB_,"axG",@progbits,_ZN9rocsparseL40csr2gebsr_block_per_row_multipass_kernelILj256ELj64ELj32E21rocsparse_complex_numIdEEEv20rocsparse_direction_iiiiii21rocsparse_index_base_PKT2_PKiS9_S4_PS5_PiSB_,comdat
	.globl	_ZN9rocsparseL40csr2gebsr_block_per_row_multipass_kernelILj256ELj64ELj32E21rocsparse_complex_numIdEEEv20rocsparse_direction_iiiiii21rocsparse_index_base_PKT2_PKiS9_S4_PS5_PiSB_ ; -- Begin function _ZN9rocsparseL40csr2gebsr_block_per_row_multipass_kernelILj256ELj64ELj32E21rocsparse_complex_numIdEEEv20rocsparse_direction_iiiiii21rocsparse_index_base_PKT2_PKiS9_S4_PS5_PiSB_
	.p2align	8
	.type	_ZN9rocsparseL40csr2gebsr_block_per_row_multipass_kernelILj256ELj64ELj32E21rocsparse_complex_numIdEEEv20rocsparse_direction_iiiiii21rocsparse_index_base_PKT2_PKiS9_S4_PS5_PiSB_,@function
_ZN9rocsparseL40csr2gebsr_block_per_row_multipass_kernelILj256ELj64ELj32E21rocsparse_complex_numIdEEEv20rocsparse_direction_iiiiii21rocsparse_index_base_PKT2_PKiS9_S4_PS5_PiSB_: ; @_ZN9rocsparseL40csr2gebsr_block_per_row_multipass_kernelILj256ELj64ELj32E21rocsparse_complex_numIdEEEv20rocsparse_direction_iiiiii21rocsparse_index_base_PKT2_PKiS9_S4_PS5_PiSB_
; %bb.0:
	s_clause 0x1
	s_load_b128 s[12:15], s[0:1], 0x10
	s_load_b64 s[30:31], s[0:1], 0x0
	s_bfe_u32 s2, ttmp6, 0x4000c
	s_and_b32 s3, ttmp6, 15
	s_add_co_i32 s2, s2, 1
	s_getreg_b32 s4, hwreg(HW_REG_IB_STS2, 6, 4)
	s_mul_i32 s2, ttmp9, s2
	v_dual_mov_b32 v30, 0 :: v_dual_lshrrev_b32 v1, 2, v0
	s_add_co_i32 s3, s3, s2
	s_cmp_eq_u32 s4, 0
	s_load_b64 s[6:7], s[0:1], 0x28
	s_cselect_b32 s4, ttmp9, s3
	v_mov_b32_e32 v45, 0
	s_wait_kmcnt 0x0
	v_mad_u32 v2, s13, s4, v1
	v_cmp_gt_i32_e32 vcc_lo, s13, v1
	s_delay_alu instid0(VALU_DEP_2) | instskip(SKIP_1) | instid1(SALU_CYCLE_1)
	v_cmp_gt_i32_e64 s2, s31, v2
	s_and_b32 s2, vcc_lo, s2
	s_and_saveexec_b32 s3, s2
	s_cbranch_execnz .LBB227_3
; %bb.1:
	s_or_b32 exec_lo, exec_lo, s3
	s_and_saveexec_b32 s3, s2
	s_cbranch_execnz .LBB227_4
.LBB227_2:
	s_or_b32 exec_lo, exec_lo, s3
	s_cmp_lt_i32 s12, 1
	s_cbranch_scc0 .LBB227_5
	s_branch .LBB227_49
.LBB227_3:
	global_load_b32 v3, v2, s[6:7] scale_offset
	s_wait_loadcnt 0x0
	v_subrev_nc_u32_e32 v45, s15, v3
	s_or_b32 exec_lo, exec_lo, s3
	s_and_saveexec_b32 s3, s2
	s_cbranch_execz .LBB227_2
.LBB227_4:
	global_load_b32 v2, v2, s[6:7] offset:4 scale_offset
	s_wait_loadcnt 0x0
	v_subrev_nc_u32_e32 v30, s15, v2
	s_or_b32 exec_lo, exec_lo, s3
	s_cmp_lt_i32 s12, 1
	s_cbranch_scc1 .LBB227_49
.LBB227_5:
	s_clause 0x3
	s_load_b128 s[16:19], s[0:1], 0x40
	s_load_b64 s[24:25], s[0:1], 0x50
	s_load_b96 s[20:22], s[0:1], 0x30
	s_load_b64 s[26:27], s[0:1], 0x20
	v_mbcnt_lo_u32_b32 v3, -1, 0
	s_ashr_i32 s5, s4, 31
	v_dual_lshlrev_b32 v32, 9, v1 :: v_dual_bitop2_b32 v31, 3, v0 bitop3:0x40
	v_dual_mov_b32 v5, 0 :: v_dual_lshlrev_b32 v4, 4, v1
	v_mul_lo_u32 v2, s14, v1
	v_dual_lshlrev_b32 v33, 2, v0 :: v_dual_bitop2_b32 v1, 2, v3 bitop3:0x14
	s_lshl_b64 s[4:5], s[4:5], 2
	s_wait_xcnt 0x0
	v_cmp_gt_u32_e64 s0, 0x80, v0
	v_cmp_gt_u32_e64 s1, 64, v0
	;; [unrolled: 1-line block ×3, first 2 shown]
	v_cmp_gt_i32_e64 s8, 32, v1
	v_xor_b32_e32 v6, 1, v3
	v_cmp_gt_u32_e64 s3, 16, v0
	s_wait_kmcnt 0x0
	s_add_nc_u64 s[4:5], s[18:19], s[4:5]
	v_cmp_gt_u32_e64 s6, 2, v0
	s_load_b32 s9, s[4:5], 0x0
	s_wait_xcnt 0x0
	v_cmp_gt_u32_e64 s4, 8, v0
	v_cmp_gt_u32_e64 s5, 4, v0
	v_cmp_eq_u32_e64 s7, 0, v0
	v_cndmask_b32_e64 v7, v3, v1, s8
	v_cmp_gt_i32_e64 s8, 32, v6
	v_lshlrev_b32_e32 v0, 4, v31
	v_lshl_or_b32 v34, v3, 2, 12
	v_mul_lo_u32 v10, v31, s13
	v_dual_mov_b32 v1, v5 :: v_dual_lshlrev_b32 v36, 2, v7
	s_delay_alu instid0(VALU_DEP_4)
	v_dual_cndmask_b32 v6, v3, v6, s8 :: v_dual_bitop2_b32 v35, v32, v0 bitop3:0x54
	v_ashrrev_i32_e32 v3, 31, v2
	s_mov_b32 s11, 0
	v_mov_b32_e32 v11, v5
	s_mov_b32 s10, s13
	s_mov_b32 s28, s14
	v_lshl_add_u64 v[2:3], v[2:3], 4, s[16:17]
	v_dual_lshlrev_b32 v37, 2, v6 :: v_dual_bitop2_b32 v38, 64, v35 bitop3:0x54
	s_wait_kmcnt 0x0
	s_sub_co_i32 s18, s9, s22
	v_cmp_gt_u32_e64 s9, s14, v31
	v_add_nc_u64_e32 v[8:9], v[2:3], v[0:1]
	v_or_b32_e32 v0, 4, v31
	s_cmp_eq_u32 s30, 0
	v_dual_mov_b32 v13, v5 :: v_dual_bitop2_b32 v1, 12, v31 bitop3:0x54
	s_cselect_b32 s8, -1, 0
	s_lshl_b32 s19, s13, 2
	s_and_b32 s23, vcc_lo, s9
	v_cmp_gt_u32_e64 s9, s14, v0
	v_dual_add_nc_u32 v12, s19, v10 :: v_dual_bitop2_b32 v0, 8, v31 bitop3:0x54
	s_ashr_i32 s29, s14, 31
	s_abs_i32 s31, s14
	v_add_nc_u64_e32 v[6:7], s[16:17], v[4:5]
	s_mul_u64 s[16:17], s[28:29], s[10:11]
	v_dual_mov_b32 v15, v5 :: v_dual_add_nc_u32 v14, s19, v12
	v_cmp_gt_u32_e64 s10, s14, v0
	s_and_b32 s13, vcc_lo, s9
	v_cmp_gt_u32_e64 s9, s14, v1
	v_dual_mov_b32 v17, v5 :: v_dual_bitop2_b32 v1, 20, v31 bitop3:0x54
	s_cvt_f32_u32 s33, s31
	v_dual_add_nc_u32 v16, s19, v14 :: v_dual_bitop2_b32 v0, 16, v31 bitop3:0x54
	s_and_b32 s28, vcc_lo, s10
	s_delay_alu instid0(VALU_DEP_2)
	v_cmp_gt_u32_e64 s10, s14, v1
	v_rcp_iflag_f32_e32 v1, s33
	s_and_b32 s30, vcc_lo, s9
	v_add_nc_u32_e32 v18, s19, v16
	v_cmp_gt_u32_e64 s9, s14, v0
	s_and_b32 s34, vcc_lo, s10
	v_dual_mov_b32 v19, v5 :: v_dual_bitop2_b32 v0, 24, v31 bitop3:0x54
	v_add_nc_u32_e32 v20, s19, v18
	v_readfirstlane_b32 s10, v1
	s_and_b32 s33, vcc_lo, s9
	v_cmp_gt_u32_e64 s9, s14, v0
	v_dual_mov_b32 v21, v5 :: v_dual_bitop2_b32 v0, 28, v31 bitop3:0x54
	s_mul_f32 s10, s10, 0x4f7ffffe
	v_dual_mov_b32 v23, v5 :: v_dual_add_nc_u32 v22, s19, v20
	s_mov_b32 s36, s11
	s_delay_alu instid0(SALU_CYCLE_1)
	s_cvt_u32_f32 s10, s10
	s_mov_b32 s37, s11
	s_mov_b32 s38, s11
	;; [unrolled: 1-line block ×3, first 2 shown]
	s_and_b32 s35, vcc_lo, s9
	v_cmp_gt_u32_e64 s9, s14, v0
	v_dual_mov_b32 v25, v5 :: v_dual_add_nc_u32 v24, s19, v22
	s_sub_co_i32 s19, 0, s31
	v_mov_b64_e32 v[0:1], s[36:37]
	v_mov_b64_e32 v[2:3], s[38:39]
	s_mul_i32 s19, s19, s10
	v_or_b32_e32 v39, 0x80, v35
	v_or_b32_e32 v40, 0xc0, v35
	;; [unrolled: 1-line block ×6, first 2 shown]
	v_dual_mov_b32 v46, 1 :: v_dual_mov_b32 v28, 0
	s_mul_hi_u32 s19, s10, s19
	s_and_b32 s36, vcc_lo, s9
	s_add_co_i32 s10, s10, s19
	s_branch .LBB227_7
.LBB227_6:                              ;   in Loop: Header=BB227_7 Depth=1
	s_or_b32 exec_lo, exec_lo, s19
	s_wait_dscnt 0x0
	s_barrier_signal -1
	s_barrier_wait -1
	ds_load_b32 v28, v5
	s_add_co_i32 s18, s9, s18
	s_wait_dscnt 0x0
	s_barrier_signal -1
	s_barrier_wait -1
	v_cmp_gt_i32_e32 vcc_lo, s12, v28
	s_cbranch_vccz .LBB227_49
.LBB227_7:                              ; =>This Loop Header: Depth=1
                                        ;     Child Loop BB227_10 Depth 2
	v_dual_mov_b32 v47, s12 :: v_dual_add_nc_u32 v26, v45, v31
	v_mov_b32_e32 v27, v30
	s_mov_b32 s19, exec_lo
	ds_store_b8 v5, v5 offset:32768
	ds_store_b128 v35, v[0:3]
	ds_store_b128 v35, v[0:3] offset:64
	ds_store_b128 v35, v[0:3] offset:128
	;; [unrolled: 1-line block ×7, first 2 shown]
	s_wait_dscnt 0x0
	s_barrier_signal -1
	s_barrier_wait -1
	v_cmpx_lt_i32_e64 v26, v30
	s_cbranch_execz .LBB227_15
; %bb.8:                                ;   in Loop: Header=BB227_7 Depth=1
	v_mul_lo_u32 v29, v28, s14
	v_dual_mov_b32 v47, s12 :: v_dual_mov_b32 v27, v30
	s_mov_b32 s37, 0
	s_branch .LBB227_10
.LBB227_9:                              ;   in Loop: Header=BB227_10 Depth=2
	s_wait_xcnt 0x0
	s_or_b32 exec_lo, exec_lo, s9
	v_add_nc_u32_e32 v26, 4, v26
	s_xor_b32 s38, vcc_lo, -1
	s_delay_alu instid0(VALU_DEP_1) | instskip(SKIP_1) | instid1(SALU_CYCLE_1)
	v_cmp_ge_i32_e64 s9, v26, v30
	s_or_b32 s9, s38, s9
	s_and_b32 s9, exec_lo, s9
	s_delay_alu instid0(SALU_CYCLE_1) | instskip(NEXT) | instid1(SALU_CYCLE_1)
	s_or_b32 s37, s9, s37
	s_and_not1_b32 exec_lo, exec_lo, s37
	s_cbranch_execz .LBB227_14
.LBB227_10:                             ;   Parent Loop BB227_7 Depth=1
                                        ; =>  This Inner Loop Header: Depth=2
	global_load_b32 v4, v26, s[20:21] scale_offset
	s_wait_loadcnt 0x0
	v_subrev_nc_u32_e32 v45, s15, v4
	s_delay_alu instid0(VALU_DEP_1) | instskip(NEXT) | instid1(VALU_DEP_1)
	v_sub_nc_u32_e32 v4, 0, v45
	v_max_i32_e32 v4, v45, v4
	s_delay_alu instid0(VALU_DEP_1) | instskip(NEXT) | instid1(VALU_DEP_1)
	v_mul_u64_e32 v[48:49], s[10:11], v[4:5]
	v_mul_lo_u32 v48, v49, s31
	s_delay_alu instid0(VALU_DEP_1) | instskip(NEXT) | instid1(VALU_DEP_1)
	v_dual_sub_nc_u32 v4, v4, v48 :: v_dual_add_nc_u32 v48, 1, v49
	v_cmp_le_u32_e32 vcc_lo, s31, v4
	s_delay_alu instid0(VALU_DEP_2) | instskip(SKIP_1) | instid1(VALU_DEP_1)
	v_dual_cndmask_b32 v48, v49, v48 :: v_dual_ashrrev_i32 v49, 31, v45
	v_subrev_nc_u32_e32 v50, s31, v4
	v_dual_cndmask_b32 v4, v4, v50, vcc_lo :: v_dual_add_nc_u32 v50, 1, v48
	s_delay_alu instid0(VALU_DEP_1) | instskip(NEXT) | instid1(VALU_DEP_2)
	v_cmp_le_u32_e32 vcc_lo, s31, v4
	v_dual_cndmask_b32 v4, v48, v50, vcc_lo :: v_dual_bitop2_b32 v49, s29, v49 bitop3:0x14
	s_delay_alu instid0(VALU_DEP_1) | instskip(NEXT) | instid1(VALU_DEP_1)
	v_xor_b32_e32 v4, v4, v49
	v_dual_sub_nc_u32 v48, v4, v49 :: v_dual_mov_b32 v4, v27
	s_delay_alu instid0(VALU_DEP_1) | instskip(SKIP_3) | instid1(SALU_CYCLE_1)
	v_cmp_ne_u32_e64 s9, v48, v28
	v_cmp_eq_u32_e32 vcc_lo, v48, v28
	s_wait_xcnt 0x0
	s_and_saveexec_b32 s38, s9
	s_xor_b32 s9, exec_lo, s38
; %bb.11:                               ;   in Loop: Header=BB227_10 Depth=2
	v_min_i32_e32 v47, v48, v47
                                        ; implicit-def: $vgpr45
                                        ; implicit-def: $vgpr4
; %bb.12:                               ;   in Loop: Header=BB227_10 Depth=2
	s_or_saveexec_b32 s9, s9
	v_mov_b32_e32 v27, v26
	s_xor_b32 exec_lo, exec_lo, s9
	s_cbranch_execz .LBB227_9
; %bb.13:                               ;   in Loop: Header=BB227_10 Depth=2
	v_ashrrev_i32_e32 v27, 31, v26
	s_delay_alu instid0(VALU_DEP_1)
	v_lshl_add_u64 v[48:49], v[26:27], 4, s[26:27]
	v_sub_nc_u32_e32 v27, v45, v29
	global_load_b128 v[48:51], v[48:49], off
	v_lshl_add_u32 v45, v27, 4, v32
	v_mov_b32_e32 v27, v4
	ds_store_b8 v5, v46 offset:32768
	s_wait_loadcnt 0x0
	ds_store_2addr_b64 v45, v[48:49], v[50:51] offset1:1
	s_branch .LBB227_9
.LBB227_14:                             ;   in Loop: Header=BB227_7 Depth=1
	s_or_b32 exec_lo, exec_lo, s37
.LBB227_15:                             ;   in Loop: Header=BB227_7 Depth=1
	s_delay_alu instid0(SALU_CYCLE_1)
	s_or_b32 exec_lo, exec_lo, s19
	ds_bpermute_b32 v4, v36, v27
	s_wait_dscnt 0x0
	s_barrier_signal -1
	s_barrier_wait -1
	s_mov_b32 s9, 0
	v_min_i32_e32 v4, v4, v27
	ds_load_u8 v27, v5 offset:32768
	ds_bpermute_b32 v26, v37, v4
	s_wait_dscnt 0x0
	v_min_i32_e32 v4, v26, v4
	ds_bpermute_b32 v45, v34, v4
	v_and_b32_e32 v4, 1, v27
	s_delay_alu instid0(VALU_DEP_1)
	v_cmp_eq_u32_e32 vcc_lo, 0, v4
	s_cbranch_vccnz .LBB227_26
; %bb.16:                               ;   in Loop: Header=BB227_7 Depth=1
	s_ashr_i32 s19, s18, 31
	v_dual_add_nc_u32 v4, s22, v28 :: v_dual_mov_b32 v48, s18
	s_mul_u64 s[38:39], s[16:17], s[18:19]
	s_delay_alu instid0(SALU_CYCLE_1) | instskip(NEXT) | instid1(SALU_CYCLE_1)
	s_lshl_b64 s[38:39], s[38:39], 4
	v_add_nc_u64_e32 v[26:27], s[38:39], v[6:7]
	v_add_nc_u64_e32 v[28:29], s[38:39], v[8:9]
	global_store_b32 v48, v4, s[24:25] scale_offset
	s_wait_xcnt 0x0
	s_and_saveexec_b32 s9, s23
	s_cbranch_execnz .LBB227_42
; %bb.17:                               ;   in Loop: Header=BB227_7 Depth=1
	s_or_b32 exec_lo, exec_lo, s9
	s_and_saveexec_b32 s9, s13
	s_cbranch_execnz .LBB227_43
.LBB227_18:                             ;   in Loop: Header=BB227_7 Depth=1
	s_or_b32 exec_lo, exec_lo, s9
	s_and_saveexec_b32 s9, s28
	s_cbranch_execnz .LBB227_44
.LBB227_19:                             ;   in Loop: Header=BB227_7 Depth=1
	s_or_b32 exec_lo, exec_lo, s9
	s_and_saveexec_b32 s9, s30
	s_cbranch_execnz .LBB227_45
.LBB227_20:                             ;   in Loop: Header=BB227_7 Depth=1
	s_or_b32 exec_lo, exec_lo, s9
	s_and_saveexec_b32 s9, s33
	s_cbranch_execnz .LBB227_46
.LBB227_21:                             ;   in Loop: Header=BB227_7 Depth=1
	s_or_b32 exec_lo, exec_lo, s9
	s_and_saveexec_b32 s9, s34
	s_cbranch_execnz .LBB227_47
.LBB227_22:                             ;   in Loop: Header=BB227_7 Depth=1
	s_or_b32 exec_lo, exec_lo, s9
	s_and_saveexec_b32 s9, s35
	s_cbranch_execnz .LBB227_48
.LBB227_23:                             ;   in Loop: Header=BB227_7 Depth=1
	s_or_b32 exec_lo, exec_lo, s9
	s_and_saveexec_b32 s9, s36
	s_cbranch_execz .LBB227_25
.LBB227_24:                             ;   in Loop: Header=BB227_7 Depth=1
	ds_load_2addr_b64 v[48:51], v44 offset1:1
	v_add_nc_u64_e32 v[28:29], 0x1c0, v[28:29]
	v_lshl_add_u64 v[26:27], v[24:25], 4, v[26:27]
	s_delay_alu instid0(VALU_DEP_1)
	v_dual_cndmask_b32 v27, v27, v29, s8 :: v_dual_cndmask_b32 v26, v26, v28, s8
	s_wait_dscnt 0x0
	global_store_b128 v[26:27], v[48:51], off
.LBB227_25:                             ;   in Loop: Header=BB227_7 Depth=1
	s_wait_xcnt 0x0
	s_or_b32 exec_lo, exec_lo, s9
	s_mov_b32 s9, 1
.LBB227_26:                             ;   in Loop: Header=BB227_7 Depth=1
	s_wait_storecnt_dscnt 0x0
	s_barrier_signal -1
	s_barrier_wait -1
	ds_store_b32 v33, v47
	s_wait_dscnt 0x0
	s_barrier_signal -1
	s_barrier_wait -1
	s_and_saveexec_b32 s19, s0
	s_cbranch_execz .LBB227_28
; %bb.27:                               ;   in Loop: Header=BB227_7 Depth=1
	ds_load_2addr_stride64_b32 v[26:27], v33 offset1:2
	s_wait_dscnt 0x0
	v_min_i32_e32 v4, v27, v26
	ds_store_b32 v33, v4
.LBB227_28:                             ;   in Loop: Header=BB227_7 Depth=1
	s_or_b32 exec_lo, exec_lo, s19
	s_wait_dscnt 0x0
	s_barrier_signal -1
	s_barrier_wait -1
	s_and_saveexec_b32 s19, s1
	s_cbranch_execz .LBB227_30
; %bb.29:                               ;   in Loop: Header=BB227_7 Depth=1
	ds_load_2addr_stride64_b32 v[26:27], v33 offset1:1
	s_wait_dscnt 0x0
	v_min_i32_e32 v4, v27, v26
	ds_store_b32 v33, v4
.LBB227_30:                             ;   in Loop: Header=BB227_7 Depth=1
	s_or_b32 exec_lo, exec_lo, s19
	s_wait_dscnt 0x0
	s_barrier_signal -1
	s_barrier_wait -1
	s_and_saveexec_b32 s19, s2
	s_cbranch_execz .LBB227_32
; %bb.31:                               ;   in Loop: Header=BB227_7 Depth=1
	ds_load_2addr_b32 v[26:27], v33 offset1:32
	s_wait_dscnt 0x0
	v_min_i32_e32 v4, v27, v26
	ds_store_b32 v33, v4
.LBB227_32:                             ;   in Loop: Header=BB227_7 Depth=1
	s_or_b32 exec_lo, exec_lo, s19
	s_wait_dscnt 0x0
	s_barrier_signal -1
	s_barrier_wait -1
	s_and_saveexec_b32 s19, s3
	s_cbranch_execz .LBB227_34
; %bb.33:                               ;   in Loop: Header=BB227_7 Depth=1
	ds_load_2addr_b32 v[26:27], v33 offset1:16
	s_wait_dscnt 0x0
	v_min_i32_e32 v4, v27, v26
	ds_store_b32 v33, v4
.LBB227_34:                             ;   in Loop: Header=BB227_7 Depth=1
	;; [unrolled: 12-line block ×5, first 2 shown]
	s_or_b32 exec_lo, exec_lo, s19
	s_wait_dscnt 0x0
	s_barrier_signal -1
	s_barrier_wait -1
	s_and_saveexec_b32 s19, s7
	s_cbranch_execz .LBB227_6
; %bb.41:                               ;   in Loop: Header=BB227_7 Depth=1
	ds_load_b64 v[26:27], v5
	s_wait_dscnt 0x0
	v_min_i32_e32 v4, v27, v26
	ds_store_b32 v5, v4
	s_branch .LBB227_6
.LBB227_42:                             ;   in Loop: Header=BB227_7 Depth=1
	ds_load_2addr_b64 v[48:51], v35 offset1:1
	v_lshl_add_u64 v[52:53], v[10:11], 4, v[26:27]
	s_delay_alu instid0(VALU_DEP_1)
	v_dual_cndmask_b32 v53, v53, v29, s8 :: v_dual_cndmask_b32 v52, v52, v28, s8
	s_wait_dscnt 0x0
	global_store_b128 v[52:53], v[48:51], off
	s_wait_xcnt 0x0
	s_or_b32 exec_lo, exec_lo, s9
	s_and_saveexec_b32 s9, s13
	s_cbranch_execz .LBB227_18
.LBB227_43:                             ;   in Loop: Header=BB227_7 Depth=1
	ds_load_2addr_b64 v[48:51], v38 offset1:1
	v_add_nc_u64_e32 v[52:53], 64, v[28:29]
	v_lshl_add_u64 v[54:55], v[12:13], 4, v[26:27]
	s_delay_alu instid0(VALU_DEP_1)
	v_dual_cndmask_b32 v53, v55, v53, s8 :: v_dual_cndmask_b32 v52, v54, v52, s8
	s_wait_dscnt 0x0
	global_store_b128 v[52:53], v[48:51], off
	s_wait_xcnt 0x0
	s_or_b32 exec_lo, exec_lo, s9
	s_and_saveexec_b32 s9, s28
	s_cbranch_execz .LBB227_19
.LBB227_44:                             ;   in Loop: Header=BB227_7 Depth=1
	ds_load_2addr_b64 v[48:51], v39 offset1:1
	v_add_nc_u64_e32 v[52:53], 0x80, v[28:29]
	v_lshl_add_u64 v[54:55], v[14:15], 4, v[26:27]
	s_delay_alu instid0(VALU_DEP_1)
	v_dual_cndmask_b32 v53, v55, v53, s8 :: v_dual_cndmask_b32 v52, v54, v52, s8
	s_wait_dscnt 0x0
	global_store_b128 v[52:53], v[48:51], off
	s_wait_xcnt 0x0
	s_or_b32 exec_lo, exec_lo, s9
	s_and_saveexec_b32 s9, s30
	s_cbranch_execz .LBB227_20
.LBB227_45:                             ;   in Loop: Header=BB227_7 Depth=1
	ds_load_2addr_b64 v[48:51], v40 offset1:1
	v_add_nc_u64_e32 v[52:53], 0xc0, v[28:29]
	v_lshl_add_u64 v[54:55], v[16:17], 4, v[26:27]
	s_delay_alu instid0(VALU_DEP_1)
	v_dual_cndmask_b32 v53, v55, v53, s8 :: v_dual_cndmask_b32 v52, v54, v52, s8
	s_wait_dscnt 0x0
	global_store_b128 v[52:53], v[48:51], off
	s_wait_xcnt 0x0
	s_or_b32 exec_lo, exec_lo, s9
	s_and_saveexec_b32 s9, s33
	s_cbranch_execz .LBB227_21
.LBB227_46:                             ;   in Loop: Header=BB227_7 Depth=1
	ds_load_2addr_b64 v[48:51], v41 offset1:1
	v_add_nc_u64_e32 v[52:53], 0x100, v[28:29]
	v_lshl_add_u64 v[54:55], v[18:19], 4, v[26:27]
	s_delay_alu instid0(VALU_DEP_1)
	v_dual_cndmask_b32 v53, v55, v53, s8 :: v_dual_cndmask_b32 v52, v54, v52, s8
	s_wait_dscnt 0x0
	global_store_b128 v[52:53], v[48:51], off
	s_wait_xcnt 0x0
	s_or_b32 exec_lo, exec_lo, s9
	s_and_saveexec_b32 s9, s34
	s_cbranch_execz .LBB227_22
.LBB227_47:                             ;   in Loop: Header=BB227_7 Depth=1
	ds_load_2addr_b64 v[48:51], v42 offset1:1
	v_add_nc_u64_e32 v[52:53], 0x140, v[28:29]
	v_lshl_add_u64 v[54:55], v[20:21], 4, v[26:27]
	s_delay_alu instid0(VALU_DEP_1)
	v_dual_cndmask_b32 v53, v55, v53, s8 :: v_dual_cndmask_b32 v52, v54, v52, s8
	s_wait_dscnt 0x0
	global_store_b128 v[52:53], v[48:51], off
	s_wait_xcnt 0x0
	s_or_b32 exec_lo, exec_lo, s9
	s_and_saveexec_b32 s9, s35
	s_cbranch_execz .LBB227_23
.LBB227_48:                             ;   in Loop: Header=BB227_7 Depth=1
	ds_load_2addr_b64 v[48:51], v43 offset1:1
	v_add_nc_u64_e32 v[52:53], 0x180, v[28:29]
	v_lshl_add_u64 v[54:55], v[22:23], 4, v[26:27]
	s_delay_alu instid0(VALU_DEP_1)
	v_dual_cndmask_b32 v53, v55, v53, s8 :: v_dual_cndmask_b32 v52, v54, v52, s8
	s_wait_dscnt 0x0
	global_store_b128 v[52:53], v[48:51], off
	s_wait_xcnt 0x0
	s_or_b32 exec_lo, exec_lo, s9
	s_and_saveexec_b32 s9, s36
	s_cbranch_execnz .LBB227_24
	s_branch .LBB227_25
.LBB227_49:
	s_endpgm
	.section	.rodata,"a",@progbits
	.p2align	6, 0x0
	.amdhsa_kernel _ZN9rocsparseL40csr2gebsr_block_per_row_multipass_kernelILj256ELj64ELj32E21rocsparse_complex_numIdEEEv20rocsparse_direction_iiiiii21rocsparse_index_base_PKT2_PKiS9_S4_PS5_PiSB_
		.amdhsa_group_segment_fixed_size 32776
		.amdhsa_private_segment_fixed_size 0
		.amdhsa_kernarg_size 88
		.amdhsa_user_sgpr_count 2
		.amdhsa_user_sgpr_dispatch_ptr 0
		.amdhsa_user_sgpr_queue_ptr 0
		.amdhsa_user_sgpr_kernarg_segment_ptr 1
		.amdhsa_user_sgpr_dispatch_id 0
		.amdhsa_user_sgpr_kernarg_preload_length 0
		.amdhsa_user_sgpr_kernarg_preload_offset 0
		.amdhsa_user_sgpr_private_segment_size 0
		.amdhsa_wavefront_size32 1
		.amdhsa_uses_dynamic_stack 0
		.amdhsa_enable_private_segment 0
		.amdhsa_system_sgpr_workgroup_id_x 1
		.amdhsa_system_sgpr_workgroup_id_y 0
		.amdhsa_system_sgpr_workgroup_id_z 0
		.amdhsa_system_sgpr_workgroup_info 0
		.amdhsa_system_vgpr_workitem_id 0
		.amdhsa_next_free_vgpr 56
		.amdhsa_next_free_sgpr 40
		.amdhsa_named_barrier_count 0
		.amdhsa_reserve_vcc 1
		.amdhsa_float_round_mode_32 0
		.amdhsa_float_round_mode_16_64 0
		.amdhsa_float_denorm_mode_32 3
		.amdhsa_float_denorm_mode_16_64 3
		.amdhsa_fp16_overflow 0
		.amdhsa_memory_ordered 1
		.amdhsa_forward_progress 1
		.amdhsa_inst_pref_size 21
		.amdhsa_round_robin_scheduling 0
		.amdhsa_exception_fp_ieee_invalid_op 0
		.amdhsa_exception_fp_denorm_src 0
		.amdhsa_exception_fp_ieee_div_zero 0
		.amdhsa_exception_fp_ieee_overflow 0
		.amdhsa_exception_fp_ieee_underflow 0
		.amdhsa_exception_fp_ieee_inexact 0
		.amdhsa_exception_int_div_zero 0
	.end_amdhsa_kernel
	.section	.text._ZN9rocsparseL40csr2gebsr_block_per_row_multipass_kernelILj256ELj64ELj32E21rocsparse_complex_numIdEEEv20rocsparse_direction_iiiiii21rocsparse_index_base_PKT2_PKiS9_S4_PS5_PiSB_,"axG",@progbits,_ZN9rocsparseL40csr2gebsr_block_per_row_multipass_kernelILj256ELj64ELj32E21rocsparse_complex_numIdEEEv20rocsparse_direction_iiiiii21rocsparse_index_base_PKT2_PKiS9_S4_PS5_PiSB_,comdat
.Lfunc_end227:
	.size	_ZN9rocsparseL40csr2gebsr_block_per_row_multipass_kernelILj256ELj64ELj32E21rocsparse_complex_numIdEEEv20rocsparse_direction_iiiiii21rocsparse_index_base_PKT2_PKiS9_S4_PS5_PiSB_, .Lfunc_end227-_ZN9rocsparseL40csr2gebsr_block_per_row_multipass_kernelILj256ELj64ELj32E21rocsparse_complex_numIdEEEv20rocsparse_direction_iiiiii21rocsparse_index_base_PKT2_PKiS9_S4_PS5_PiSB_
                                        ; -- End function
	.set _ZN9rocsparseL40csr2gebsr_block_per_row_multipass_kernelILj256ELj64ELj32E21rocsparse_complex_numIdEEEv20rocsparse_direction_iiiiii21rocsparse_index_base_PKT2_PKiS9_S4_PS5_PiSB_.num_vgpr, 56
	.set _ZN9rocsparseL40csr2gebsr_block_per_row_multipass_kernelILj256ELj64ELj32E21rocsparse_complex_numIdEEEv20rocsparse_direction_iiiiii21rocsparse_index_base_PKT2_PKiS9_S4_PS5_PiSB_.num_agpr, 0
	.set _ZN9rocsparseL40csr2gebsr_block_per_row_multipass_kernelILj256ELj64ELj32E21rocsparse_complex_numIdEEEv20rocsparse_direction_iiiiii21rocsparse_index_base_PKT2_PKiS9_S4_PS5_PiSB_.numbered_sgpr, 40
	.set _ZN9rocsparseL40csr2gebsr_block_per_row_multipass_kernelILj256ELj64ELj32E21rocsparse_complex_numIdEEEv20rocsparse_direction_iiiiii21rocsparse_index_base_PKT2_PKiS9_S4_PS5_PiSB_.num_named_barrier, 0
	.set _ZN9rocsparseL40csr2gebsr_block_per_row_multipass_kernelILj256ELj64ELj32E21rocsparse_complex_numIdEEEv20rocsparse_direction_iiiiii21rocsparse_index_base_PKT2_PKiS9_S4_PS5_PiSB_.private_seg_size, 0
	.set _ZN9rocsparseL40csr2gebsr_block_per_row_multipass_kernelILj256ELj64ELj32E21rocsparse_complex_numIdEEEv20rocsparse_direction_iiiiii21rocsparse_index_base_PKT2_PKiS9_S4_PS5_PiSB_.uses_vcc, 1
	.set _ZN9rocsparseL40csr2gebsr_block_per_row_multipass_kernelILj256ELj64ELj32E21rocsparse_complex_numIdEEEv20rocsparse_direction_iiiiii21rocsparse_index_base_PKT2_PKiS9_S4_PS5_PiSB_.uses_flat_scratch, 0
	.set _ZN9rocsparseL40csr2gebsr_block_per_row_multipass_kernelILj256ELj64ELj32E21rocsparse_complex_numIdEEEv20rocsparse_direction_iiiiii21rocsparse_index_base_PKT2_PKiS9_S4_PS5_PiSB_.has_dyn_sized_stack, 0
	.set _ZN9rocsparseL40csr2gebsr_block_per_row_multipass_kernelILj256ELj64ELj32E21rocsparse_complex_numIdEEEv20rocsparse_direction_iiiiii21rocsparse_index_base_PKT2_PKiS9_S4_PS5_PiSB_.has_recursion, 0
	.set _ZN9rocsparseL40csr2gebsr_block_per_row_multipass_kernelILj256ELj64ELj32E21rocsparse_complex_numIdEEEv20rocsparse_direction_iiiiii21rocsparse_index_base_PKT2_PKiS9_S4_PS5_PiSB_.has_indirect_call, 0
	.section	.AMDGPU.csdata,"",@progbits
; Kernel info:
; codeLenInByte = 2580
; TotalNumSgprs: 42
; NumVgprs: 56
; ScratchSize: 0
; MemoryBound: 0
; FloatMode: 240
; IeeeMode: 1
; LDSByteSize: 32776 bytes/workgroup (compile time only)
; SGPRBlocks: 0
; VGPRBlocks: 3
; NumSGPRsForWavesPerEU: 42
; NumVGPRsForWavesPerEU: 56
; NamedBarCnt: 0
; Occupancy: 16
; WaveLimiterHint : 0
; COMPUTE_PGM_RSRC2:SCRATCH_EN: 0
; COMPUTE_PGM_RSRC2:USER_SGPR: 2
; COMPUTE_PGM_RSRC2:TRAP_HANDLER: 0
; COMPUTE_PGM_RSRC2:TGID_X_EN: 1
; COMPUTE_PGM_RSRC2:TGID_Y_EN: 0
; COMPUTE_PGM_RSRC2:TGID_Z_EN: 0
; COMPUTE_PGM_RSRC2:TIDIG_COMP_CNT: 0
	.section	.text._ZN9rocsparseL23csr2gebsr_65_inf_kernelILi32E21rocsparse_complex_numIdEEEv20rocsparse_direction_iiiiiii21rocsparse_index_base_PKT0_PKiS9_S4_PS5_PiSB_SB_SA_,"axG",@progbits,_ZN9rocsparseL23csr2gebsr_65_inf_kernelILi32E21rocsparse_complex_numIdEEEv20rocsparse_direction_iiiiiii21rocsparse_index_base_PKT0_PKiS9_S4_PS5_PiSB_SB_SA_,comdat
	.globl	_ZN9rocsparseL23csr2gebsr_65_inf_kernelILi32E21rocsparse_complex_numIdEEEv20rocsparse_direction_iiiiiii21rocsparse_index_base_PKT0_PKiS9_S4_PS5_PiSB_SB_SA_ ; -- Begin function _ZN9rocsparseL23csr2gebsr_65_inf_kernelILi32E21rocsparse_complex_numIdEEEv20rocsparse_direction_iiiiiii21rocsparse_index_base_PKT0_PKiS9_S4_PS5_PiSB_SB_SA_
	.p2align	8
	.type	_ZN9rocsparseL23csr2gebsr_65_inf_kernelILi32E21rocsparse_complex_numIdEEEv20rocsparse_direction_iiiiiii21rocsparse_index_base_PKT0_PKiS9_S4_PS5_PiSB_SB_SA_,@function
_ZN9rocsparseL23csr2gebsr_65_inf_kernelILi32E21rocsparse_complex_numIdEEEv20rocsparse_direction_iiiiiii21rocsparse_index_base_PKT0_PKiS9_S4_PS5_PiSB_SB_SA_: ; @_ZN9rocsparseL23csr2gebsr_65_inf_kernelILi32E21rocsparse_complex_numIdEEEv20rocsparse_direction_iiiiiii21rocsparse_index_base_PKT0_PKiS9_S4_PS5_PiSB_SB_SA_
; %bb.0:
	s_clause 0x2
	s_load_b128 s[4:7], s[0:1], 0x0
	s_load_b64 s[2:3], s[0:1], 0x60
	s_load_b32 s24, s[0:1], 0x40
	s_bfe_u32 s8, ttmp6, 0x4000c
	s_and_b32 s9, ttmp6, 15
	s_add_co_i32 s8, s8, 1
	s_getreg_b32 s10, hwreg(HW_REG_IB_STS2, 6, 4)
	s_mul_i32 s8, ttmp9, s8
	s_delay_alu instid0(SALU_CYCLE_1)
	s_add_co_i32 s9, s9, s8
	s_cmp_eq_u32 s10, 0
	s_cselect_b32 s18, ttmp9, s9
	s_wait_kmcnt 0x0
	s_cmp_ge_i32 s18, s7
	s_mov_b32 s7, 0
	s_cbranch_scc1 .LBB228_2
; %bb.1:
	s_load_b64 s[8:9], s[0:1], 0x50
	s_ashr_i32 s19, s18, 31
	s_delay_alu instid0(SALU_CYCLE_1)
	s_lshl_b64 s[10:11], s[18:19], 2
	s_wait_kmcnt 0x0
	s_add_nc_u64 s[8:9], s[8:9], s[10:11]
	s_load_b32 s7, s[8:9], 0x0
	s_wait_kmcnt 0x0
	s_sub_co_i32 s7, s7, s24
.LBB228_2:
	s_load_b128 s[8:11], s[0:1], 0x14
	s_wait_kmcnt 0x0
	v_mul_lo_u32 v2, s10, v0
	s_mul_i32 s12, s18, s10
	s_lshl_b32 s22, s10, 5
	s_mulk_i32 s12, 0x60
	s_ashr_i32 s23, s22, 31
	s_ashr_i32 s13, s12, 31
	s_delay_alu instid0(SALU_CYCLE_1) | instskip(SKIP_3) | instid1(VALU_DEP_1)
	s_lshl_b64 s[12:13], s[12:13], 2
	s_cmp_gt_i32 s10, 0
	s_add_nc_u64 s[20:21], s[2:3], s[12:13]
	s_cselect_b32 s25, -1, 0
	v_ashrrev_i32_e32 v3, 31, v2
	s_cmp_lt_i32 s10, 1
	s_delay_alu instid0(VALU_DEP_1)
	v_lshl_add_u64 v[6:7], v[2:3], 2, s[20:21]
	s_cbranch_scc1 .LBB228_7
; %bb.3:
	s_load_b64 s[12:13], s[0:1], 0x30
	s_delay_alu instid0(VALU_DEP_1)
	v_mov_b64_e32 v[4:5], v[6:7]
	v_dual_mov_b32 v1, 0 :: v_dual_mov_b32 v12, v0
	s_mul_i32 s3, s8, s18
	s_lshl_b64 s[14:15], s[22:23], 2
	s_mov_b32 s16, s10
	s_branch .LBB228_5
.LBB228_4:                              ;   in Loop: Header=BB228_5 Depth=1
	s_wait_xcnt 0x0
	s_or_b32 exec_lo, exec_lo, s2
	v_add_nc_u64_e32 v[4:5], 4, v[4:5]
	v_add_nc_u32_e32 v12, 32, v12
	s_add_co_i32 s16, s16, -1
	s_delay_alu instid0(SALU_CYCLE_1)
	s_cmp_eq_u32 s16, 0
	s_cbranch_scc1 .LBB228_7
.LBB228_5:                              ; =>This Inner Loop Header: Depth=1
	s_delay_alu instid0(VALU_DEP_1) | instskip(NEXT) | instid1(VALU_DEP_3)
	v_add_nc_u32_e32 v10, s3, v12
	v_add_nc_u64_e32 v[8:9], s[14:15], v[4:5]
	v_cmp_gt_i32_e64 s2, s8, v12
	global_store_b32 v[4:5], v1, off
	v_cmp_gt_i32_e32 vcc_lo, s5, v10
	global_store_b32 v[8:9], v1, off
	s_and_b32 s17, vcc_lo, s2
	s_wait_xcnt 0x0
	s_and_saveexec_b32 s2, s17
	s_cbranch_execz .LBB228_4
; %bb.6:                                ;   in Loop: Header=BB228_5 Depth=1
	v_ashrrev_i32_e32 v11, 31, v10
	s_wait_kmcnt 0x0
	s_delay_alu instid0(VALU_DEP_1)
	v_lshl_add_u64 v[10:11], v[10:11], 2, s[12:13]
	global_load_b64 v[10:11], v[10:11], off
	s_wait_loadcnt 0x0
	v_subrev_nc_u32_e32 v10, s11, v10
	v_subrev_nc_u32_e32 v11, s11, v11
	s_clause 0x1
	global_store_b32 v[4:5], v10, off
	global_store_b32 v[8:9], v11, off
	s_branch .LBB228_4
.LBB228_7:
	s_cmp_lt_i32 s6, 1
	s_cbranch_scc1 .LBB228_37
; %bb.8:
	v_mbcnt_lo_u32_b32 v14, -1, 0
	s_clause 0x1
	s_load_b64 s[26:27], s[0:1], 0x68
	s_load_b64 s[2:3], s[0:1], 0x58
	s_wait_kmcnt 0x0
	s_clause 0x2
	s_load_b64 s[12:13], s[0:1], 0x48
	s_load_b64 s[14:15], s[0:1], 0x28
	;; [unrolled: 1-line block ×3, first 2 shown]
	v_lshlrev_b64_e32 v[4:5], 2, v[2:3]
	s_mul_i32 s18, s22, s18
	s_wait_xcnt 0x0
	s_lshl_b64 s[0:1], s[22:23], 2
	v_xor_b32_e32 v15, 8, v14
	v_xor_b32_e32 v1, 16, v14
	s_ashr_i32 s29, s10, 31
	s_mov_b32 s28, s10
	s_ashr_i32 s19, s18, 31
	s_add_nc_u64 s[0:1], s[20:21], s[0:1]
	v_cmp_gt_i32_e32 vcc_lo, 32, v1
	s_lshl_b64 s[20:21], s[28:29], 7
	s_lshl_b64 s[18:19], s[18:19], 4
	s_add_nc_u64 s[20:21], s[0:1], s[20:21]
	v_add_nc_u64_e32 v[8:9], s[0:1], v[4:5]
	v_cndmask_b32_e32 v1, v14, v1, vcc_lo
	s_add_nc_u64 s[0:1], s[26:27], s[18:19]
	s_cmp_lg_u32 s4, 0
	v_lshl_add_u64 v[12:13], v[2:3], 4, s[0:1]
	s_cselect_b32 s1, -1, 0
	s_abs_i32 s26, s9
	v_dual_lshlrev_b32 v1, 2, v1 :: v_dual_bitop2_b32 v3, 4, v14 bitop3:0x14
	v_cmp_gt_i32_e32 vcc_lo, 32, v15
	s_cvt_f32_u32 s0, s26
	v_add_nc_u64_e32 v[10:11], s[20:21], v[4:5]
	v_mul_lo_u32 v31, v0, s9
	s_sub_co_i32 s22, 0, s26
	v_cndmask_b32_e32 v2, v14, v15, vcc_lo
	v_rcp_iflag_f32_e32 v15, s0
	v_cmp_gt_i32_e32 vcc_lo, 32, v3
	v_xor_b32_e32 v4, 2, v14
	s_ashr_i32 s21, s8, 31
	s_mov_b32 s20, s8
	s_ashr_i32 s19, s9, 31
	v_cndmask_b32_e32 v3, v14, v3, vcc_lo
	v_cmp_gt_i32_e32 vcc_lo, 32, v4
	v_xor_b32_e32 v5, 1, v14
	v_readfirstlane_b32 s4, v15
	s_mov_b32 s18, s9
	v_dual_lshlrev_b32 v26, 2, v2 :: v_dual_cndmask_b32 v4, v14, v4, vcc_lo
	v_cmp_gt_i32_e32 vcc_lo, 32, v5
	s_mul_f32 s4, s4, 0x4f7ffffe
	v_lshlrev_b32_e32 v27, 2, v3
	v_cmp_eq_u32_e64 s0, 31, v0
	v_dual_cndmask_b32 v5, v14, v5 :: v_dual_lshlrev_b32 v28, 2, v4
	s_cvt_u32_f32 s4, s4
	v_mov_b32_e32 v30, 0x7c
	v_dual_mov_b32 v2, 0 :: v_dual_mov_b32 v32, 0
	s_delay_alu instid0(SALU_CYCLE_1)
	s_mul_i32 s22, s22, s4
	v_dual_lshlrev_b32 v29, 2, v5 :: v_dual_mov_b32 v33, 0
	v_mov_b32_e32 v24, 0
	s_mov_b32 s5, 0
	s_mul_u64 s[20:21], s[18:19], s[20:21]
	s_mul_hi_u32 s18, s4, s22
	s_add_co_i32 s27, s7, -1
	s_add_co_i32 s22, s4, s18
	s_mov_b32 s23, s5
	s_lshl_b32 s18, s9, 5
	s_mov_b32 s28, 0
	s_branch .LBB228_10
.LBB228_9:                              ;   in Loop: Header=BB228_10 Depth=1
	s_wait_dscnt 0x1
	v_add_nc_u32_e32 v24, 1, v3
	s_delay_alu instid0(VALU_DEP_1) | instskip(SKIP_1) | instid1(SALU_CYCLE_1)
	v_cmp_le_i32_e32 vcc_lo, s6, v24
	s_or_b32 s28, vcc_lo, s28
	s_and_not1_b32 exec_lo, exec_lo, s28
	s_cbranch_execz .LBB228_37
.LBB228_10:                             ; =>This Loop Header: Depth=1
                                        ;     Child Loop BB228_14 Depth 2
                                        ;       Child Loop BB228_17 Depth 3
                                        ;     Child Loop BB228_31 Depth 2
	v_mov_b32_e32 v25, s6
	s_and_not1_b32 vcc_lo, exec_lo, s25
	s_cbranch_vccnz .LBB228_23
; %bb.11:                               ;   in Loop: Header=BB228_10 Depth=1
	v_mov_b32_e32 v25, s6
	s_mov_b32 s4, 0
	s_branch .LBB228_14
.LBB228_12:                             ;   in Loop: Header=BB228_14 Depth=2
	s_wait_xcnt 0x0
	s_or_b32 exec_lo, exec_lo, s30
.LBB228_13:                             ;   in Loop: Header=BB228_14 Depth=2
	s_delay_alu instid0(SALU_CYCLE_1) | instskip(SKIP_1) | instid1(SALU_CYCLE_1)
	s_or_b32 exec_lo, exec_lo, s29
	s_add_co_i32 s4, s4, 1
	s_cmp_eq_u32 s4, s10
	s_cbranch_scc1 .LBB228_23
.LBB228_14:                             ;   Parent Loop BB228_10 Depth=1
                                        ; =>  This Loop Header: Depth=2
                                        ;       Child Loop BB228_17 Depth 3
	s_lshl_b64 s[30:31], s[4:5], 2
	v_mov_b32_e32 v3, s6
	v_add_nc_u64_e32 v[14:15], s[30:31], v[10:11]
	v_add_nc_u64_e32 v[16:17], s[30:31], v[6:7]
	;; [unrolled: 1-line block ×3, first 2 shown]
	v_lshl_add_u64 v[18:19], s[4:5], 4, v[12:13]
	s_mov_b32 s29, exec_lo
	s_clause 0x2
	global_store_b32 v[14:15], v3, off
	global_load_b32 v20, v[16:17], off
	global_load_b32 v34, v[4:5], off
	s_wait_xcnt 0x0
	v_dual_mov_b32 v3, v2 :: v_dual_mov_b32 v5, v2
	v_mov_b32_e32 v4, v2
	global_store_b128 v[18:19], v[2:5], off
	s_wait_loadcnt 0x0
	s_wait_xcnt 0x0
	v_cmpx_lt_i32_e64 v20, v34
	s_cbranch_execz .LBB228_13
; %bb.15:                               ;   in Loop: Header=BB228_14 Depth=2
	v_ashrrev_i32_e32 v21, 31, v20
	s_mov_b32 s30, 0
                                        ; implicit-def: $sgpr31
                                        ; implicit-def: $sgpr34
                                        ; implicit-def: $sgpr33
	s_wait_kmcnt 0x0
	s_delay_alu instid0(VALU_DEP_1)
	v_lshl_add_u64 v[4:5], v[20:21], 4, s[14:15]
	v_lshl_add_u64 v[22:23], v[20:21], 2, s[16:17]
	s_branch .LBB228_17
.LBB228_16:                             ;   in Loop: Header=BB228_17 Depth=3
	s_or_b32 exec_lo, exec_lo, s35
	s_delay_alu instid0(SALU_CYCLE_1) | instskip(NEXT) | instid1(SALU_CYCLE_1)
	s_and_b32 s35, exec_lo, s34
	s_or_b32 s30, s35, s30
	s_and_not1_b32 s31, s31, exec_lo
	s_and_b32 s35, s33, exec_lo
	s_delay_alu instid0(SALU_CYCLE_1)
	s_or_b32 s31, s31, s35
	s_and_not1_b32 exec_lo, exec_lo, s30
	s_cbranch_execz .LBB228_19
.LBB228_17:                             ;   Parent Loop BB228_10 Depth=1
                                        ;     Parent Loop BB228_14 Depth=2
                                        ; =>    This Inner Loop Header: Depth=3
	global_load_b128 v[36:39], v[4:5], off
	s_or_b32 s33, s33, exec_lo
	s_or_b32 s34, s34, exec_lo
	s_mov_b32 s35, exec_lo
	s_wait_loadcnt 0x0
	global_store_b128 v[18:19], v[36:39], off
	global_load_b32 v3, v[22:23], off
	s_wait_loadcnt 0x0
	v_subrev_nc_u32_e32 v21, s11, v3
	v_mov_b32_e32 v3, v20
                                        ; implicit-def: $vgpr20
	s_wait_xcnt 0x0
	s_delay_alu instid0(VALU_DEP_2)
	v_cmpx_lt_i32_e64 v21, v24
	s_cbranch_execz .LBB228_16
; %bb.18:                               ;   in Loop: Header=BB228_17 Depth=3
	s_delay_alu instid0(VALU_DEP_2)
	v_add_nc_u32_e32 v20, 1, v3
	v_add_nc_u64_e32 v[4:5], 16, v[4:5]
	v_add_nc_u64_e32 v[22:23], 4, v[22:23]
	s_and_not1_b32 s34, s34, exec_lo
	s_and_not1_b32 s33, s33, exec_lo
	v_cmp_ge_i32_e32 vcc_lo, v20, v34
	s_and_b32 s36, vcc_lo, exec_lo
	s_delay_alu instid0(SALU_CYCLE_1)
	s_or_b32 s34, s34, s36
	s_branch .LBB228_16
.LBB228_19:                             ;   in Loop: Header=BB228_14 Depth=2
	s_or_b32 exec_lo, exec_lo, s30
	s_xor_b32 s30, s31, -1
	s_delay_alu instid0(SALU_CYCLE_1) | instskip(NEXT) | instid1(SALU_CYCLE_1)
	s_and_saveexec_b32 s31, s30
	s_xor_b32 s30, exec_lo, s31
	s_cbranch_execz .LBB228_21
; %bb.20:                               ;   in Loop: Header=BB228_14 Depth=2
	global_store_b32 v[14:15], v21, off
                                        ; implicit-def: $vgpr14_vgpr15
                                        ; implicit-def: $vgpr16_vgpr17
.LBB228_21:                             ;   in Loop: Header=BB228_14 Depth=2
	s_wait_xcnt 0x0
	s_and_not1_saveexec_b32 s30, s30
	s_cbranch_execz .LBB228_12
; %bb.22:                               ;   in Loop: Header=BB228_14 Depth=2
	v_min_i32_e32 v25, v21, v25
	s_clause 0x1
	global_store_b32 v[14:15], v21, off
	global_store_b32 v[16:17], v3, off
	s_branch .LBB228_12
.LBB228_23:                             ;   in Loop: Header=BB228_10 Depth=1
	ds_bpermute_b32 v3, v1, v25
	s_wait_dscnt 0x0
	v_min_i32_e32 v3, v3, v25
	ds_bpermute_b32 v4, v26, v3
	s_wait_dscnt 0x0
	v_min_i32_e32 v3, v4, v3
	;; [unrolled: 3-line block ×5, first 2 shown]
	s_delay_alu instid0(VALU_DEP_1) | instskip(SKIP_1) | instid1(SALU_CYCLE_1)
	v_cmp_gt_i32_e32 vcc_lo, s6, v3
	s_and_b32 s29, s0, vcc_lo
	s_and_saveexec_b32 s4, s29
	s_cbranch_execz .LBB228_27
; %bb.24:                               ;   in Loop: Header=BB228_10 Depth=1
	v_dual_mov_b32 v5, v2 :: v_dual_sub_nc_u32 v4, 0, v3
	s_mov_b32 s29, exec_lo
	s_delay_alu instid0(VALU_DEP_1) | instskip(NEXT) | instid1(VALU_DEP_1)
	v_max_i32_e32 v4, v3, v4
	v_mul_u64_e32 v[14:15], s[22:23], v[4:5]
	s_delay_alu instid0(VALU_DEP_1) | instskip(NEXT) | instid1(VALU_DEP_1)
	v_mul_lo_u32 v5, v15, s26
	v_dual_sub_nc_u32 v4, v4, v5 :: v_dual_add_nc_u32 v5, 1, v15
	s_delay_alu instid0(VALU_DEP_1) | instskip(NEXT) | instid1(VALU_DEP_2)
	v_cmp_le_u32_e32 vcc_lo, s26, v4
	v_cndmask_b32_e32 v5, v15, v5, vcc_lo
	v_subrev_nc_u32_e32 v14, s26, v4
	s_delay_alu instid0(VALU_DEP_1) | instskip(NEXT) | instid1(VALU_DEP_1)
	v_dual_cndmask_b32 v4, v4, v14 :: v_dual_ashrrev_i32 v15, 31, v3
	v_dual_add_nc_u32 v14, 1, v5 :: v_dual_bitop2_b32 v15, s19, v15 bitop3:0x14
	s_delay_alu instid0(VALU_DEP_2) | instskip(NEXT) | instid1(VALU_DEP_2)
	v_cmp_le_u32_e32 vcc_lo, s26, v4
	v_cndmask_b32_e32 v4, v5, v14, vcc_lo
	s_delay_alu instid0(VALU_DEP_1) | instskip(NEXT) | instid1(VALU_DEP_1)
	v_xor_b32_e32 v4, v4, v15
	v_sub_nc_u32_e32 v4, v4, v15
	s_delay_alu instid0(VALU_DEP_1)
	v_cmpx_ge_i32_e64 v4, v32
	s_cbranch_execz .LBB228_26
; %bb.25:                               ;   in Loop: Header=BB228_10 Depth=1
	v_dual_add_nc_u32 v5, 1, v33 :: v_dual_add_nc_u32 v32, 1, v4
	v_dual_add_nc_u32 v14, s7, v33 :: v_dual_add_nc_u32 v4, s24, v4
	s_delay_alu instid0(VALU_DEP_2)
	v_mov_b32_e32 v33, v5
	global_store_b32 v14, v4, s[2:3] scale_offset
.LBB228_26:                             ;   in Loop: Header=BB228_10 Depth=1
	s_wait_xcnt 0x0
	s_or_b32 exec_lo, exec_lo, s29
.LBB228_27:                             ;   in Loop: Header=BB228_10 Depth=1
	s_delay_alu instid0(SALU_CYCLE_1)
	s_or_b32 exec_lo, exec_lo, s4
	ds_bpermute_b32 v3, v30, v3
	ds_bpermute_b32 v33, v30, v33
	s_and_not1_b32 vcc_lo, exec_lo, s25
	s_cbranch_vccnz .LBB228_9
; %bb.28:                               ;   in Loop: Header=BB228_10 Depth=1
	s_wait_dscnt 0x1
	v_dual_mov_b32 v5, v2 :: v_dual_sub_nc_u32 v4, 0, v3
	s_mov_b32 s4, s10
	s_wait_dscnt 0x0
	v_dual_mov_b32 v35, v31 :: v_dual_add_nc_u32 v16, s27, v33
	s_delay_alu instid0(VALU_DEP_2) | instskip(NEXT) | instid1(VALU_DEP_1)
	v_max_i32_e32 v4, v3, v4
	v_mul_u64_e32 v[14:15], s[22:23], v[4:5]
	s_delay_alu instid0(VALU_DEP_1) | instskip(NEXT) | instid1(VALU_DEP_1)
	v_mul_lo_u32 v5, v15, s26
	v_dual_ashrrev_i32 v17, 31, v16 :: v_dual_sub_nc_u32 v4, v4, v5
	s_delay_alu instid0(VALU_DEP_1) | instskip(SKIP_1) | instid1(VALU_DEP_3)
	v_mul_u64_e32 v[18:19], s[20:21], v[16:17]
	v_mov_b32_e32 v16, v0
	v_subrev_nc_u32_e32 v14, s26, v4
	v_cmp_le_u32_e32 vcc_lo, s26, v4
	s_delay_alu instid0(VALU_DEP_2) | instskip(NEXT) | instid1(VALU_DEP_1)
	v_dual_cndmask_b32 v4, v4, v14 :: v_dual_add_nc_u32 v5, 1, v15
	v_dual_cndmask_b32 v5, v15, v5, vcc_lo :: v_dual_ashrrev_i32 v15, 31, v3
	s_delay_alu instid0(VALU_DEP_2) | instskip(NEXT) | instid1(VALU_DEP_2)
	v_cmp_le_u32_e32 vcc_lo, s26, v4
	v_dual_add_nc_u32 v14, 1, v5 :: v_dual_bitop2_b32 v17, s19, v15 bitop3:0x14
	s_delay_alu instid0(VALU_DEP_1) | instskip(SKIP_1) | instid1(VALU_DEP_2)
	v_cndmask_b32_e32 v4, v5, v14, vcc_lo
	v_mov_b64_e32 v[14:15], v[10:11]
	v_xor_b32_e32 v20, v4, v17
	v_mov_b64_e32 v[4:5], v[12:13]
	s_delay_alu instid0(VALU_DEP_2)
	v_sub_nc_u32_e32 v34, v20, v17
	s_wait_kmcnt 0x0
	v_lshl_add_u64 v[18:19], v[18:19], 4, s[12:13]
	s_branch .LBB228_31
.LBB228_29:                             ;   in Loop: Header=BB228_31 Depth=2
	global_load_b128 v[36:39], v[4:5], off
	v_ashrrev_i32_e32 v25, 31, v24
	s_delay_alu instid0(VALU_DEP_1) | instskip(NEXT) | instid1(VALU_DEP_1)
	v_lshl_add_u64 v[20:21], v[24:25], 4, v[18:19]
	v_lshl_add_u64 v[20:21], v[22:23], 4, v[20:21]
	s_wait_loadcnt 0x0
	global_store_b128 v[20:21], v[36:39], off
.LBB228_30:                             ;   in Loop: Header=BB228_31 Depth=2
	s_wait_xcnt 0x0
	s_or_b32 exec_lo, exec_lo, s29
	v_add_nc_u64_e32 v[14:15], 4, v[14:15]
	v_add_nc_u64_e32 v[4:5], 16, v[4:5]
	v_dual_add_nc_u32 v35, s18, v35 :: v_dual_add_nc_u32 v16, 32, v16
	s_add_co_i32 s4, s4, -1
	s_delay_alu instid0(SALU_CYCLE_1)
	s_cmp_eq_u32 s4, 0
	s_cbranch_scc1 .LBB228_9
.LBB228_31:                             ;   Parent Loop BB228_10 Depth=1
                                        ; =>  This Inner Loop Header: Depth=2
	global_load_b32 v17, v[14:15], off
	s_mov_b32 s29, exec_lo
	s_wait_loadcnt 0x0
	v_cmpx_gt_i32_e64 s6, v17
	s_cbranch_execz .LBB228_30
; %bb.32:                               ;   in Loop: Header=BB228_31 Depth=2
	v_dual_mov_b32 v21, v2 :: v_dual_sub_nc_u32 v20, 0, v17
	s_delay_alu instid0(VALU_DEP_1) | instskip(NEXT) | instid1(VALU_DEP_1)
	v_max_i32_e32 v20, v17, v20
	v_mul_u64_e32 v[22:23], s[22:23], v[20:21]
	s_delay_alu instid0(VALU_DEP_1) | instskip(NEXT) | instid1(VALU_DEP_1)
	v_mul_lo_u32 v21, v23, s26
	v_dual_add_nc_u32 v22, 1, v23 :: v_dual_sub_nc_u32 v21, v20, v21
	s_delay_alu instid0(VALU_DEP_1) | instskip(NEXT) | instid1(VALU_DEP_2)
	v_cmp_le_u32_e32 vcc_lo, s26, v21
	v_cndmask_b32_e32 v22, v23, v22, vcc_lo
	v_subrev_nc_u32_e32 v24, s26, v21
	s_delay_alu instid0(VALU_DEP_2) | instskip(NEXT) | instid1(VALU_DEP_1)
	v_dual_ashrrev_i32 v25, 31, v17 :: v_dual_add_nc_u32 v23, 1, v22
	v_dual_cndmask_b32 v21, v21, v24, vcc_lo :: v_dual_bitop2_b32 v24, s19, v25 bitop3:0x14
	s_delay_alu instid0(VALU_DEP_1) | instskip(NEXT) | instid1(VALU_DEP_3)
	v_cmp_le_u32_e32 vcc_lo, s26, v21
	v_cndmask_b32_e32 v21, v22, v23, vcc_lo
	s_delay_alu instid0(VALU_DEP_1) | instskip(NEXT) | instid1(VALU_DEP_1)
	v_xor_b32_e32 v21, v21, v24
	v_sub_nc_u32_e32 v21, v21, v24
	s_delay_alu instid0(VALU_DEP_1)
	v_cmp_eq_u32_e32 vcc_lo, v21, v34
	s_and_b32 exec_lo, exec_lo, vcc_lo
	s_cbranch_execz .LBB228_30
; %bb.33:                               ;   in Loop: Header=BB228_31 Depth=2
	s_and_b32 vcc_lo, exec_lo, s1
	s_cbranch_vccz .LBB228_35
; %bb.34:                               ;   in Loop: Header=BB228_31 Depth=2
	v_mul_lo_u32 v21, v34, s9
	s_delay_alu instid0(VALU_DEP_1) | instskip(NEXT) | instid1(VALU_DEP_1)
	v_sub_nc_u32_e32 v17, v17, v21
	v_mul_lo_u32 v24, v17, s8
	v_mov_b32_e32 v17, v2
	s_delay_alu instid0(VALU_DEP_1)
	v_mov_b64_e32 v[22:23], v[16:17]
	s_cbranch_execnz .LBB228_29
	s_branch .LBB228_36
.LBB228_35:                             ;   in Loop: Header=BB228_31 Depth=2
                                        ; implicit-def: $vgpr22_vgpr23
                                        ; implicit-def: $vgpr24
.LBB228_36:                             ;   in Loop: Header=BB228_31 Depth=2
	v_dual_mov_b32 v21, v2 :: v_dual_mov_b32 v24, v35
	s_delay_alu instid0(VALU_DEP_1) | instskip(NEXT) | instid1(VALU_DEP_1)
	v_mul_u64_e32 v[22:23], s[22:23], v[20:21]
	v_mul_lo_u32 v17, v23, s26
	s_delay_alu instid0(VALU_DEP_1) | instskip(NEXT) | instid1(VALU_DEP_1)
	v_sub_nc_u32_e32 v17, v20, v17
	v_subrev_nc_u32_e32 v20, s26, v17
	v_cmp_le_u32_e32 vcc_lo, s26, v17
	s_delay_alu instid0(VALU_DEP_2) | instskip(NEXT) | instid1(VALU_DEP_1)
	v_cndmask_b32_e32 v17, v17, v20, vcc_lo
	v_subrev_nc_u32_e32 v20, s26, v17
	v_cmp_le_u32_e32 vcc_lo, s26, v17
	s_delay_alu instid0(VALU_DEP_2) | instskip(NEXT) | instid1(VALU_DEP_1)
	v_cndmask_b32_e32 v17, v17, v20, vcc_lo
	v_xor_b32_e32 v17, v17, v25
	s_delay_alu instid0(VALU_DEP_1) | instskip(NEXT) | instid1(VALU_DEP_1)
	v_sub_nc_u32_e32 v22, v17, v25
	v_ashrrev_i32_e32 v23, 31, v22
	s_branch .LBB228_29
.LBB228_37:
	s_endpgm
	.section	.rodata,"a",@progbits
	.p2align	6, 0x0
	.amdhsa_kernel _ZN9rocsparseL23csr2gebsr_65_inf_kernelILi32E21rocsparse_complex_numIdEEEv20rocsparse_direction_iiiiiii21rocsparse_index_base_PKT0_PKiS9_S4_PS5_PiSB_SB_SA_
		.amdhsa_group_segment_fixed_size 0
		.amdhsa_private_segment_fixed_size 0
		.amdhsa_kernarg_size 112
		.amdhsa_user_sgpr_count 2
		.amdhsa_user_sgpr_dispatch_ptr 0
		.amdhsa_user_sgpr_queue_ptr 0
		.amdhsa_user_sgpr_kernarg_segment_ptr 1
		.amdhsa_user_sgpr_dispatch_id 0
		.amdhsa_user_sgpr_kernarg_preload_length 0
		.amdhsa_user_sgpr_kernarg_preload_offset 0
		.amdhsa_user_sgpr_private_segment_size 0
		.amdhsa_wavefront_size32 1
		.amdhsa_uses_dynamic_stack 0
		.amdhsa_enable_private_segment 0
		.amdhsa_system_sgpr_workgroup_id_x 1
		.amdhsa_system_sgpr_workgroup_id_y 0
		.amdhsa_system_sgpr_workgroup_id_z 0
		.amdhsa_system_sgpr_workgroup_info 0
		.amdhsa_system_vgpr_workitem_id 0
		.amdhsa_next_free_vgpr 40
		.amdhsa_next_free_sgpr 37
		.amdhsa_named_barrier_count 0
		.amdhsa_reserve_vcc 1
		.amdhsa_float_round_mode_32 0
		.amdhsa_float_round_mode_16_64 0
		.amdhsa_float_denorm_mode_32 3
		.amdhsa_float_denorm_mode_16_64 3
		.amdhsa_fp16_overflow 0
		.amdhsa_memory_ordered 1
		.amdhsa_forward_progress 1
		.amdhsa_inst_pref_size 17
		.amdhsa_round_robin_scheduling 0
		.amdhsa_exception_fp_ieee_invalid_op 0
		.amdhsa_exception_fp_denorm_src 0
		.amdhsa_exception_fp_ieee_div_zero 0
		.amdhsa_exception_fp_ieee_overflow 0
		.amdhsa_exception_fp_ieee_underflow 0
		.amdhsa_exception_fp_ieee_inexact 0
		.amdhsa_exception_int_div_zero 0
	.end_amdhsa_kernel
	.section	.text._ZN9rocsparseL23csr2gebsr_65_inf_kernelILi32E21rocsparse_complex_numIdEEEv20rocsparse_direction_iiiiiii21rocsparse_index_base_PKT0_PKiS9_S4_PS5_PiSB_SB_SA_,"axG",@progbits,_ZN9rocsparseL23csr2gebsr_65_inf_kernelILi32E21rocsparse_complex_numIdEEEv20rocsparse_direction_iiiiiii21rocsparse_index_base_PKT0_PKiS9_S4_PS5_PiSB_SB_SA_,comdat
.Lfunc_end228:
	.size	_ZN9rocsparseL23csr2gebsr_65_inf_kernelILi32E21rocsparse_complex_numIdEEEv20rocsparse_direction_iiiiiii21rocsparse_index_base_PKT0_PKiS9_S4_PS5_PiSB_SB_SA_, .Lfunc_end228-_ZN9rocsparseL23csr2gebsr_65_inf_kernelILi32E21rocsparse_complex_numIdEEEv20rocsparse_direction_iiiiiii21rocsparse_index_base_PKT0_PKiS9_S4_PS5_PiSB_SB_SA_
                                        ; -- End function
	.set _ZN9rocsparseL23csr2gebsr_65_inf_kernelILi32E21rocsparse_complex_numIdEEEv20rocsparse_direction_iiiiiii21rocsparse_index_base_PKT0_PKiS9_S4_PS5_PiSB_SB_SA_.num_vgpr, 40
	.set _ZN9rocsparseL23csr2gebsr_65_inf_kernelILi32E21rocsparse_complex_numIdEEEv20rocsparse_direction_iiiiiii21rocsparse_index_base_PKT0_PKiS9_S4_PS5_PiSB_SB_SA_.num_agpr, 0
	.set _ZN9rocsparseL23csr2gebsr_65_inf_kernelILi32E21rocsparse_complex_numIdEEEv20rocsparse_direction_iiiiiii21rocsparse_index_base_PKT0_PKiS9_S4_PS5_PiSB_SB_SA_.numbered_sgpr, 37
	.set _ZN9rocsparseL23csr2gebsr_65_inf_kernelILi32E21rocsparse_complex_numIdEEEv20rocsparse_direction_iiiiiii21rocsparse_index_base_PKT0_PKiS9_S4_PS5_PiSB_SB_SA_.num_named_barrier, 0
	.set _ZN9rocsparseL23csr2gebsr_65_inf_kernelILi32E21rocsparse_complex_numIdEEEv20rocsparse_direction_iiiiiii21rocsparse_index_base_PKT0_PKiS9_S4_PS5_PiSB_SB_SA_.private_seg_size, 0
	.set _ZN9rocsparseL23csr2gebsr_65_inf_kernelILi32E21rocsparse_complex_numIdEEEv20rocsparse_direction_iiiiiii21rocsparse_index_base_PKT0_PKiS9_S4_PS5_PiSB_SB_SA_.uses_vcc, 1
	.set _ZN9rocsparseL23csr2gebsr_65_inf_kernelILi32E21rocsparse_complex_numIdEEEv20rocsparse_direction_iiiiiii21rocsparse_index_base_PKT0_PKiS9_S4_PS5_PiSB_SB_SA_.uses_flat_scratch, 0
	.set _ZN9rocsparseL23csr2gebsr_65_inf_kernelILi32E21rocsparse_complex_numIdEEEv20rocsparse_direction_iiiiiii21rocsparse_index_base_PKT0_PKiS9_S4_PS5_PiSB_SB_SA_.has_dyn_sized_stack, 0
	.set _ZN9rocsparseL23csr2gebsr_65_inf_kernelILi32E21rocsparse_complex_numIdEEEv20rocsparse_direction_iiiiiii21rocsparse_index_base_PKT0_PKiS9_S4_PS5_PiSB_SB_SA_.has_recursion, 0
	.set _ZN9rocsparseL23csr2gebsr_65_inf_kernelILi32E21rocsparse_complex_numIdEEEv20rocsparse_direction_iiiiiii21rocsparse_index_base_PKT0_PKiS9_S4_PS5_PiSB_SB_SA_.has_indirect_call, 0
	.section	.AMDGPU.csdata,"",@progbits
; Kernel info:
; codeLenInByte = 2164
; TotalNumSgprs: 39
; NumVgprs: 40
; ScratchSize: 0
; MemoryBound: 0
; FloatMode: 240
; IeeeMode: 1
; LDSByteSize: 0 bytes/workgroup (compile time only)
; SGPRBlocks: 0
; VGPRBlocks: 2
; NumSGPRsForWavesPerEU: 39
; NumVGPRsForWavesPerEU: 40
; NamedBarCnt: 0
; Occupancy: 16
; WaveLimiterHint : 0
; COMPUTE_PGM_RSRC2:SCRATCH_EN: 0
; COMPUTE_PGM_RSRC2:USER_SGPR: 2
; COMPUTE_PGM_RSRC2:TRAP_HANDLER: 0
; COMPUTE_PGM_RSRC2:TGID_X_EN: 1
; COMPUTE_PGM_RSRC2:TGID_Y_EN: 0
; COMPUTE_PGM_RSRC2:TGID_Z_EN: 0
; COMPUTE_PGM_RSRC2:TIDIG_COMP_CNT: 0
	.section	.AMDGPU.gpr_maximums,"",@progbits
	.set amdgpu.max_num_vgpr, 0
	.set amdgpu.max_num_agpr, 0
	.set amdgpu.max_num_sgpr, 0
	.section	.AMDGPU.csdata,"",@progbits
	.type	__hip_cuid_52b9126f31f00581,@object ; @__hip_cuid_52b9126f31f00581
	.section	.bss,"aw",@nobits
	.globl	__hip_cuid_52b9126f31f00581
__hip_cuid_52b9126f31f00581:
	.byte	0                               ; 0x0
	.size	__hip_cuid_52b9126f31f00581, 1

	.ident	"AMD clang version 22.0.0git (https://github.com/RadeonOpenCompute/llvm-project roc-7.2.4 26084 f58b06dce1f9c15707c5f808fd002e18c2accf7e)"
	.section	".note.GNU-stack","",@progbits
	.addrsig
	.addrsig_sym __hip_cuid_52b9126f31f00581
	.amdgpu_metadata
---
amdhsa.kernels:
  - .args:
      - .offset:         0
        .size:           4
        .value_kind:     by_value
      - .offset:         4
        .size:           4
        .value_kind:     by_value
      - .actual_access:  read_only
        .address_space:  global
        .offset:         8
        .size:           8
        .value_kind:     global_buffer
      - .actual_access:  read_only
        .address_space:  global
        .offset:         16
        .size:           8
        .value_kind:     global_buffer
      - .offset:         24
        .size:           4
        .value_kind:     by_value
      - .actual_access:  write_only
        .address_space:  global
        .offset:         32
        .size:           8
        .value_kind:     global_buffer
      - .offset:         40
        .size:           4
        .value_kind:     by_value
    .group_segment_fixed_size: 0
    .kernarg_segment_align: 8
    .kernarg_segment_size: 44
    .language:       OpenCL C
    .language_version:
      - 2
      - 0
    .max_flat_workgroup_size: 256
    .name:           _ZN9rocsparseL24csr2gebsr_nnz_kernel_bm1ILj256EEEvi21rocsparse_index_base_PKiS3_S1_Pii
    .private_segment_fixed_size: 0
    .sgpr_count:     19
    .sgpr_spill_count: 0
    .symbol:         _ZN9rocsparseL24csr2gebsr_nnz_kernel_bm1ILj256EEEvi21rocsparse_index_base_PKiS3_S1_Pii.kd
    .uniform_work_group_size: 1
    .uses_dynamic_stack: false
    .vgpr_count:     21
    .vgpr_spill_count: 0
    .wavefront_size: 32
  - .args:
      - .offset:         0
        .size:           4
        .value_kind:     by_value
      - .actual_access:  read_only
        .address_space:  global
        .offset:         8
        .size:           8
        .value_kind:     global_buffer
      - .actual_access:  write_only
        .address_space:  global
        .offset:         16
        .size:           8
        .value_kind:     global_buffer
    .group_segment_fixed_size: 0
    .kernarg_segment_align: 8
    .kernarg_segment_size: 24
    .language:       OpenCL C
    .language_version:
      - 2
      - 0
    .max_flat_workgroup_size: 1
    .name:           _ZN9rocsparseL38csr2gebsr_nnz_compute_nnz_total_kernelILj1EEEviPKiPi
    .private_segment_fixed_size: 0
    .sgpr_count:     8
    .sgpr_spill_count: 0
    .symbol:         _ZN9rocsparseL38csr2gebsr_nnz_compute_nnz_total_kernelILj1EEEviPKiPi.kd
    .uniform_work_group_size: 1
    .uses_dynamic_stack: false
    .vgpr_count:     2
    .vgpr_spill_count: 0
    .wavefront_size: 32
  - .args:
      - .offset:         0
        .size:           4
        .value_kind:     by_value
      - .offset:         4
        .size:           4
        .value_kind:     by_value
      - .offset:         8
        .size:           4
        .value_kind:     by_value
      - .offset:         12
        .size:           4
        .value_kind:     by_value
      - .offset:         16
        .size:           4
        .value_kind:     by_value
      - .offset:         20
        .size:           4
        .value_kind:     by_value
      - .offset:         24
        .size:           4
        .value_kind:     by_value
      - .actual_access:  read_only
        .address_space:  global
        .offset:         32
        .size:           8
        .value_kind:     global_buffer
      - .actual_access:  read_only
        .address_space:  global
        .offset:         40
        .size:           8
        .value_kind:     global_buffer
      - .offset:         48
        .size:           4
        .value_kind:     by_value
      - .actual_access:  write_only
        .address_space:  global
        .offset:         56
        .size:           8
        .value_kind:     global_buffer
    .group_segment_fixed_size: 320
    .kernarg_segment_align: 8
    .kernarg_segment_size: 64
    .language:       OpenCL C
    .language_version:
      - 2
      - 0
    .max_flat_workgroup_size: 256
    .name:           _ZN9rocsparseL48csr2gebsr_nnz_wavefront_per_row_multipass_kernelILj256ELj2ELi4EEEviiiiii21rocsparse_index_base_PKiS3_S1_Pi
    .private_segment_fixed_size: 0
    .sgpr_count:     19
    .sgpr_spill_count: 0
    .symbol:         _ZN9rocsparseL48csr2gebsr_nnz_wavefront_per_row_multipass_kernelILj256ELj2ELi4EEEviiiiii21rocsparse_index_base_PKiS3_S1_Pi.kd
    .uniform_work_group_size: 1
    .uses_dynamic_stack: false
    .vgpr_count:     21
    .vgpr_spill_count: 0
    .wavefront_size: 32
  - .args:
      - .offset:         0
        .size:           4
        .value_kind:     by_value
      - .offset:         4
        .size:           4
        .value_kind:     by_value
      - .offset:         8
        .size:           4
        .value_kind:     by_value
      - .offset:         12
        .size:           4
        .value_kind:     by_value
      - .offset:         16
        .size:           4
        .value_kind:     by_value
      - .offset:         20
        .size:           4
        .value_kind:     by_value
      - .offset:         24
        .size:           4
        .value_kind:     by_value
      - .actual_access:  read_only
        .address_space:  global
        .offset:         32
        .size:           8
        .value_kind:     global_buffer
      - .actual_access:  read_only
        .address_space:  global
        .offset:         40
        .size:           8
        .value_kind:     global_buffer
      - .offset:         48
        .size:           4
        .value_kind:     by_value
      - .actual_access:  write_only
        .address_space:  global
        .offset:         56
        .size:           8
        .value_kind:     global_buffer
    .group_segment_fixed_size: 160
    .kernarg_segment_align: 8
    .kernarg_segment_size: 64
    .language:       OpenCL C
    .language_version:
      - 2
      - 0
    .max_flat_workgroup_size: 256
    .name:           _ZN9rocsparseL48csr2gebsr_nnz_wavefront_per_row_multipass_kernelILj256ELj2ELi8EEEviiiiii21rocsparse_index_base_PKiS3_S1_Pi
    .private_segment_fixed_size: 0
    .sgpr_count:     19
    .sgpr_spill_count: 0
    .symbol:         _ZN9rocsparseL48csr2gebsr_nnz_wavefront_per_row_multipass_kernelILj256ELj2ELi8EEEviiiiii21rocsparse_index_base_PKiS3_S1_Pi.kd
    .uniform_work_group_size: 1
    .uses_dynamic_stack: false
    .vgpr_count:     22
    .vgpr_spill_count: 0
    .wavefront_size: 32
  - .args:
      - .offset:         0
        .size:           4
        .value_kind:     by_value
      - .offset:         4
        .size:           4
        .value_kind:     by_value
      - .offset:         8
        .size:           4
        .value_kind:     by_value
      - .offset:         12
        .size:           4
        .value_kind:     by_value
      - .offset:         16
        .size:           4
        .value_kind:     by_value
      - .offset:         20
        .size:           4
        .value_kind:     by_value
      - .offset:         24
        .size:           4
        .value_kind:     by_value
      - .actual_access:  read_only
        .address_space:  global
        .offset:         32
        .size:           8
        .value_kind:     global_buffer
      - .actual_access:  read_only
        .address_space:  global
        .offset:         40
        .size:           8
        .value_kind:     global_buffer
      - .offset:         48
        .size:           4
        .value_kind:     by_value
      - .actual_access:  write_only
        .address_space:  global
        .offset:         56
        .size:           8
        .value_kind:     global_buffer
    .group_segment_fixed_size: 80
    .kernarg_segment_align: 8
    .kernarg_segment_size: 64
    .language:       OpenCL C
    .language_version:
      - 2
      - 0
    .max_flat_workgroup_size: 256
    .name:           _ZN9rocsparseL48csr2gebsr_nnz_wavefront_per_row_multipass_kernelILj256ELj2ELi16EEEviiiiii21rocsparse_index_base_PKiS3_S1_Pi
    .private_segment_fixed_size: 0
    .sgpr_count:     19
    .sgpr_spill_count: 0
    .symbol:         _ZN9rocsparseL48csr2gebsr_nnz_wavefront_per_row_multipass_kernelILj256ELj2ELi16EEEviiiiii21rocsparse_index_base_PKiS3_S1_Pi.kd
    .uniform_work_group_size: 1
    .uses_dynamic_stack: false
    .vgpr_count:     23
    .vgpr_spill_count: 0
    .wavefront_size: 32
  - .args:
      - .offset:         0
        .size:           4
        .value_kind:     by_value
      - .offset:         4
        .size:           4
        .value_kind:     by_value
      - .offset:         8
        .size:           4
        .value_kind:     by_value
      - .offset:         12
        .size:           4
        .value_kind:     by_value
      - .offset:         16
        .size:           4
        .value_kind:     by_value
      - .offset:         20
        .size:           4
        .value_kind:     by_value
      - .offset:         24
        .size:           4
        .value_kind:     by_value
      - .actual_access:  read_only
        .address_space:  global
        .offset:         32
        .size:           8
        .value_kind:     global_buffer
      - .actual_access:  read_only
        .address_space:  global
        .offset:         40
        .size:           8
        .value_kind:     global_buffer
      - .offset:         48
        .size:           4
        .value_kind:     by_value
      - .actual_access:  write_only
        .address_space:  global
        .offset:         56
        .size:           8
        .value_kind:     global_buffer
    .group_segment_fixed_size: 40
    .kernarg_segment_align: 8
    .kernarg_segment_size: 64
    .language:       OpenCL C
    .language_version:
      - 2
      - 0
    .max_flat_workgroup_size: 256
    .name:           _ZN9rocsparseL48csr2gebsr_nnz_wavefront_per_row_multipass_kernelILj256ELj2ELi32EEEviiiiii21rocsparse_index_base_PKiS3_S1_Pi
    .private_segment_fixed_size: 0
    .sgpr_count:     19
    .sgpr_spill_count: 0
    .symbol:         _ZN9rocsparseL48csr2gebsr_nnz_wavefront_per_row_multipass_kernelILj256ELj2ELi32EEEviiiiii21rocsparse_index_base_PKiS3_S1_Pi.kd
    .uniform_work_group_size: 1
    .uses_dynamic_stack: false
    .vgpr_count:     24
    .vgpr_spill_count: 0
    .wavefront_size: 32
  - .args:
      - .offset:         0
        .size:           4
        .value_kind:     by_value
      - .offset:         4
        .size:           4
        .value_kind:     by_value
      - .offset:         8
        .size:           4
        .value_kind:     by_value
      - .offset:         12
        .size:           4
        .value_kind:     by_value
      - .offset:         16
        .size:           4
        .value_kind:     by_value
      - .offset:         20
        .size:           4
        .value_kind:     by_value
      - .offset:         24
        .size:           4
        .value_kind:     by_value
      - .actual_access:  read_only
        .address_space:  global
        .offset:         32
        .size:           8
        .value_kind:     global_buffer
      - .actual_access:  read_only
        .address_space:  global
        .offset:         40
        .size:           8
        .value_kind:     global_buffer
      - .offset:         48
        .size:           4
        .value_kind:     by_value
      - .actual_access:  write_only
        .address_space:  global
        .offset:         56
        .size:           8
        .value_kind:     global_buffer
    .group_segment_fixed_size: 20
    .kernarg_segment_align: 8
    .kernarg_segment_size: 64
    .language:       OpenCL C
    .language_version:
      - 2
      - 0
    .max_flat_workgroup_size: 256
    .name:           _ZN9rocsparseL48csr2gebsr_nnz_wavefront_per_row_multipass_kernelILj256ELj2ELi64EEEviiiiii21rocsparse_index_base_PKiS3_S1_Pi
    .private_segment_fixed_size: 0
    .sgpr_count:     19
    .sgpr_spill_count: 0
    .symbol:         _ZN9rocsparseL48csr2gebsr_nnz_wavefront_per_row_multipass_kernelILj256ELj2ELi64EEEviiiiii21rocsparse_index_base_PKiS3_S1_Pi.kd
    .uniform_work_group_size: 1
    .uses_dynamic_stack: false
    .vgpr_count:     25
    .vgpr_spill_count: 0
    .wavefront_size: 32
  - .args:
      - .offset:         0
        .size:           4
        .value_kind:     by_value
      - .offset:         4
        .size:           4
        .value_kind:     by_value
      - .offset:         8
        .size:           4
        .value_kind:     by_value
      - .offset:         12
        .size:           4
        .value_kind:     by_value
      - .offset:         16
        .size:           4
        .value_kind:     by_value
      - .offset:         20
        .size:           4
        .value_kind:     by_value
      - .offset:         24
        .size:           4
        .value_kind:     by_value
      - .actual_access:  read_only
        .address_space:  global
        .offset:         32
        .size:           8
        .value_kind:     global_buffer
      - .actual_access:  read_only
        .address_space:  global
        .offset:         40
        .size:           8
        .value_kind:     global_buffer
      - .offset:         48
        .size:           4
        .value_kind:     by_value
      - .actual_access:  write_only
        .address_space:  global
        .offset:         56
        .size:           8
        .value_kind:     global_buffer
    .group_segment_fixed_size: 160
    .kernarg_segment_align: 8
    .kernarg_segment_size: 64
    .language:       OpenCL C
    .language_version:
      - 2
      - 0
    .max_flat_workgroup_size: 256
    .name:           _ZN9rocsparseL48csr2gebsr_nnz_wavefront_per_row_multipass_kernelILj256ELj4ELi8EEEviiiiii21rocsparse_index_base_PKiS3_S1_Pi
    .private_segment_fixed_size: 0
    .sgpr_count:     19
    .sgpr_spill_count: 0
    .symbol:         _ZN9rocsparseL48csr2gebsr_nnz_wavefront_per_row_multipass_kernelILj256ELj4ELi8EEEviiiiii21rocsparse_index_base_PKiS3_S1_Pi.kd
    .uniform_work_group_size: 1
    .uses_dynamic_stack: false
    .vgpr_count:     22
    .vgpr_spill_count: 0
    .wavefront_size: 32
  - .args:
      - .offset:         0
        .size:           4
        .value_kind:     by_value
      - .offset:         4
        .size:           4
        .value_kind:     by_value
      - .offset:         8
        .size:           4
        .value_kind:     by_value
      - .offset:         12
        .size:           4
        .value_kind:     by_value
      - .offset:         16
        .size:           4
        .value_kind:     by_value
      - .offset:         20
        .size:           4
        .value_kind:     by_value
      - .offset:         24
        .size:           4
        .value_kind:     by_value
      - .actual_access:  read_only
        .address_space:  global
        .offset:         32
        .size:           8
        .value_kind:     global_buffer
      - .actual_access:  read_only
        .address_space:  global
        .offset:         40
        .size:           8
        .value_kind:     global_buffer
      - .offset:         48
        .size:           4
        .value_kind:     by_value
      - .actual_access:  write_only
        .address_space:  global
        .offset:         56
        .size:           8
        .value_kind:     global_buffer
    .group_segment_fixed_size: 80
    .kernarg_segment_align: 8
    .kernarg_segment_size: 64
    .language:       OpenCL C
    .language_version:
      - 2
      - 0
    .max_flat_workgroup_size: 256
    .name:           _ZN9rocsparseL48csr2gebsr_nnz_wavefront_per_row_multipass_kernelILj256ELj4ELi16EEEviiiiii21rocsparse_index_base_PKiS3_S1_Pi
    .private_segment_fixed_size: 0
    .sgpr_count:     19
    .sgpr_spill_count: 0
    .symbol:         _ZN9rocsparseL48csr2gebsr_nnz_wavefront_per_row_multipass_kernelILj256ELj4ELi16EEEviiiiii21rocsparse_index_base_PKiS3_S1_Pi.kd
    .uniform_work_group_size: 1
    .uses_dynamic_stack: false
    .vgpr_count:     23
    .vgpr_spill_count: 0
    .wavefront_size: 32
  - .args:
      - .offset:         0
        .size:           4
        .value_kind:     by_value
      - .offset:         4
        .size:           4
        .value_kind:     by_value
      - .offset:         8
        .size:           4
        .value_kind:     by_value
      - .offset:         12
        .size:           4
        .value_kind:     by_value
      - .offset:         16
        .size:           4
        .value_kind:     by_value
      - .offset:         20
        .size:           4
        .value_kind:     by_value
      - .offset:         24
        .size:           4
        .value_kind:     by_value
      - .actual_access:  read_only
        .address_space:  global
        .offset:         32
        .size:           8
        .value_kind:     global_buffer
      - .actual_access:  read_only
        .address_space:  global
        .offset:         40
        .size:           8
        .value_kind:     global_buffer
      - .offset:         48
        .size:           4
        .value_kind:     by_value
      - .actual_access:  write_only
        .address_space:  global
        .offset:         56
        .size:           8
        .value_kind:     global_buffer
    .group_segment_fixed_size: 40
    .kernarg_segment_align: 8
    .kernarg_segment_size: 64
    .language:       OpenCL C
    .language_version:
      - 2
      - 0
    .max_flat_workgroup_size: 256
    .name:           _ZN9rocsparseL48csr2gebsr_nnz_wavefront_per_row_multipass_kernelILj256ELj4ELi32EEEviiiiii21rocsparse_index_base_PKiS3_S1_Pi
    .private_segment_fixed_size: 0
    .sgpr_count:     19
    .sgpr_spill_count: 0
    .symbol:         _ZN9rocsparseL48csr2gebsr_nnz_wavefront_per_row_multipass_kernelILj256ELj4ELi32EEEviiiiii21rocsparse_index_base_PKiS3_S1_Pi.kd
    .uniform_work_group_size: 1
    .uses_dynamic_stack: false
    .vgpr_count:     24
    .vgpr_spill_count: 0
    .wavefront_size: 32
  - .args:
      - .offset:         0
        .size:           4
        .value_kind:     by_value
      - .offset:         4
        .size:           4
        .value_kind:     by_value
      - .offset:         8
        .size:           4
        .value_kind:     by_value
      - .offset:         12
        .size:           4
        .value_kind:     by_value
      - .offset:         16
        .size:           4
        .value_kind:     by_value
      - .offset:         20
        .size:           4
        .value_kind:     by_value
      - .offset:         24
        .size:           4
        .value_kind:     by_value
      - .actual_access:  read_only
        .address_space:  global
        .offset:         32
        .size:           8
        .value_kind:     global_buffer
      - .actual_access:  read_only
        .address_space:  global
        .offset:         40
        .size:           8
        .value_kind:     global_buffer
      - .offset:         48
        .size:           4
        .value_kind:     by_value
      - .actual_access:  write_only
        .address_space:  global
        .offset:         56
        .size:           8
        .value_kind:     global_buffer
    .group_segment_fixed_size: 20
    .kernarg_segment_align: 8
    .kernarg_segment_size: 64
    .language:       OpenCL C
    .language_version:
      - 2
      - 0
    .max_flat_workgroup_size: 256
    .name:           _ZN9rocsparseL48csr2gebsr_nnz_wavefront_per_row_multipass_kernelILj256ELj4ELi64EEEviiiiii21rocsparse_index_base_PKiS3_S1_Pi
    .private_segment_fixed_size: 0
    .sgpr_count:     19
    .sgpr_spill_count: 0
    .symbol:         _ZN9rocsparseL48csr2gebsr_nnz_wavefront_per_row_multipass_kernelILj256ELj4ELi64EEEviiiiii21rocsparse_index_base_PKiS3_S1_Pi.kd
    .uniform_work_group_size: 1
    .uses_dynamic_stack: false
    .vgpr_count:     25
    .vgpr_spill_count: 0
    .wavefront_size: 32
  - .args:
      - .offset:         0
        .size:           4
        .value_kind:     by_value
      - .offset:         4
        .size:           4
        .value_kind:     by_value
      - .offset:         8
        .size:           4
        .value_kind:     by_value
      - .offset:         12
        .size:           4
        .value_kind:     by_value
      - .offset:         16
        .size:           4
        .value_kind:     by_value
      - .offset:         20
        .size:           4
        .value_kind:     by_value
      - .offset:         24
        .size:           4
        .value_kind:     by_value
      - .actual_access:  read_only
        .address_space:  global
        .offset:         32
        .size:           8
        .value_kind:     global_buffer
      - .actual_access:  read_only
        .address_space:  global
        .offset:         40
        .size:           8
        .value_kind:     global_buffer
      - .offset:         48
        .size:           4
        .value_kind:     by_value
      - .actual_access:  write_only
        .address_space:  global
        .offset:         56
        .size:           8
        .value_kind:     global_buffer
    .group_segment_fixed_size: 80
    .kernarg_segment_align: 8
    .kernarg_segment_size: 64
    .language:       OpenCL C
    .language_version:
      - 2
      - 0
    .max_flat_workgroup_size: 256
    .name:           _ZN9rocsparseL48csr2gebsr_nnz_wavefront_per_row_multipass_kernelILj256ELj8ELi16EEEviiiiii21rocsparse_index_base_PKiS3_S1_Pi
    .private_segment_fixed_size: 0
    .sgpr_count:     19
    .sgpr_spill_count: 0
    .symbol:         _ZN9rocsparseL48csr2gebsr_nnz_wavefront_per_row_multipass_kernelILj256ELj8ELi16EEEviiiiii21rocsparse_index_base_PKiS3_S1_Pi.kd
    .uniform_work_group_size: 1
    .uses_dynamic_stack: false
    .vgpr_count:     23
    .vgpr_spill_count: 0
    .wavefront_size: 32
  - .args:
      - .offset:         0
        .size:           4
        .value_kind:     by_value
      - .offset:         4
        .size:           4
        .value_kind:     by_value
      - .offset:         8
        .size:           4
        .value_kind:     by_value
      - .offset:         12
        .size:           4
        .value_kind:     by_value
      - .offset:         16
        .size:           4
        .value_kind:     by_value
      - .offset:         20
        .size:           4
        .value_kind:     by_value
      - .offset:         24
        .size:           4
        .value_kind:     by_value
      - .actual_access:  read_only
        .address_space:  global
        .offset:         32
        .size:           8
        .value_kind:     global_buffer
      - .actual_access:  read_only
        .address_space:  global
        .offset:         40
        .size:           8
        .value_kind:     global_buffer
      - .offset:         48
        .size:           4
        .value_kind:     by_value
      - .actual_access:  write_only
        .address_space:  global
        .offset:         56
        .size:           8
        .value_kind:     global_buffer
    .group_segment_fixed_size: 40
    .kernarg_segment_align: 8
    .kernarg_segment_size: 64
    .language:       OpenCL C
    .language_version:
      - 2
      - 0
    .max_flat_workgroup_size: 256
    .name:           _ZN9rocsparseL48csr2gebsr_nnz_wavefront_per_row_multipass_kernelILj256ELj8ELi32EEEviiiiii21rocsparse_index_base_PKiS3_S1_Pi
    .private_segment_fixed_size: 0
    .sgpr_count:     19
    .sgpr_spill_count: 0
    .symbol:         _ZN9rocsparseL48csr2gebsr_nnz_wavefront_per_row_multipass_kernelILj256ELj8ELi32EEEviiiiii21rocsparse_index_base_PKiS3_S1_Pi.kd
    .uniform_work_group_size: 1
    .uses_dynamic_stack: false
    .vgpr_count:     24
    .vgpr_spill_count: 0
    .wavefront_size: 32
  - .args:
      - .offset:         0
        .size:           4
        .value_kind:     by_value
      - .offset:         4
        .size:           4
        .value_kind:     by_value
      - .offset:         8
        .size:           4
        .value_kind:     by_value
      - .offset:         12
        .size:           4
        .value_kind:     by_value
      - .offset:         16
        .size:           4
        .value_kind:     by_value
      - .offset:         20
        .size:           4
        .value_kind:     by_value
      - .offset:         24
        .size:           4
        .value_kind:     by_value
      - .actual_access:  read_only
        .address_space:  global
        .offset:         32
        .size:           8
        .value_kind:     global_buffer
      - .actual_access:  read_only
        .address_space:  global
        .offset:         40
        .size:           8
        .value_kind:     global_buffer
      - .offset:         48
        .size:           4
        .value_kind:     by_value
      - .actual_access:  write_only
        .address_space:  global
        .offset:         56
        .size:           8
        .value_kind:     global_buffer
    .group_segment_fixed_size: 20
    .kernarg_segment_align: 8
    .kernarg_segment_size: 64
    .language:       OpenCL C
    .language_version:
      - 2
      - 0
    .max_flat_workgroup_size: 256
    .name:           _ZN9rocsparseL48csr2gebsr_nnz_wavefront_per_row_multipass_kernelILj256ELj8ELi64EEEviiiiii21rocsparse_index_base_PKiS3_S1_Pi
    .private_segment_fixed_size: 0
    .sgpr_count:     19
    .sgpr_spill_count: 0
    .symbol:         _ZN9rocsparseL48csr2gebsr_nnz_wavefront_per_row_multipass_kernelILj256ELj8ELi64EEEviiiiii21rocsparse_index_base_PKiS3_S1_Pi.kd
    .uniform_work_group_size: 1
    .uses_dynamic_stack: false
    .vgpr_count:     25
    .vgpr_spill_count: 0
    .wavefront_size: 32
  - .args:
      - .offset:         0
        .size:           4
        .value_kind:     by_value
      - .offset:         4
        .size:           4
        .value_kind:     by_value
      - .offset:         8
        .size:           4
        .value_kind:     by_value
      - .offset:         12
        .size:           4
        .value_kind:     by_value
      - .offset:         16
        .size:           4
        .value_kind:     by_value
      - .offset:         20
        .size:           4
        .value_kind:     by_value
      - .offset:         24
        .size:           4
        .value_kind:     by_value
      - .actual_access:  read_only
        .address_space:  global
        .offset:         32
        .size:           8
        .value_kind:     global_buffer
      - .actual_access:  read_only
        .address_space:  global
        .offset:         40
        .size:           8
        .value_kind:     global_buffer
      - .offset:         48
        .size:           4
        .value_kind:     by_value
      - .actual_access:  write_only
        .address_space:  global
        .offset:         56
        .size:           8
        .value_kind:     global_buffer
    .group_segment_fixed_size: 1032
    .kernarg_segment_align: 8
    .kernarg_segment_size: 64
    .language:       OpenCL C
    .language_version:
      - 2
      - 0
    .max_flat_workgroup_size: 256
    .name:           _ZN9rocsparseL44csr2gebsr_nnz_block_per_row_multipass_kernelILj256ELj16EEEviiiiii21rocsparse_index_base_PKiS3_S1_Pi
    .private_segment_fixed_size: 0
    .sgpr_count:     25
    .sgpr_spill_count: 0
    .symbol:         _ZN9rocsparseL44csr2gebsr_nnz_block_per_row_multipass_kernelILj256ELj16EEEviiiiii21rocsparse_index_base_PKiS3_S1_Pi.kd
    .uniform_work_group_size: 1
    .uses_dynamic_stack: false
    .vgpr_count:     20
    .vgpr_spill_count: 0
    .wavefront_size: 32
  - .args:
      - .offset:         0
        .size:           4
        .value_kind:     by_value
      - .offset:         4
        .size:           4
        .value_kind:     by_value
      - .offset:         8
        .size:           4
        .value_kind:     by_value
      - .offset:         12
        .size:           4
        .value_kind:     by_value
      - .offset:         16
        .size:           4
        .value_kind:     by_value
      - .offset:         20
        .size:           4
        .value_kind:     by_value
      - .offset:         24
        .size:           4
        .value_kind:     by_value
      - .actual_access:  read_only
        .address_space:  global
        .offset:         32
        .size:           8
        .value_kind:     global_buffer
      - .actual_access:  read_only
        .address_space:  global
        .offset:         40
        .size:           8
        .value_kind:     global_buffer
      - .offset:         48
        .size:           4
        .value_kind:     by_value
      - .actual_access:  write_only
        .address_space:  global
        .offset:         56
        .size:           8
        .value_kind:     global_buffer
    .group_segment_fixed_size: 1032
    .kernarg_segment_align: 8
    .kernarg_segment_size: 64
    .language:       OpenCL C
    .language_version:
      - 2
      - 0
    .max_flat_workgroup_size: 256
    .name:           _ZN9rocsparseL44csr2gebsr_nnz_block_per_row_multipass_kernelILj256ELj32EEEviiiiii21rocsparse_index_base_PKiS3_S1_Pi
    .private_segment_fixed_size: 0
    .sgpr_count:     25
    .sgpr_spill_count: 0
    .symbol:         _ZN9rocsparseL44csr2gebsr_nnz_block_per_row_multipass_kernelILj256ELj32EEEviiiiii21rocsparse_index_base_PKiS3_S1_Pi.kd
    .uniform_work_group_size: 1
    .uses_dynamic_stack: false
    .vgpr_count:     19
    .vgpr_spill_count: 0
    .wavefront_size: 32
  - .args:
      - .offset:         0
        .size:           4
        .value_kind:     by_value
      - .offset:         4
        .size:           4
        .value_kind:     by_value
      - .offset:         8
        .size:           4
        .value_kind:     by_value
      - .offset:         12
        .size:           4
        .value_kind:     by_value
      - .offset:         16
        .size:           4
        .value_kind:     by_value
      - .offset:         20
        .size:           4
        .value_kind:     by_value
      - .offset:         24
        .size:           4
        .value_kind:     by_value
      - .actual_access:  read_only
        .address_space:  global
        .offset:         32
        .size:           8
        .value_kind:     global_buffer
      - .actual_access:  read_only
        .address_space:  global
        .offset:         40
        .size:           8
        .value_kind:     global_buffer
      - .offset:         48
        .size:           4
        .value_kind:     by_value
      - .actual_access:  write_only
        .address_space:  global
        .offset:         56
        .size:           8
        .value_kind:     global_buffer
    .group_segment_fixed_size: 1032
    .kernarg_segment_align: 8
    .kernarg_segment_size: 64
    .language:       OpenCL C
    .language_version:
      - 2
      - 0
    .max_flat_workgroup_size: 256
    .name:           _ZN9rocsparseL44csr2gebsr_nnz_block_per_row_multipass_kernelILj256ELj64EEEviiiiii21rocsparse_index_base_PKiS3_S1_Pi
    .private_segment_fixed_size: 0
    .sgpr_count:     25
    .sgpr_spill_count: 0
    .symbol:         _ZN9rocsparseL44csr2gebsr_nnz_block_per_row_multipass_kernelILj256ELj64EEEviiiiii21rocsparse_index_base_PKiS3_S1_Pi.kd
    .uniform_work_group_size: 1
    .uses_dynamic_stack: false
    .vgpr_count:     18
    .vgpr_spill_count: 0
    .wavefront_size: 32
  - .args:
      - .offset:         0
        .size:           4
        .value_kind:     by_value
      - .offset:         4
        .size:           4
        .value_kind:     by_value
      - .offset:         8
        .size:           4
        .value_kind:     by_value
      - .offset:         12
        .size:           4
        .value_kind:     by_value
      - .offset:         16
        .size:           4
        .value_kind:     by_value
      - .offset:         20
        .size:           4
        .value_kind:     by_value
      - .offset:         24
        .size:           4
        .value_kind:     by_value
      - .offset:         28
        .size:           4
        .value_kind:     by_value
      - .actual_access:  read_only
        .address_space:  global
        .offset:         32
        .size:           8
        .value_kind:     global_buffer
      - .actual_access:  read_only
        .address_space:  global
        .offset:         40
        .size:           8
        .value_kind:     global_buffer
      - .offset:         48
        .size:           4
        .value_kind:     by_value
      - .actual_access:  write_only
        .address_space:  global
        .offset:         56
        .size:           8
        .value_kind:     global_buffer
      - .address_space:  global
        .offset:         64
        .size:           8
        .value_kind:     global_buffer
    .group_segment_fixed_size: 0
    .kernarg_segment_align: 8
    .kernarg_segment_size: 72
    .language:       OpenCL C
    .language_version:
      - 2
      - 0
    .max_flat_workgroup_size: 32
    .name:           _ZN9rocsparseL27csr2gebsr_nnz_65_inf_kernelILi32EEEviiiiiii21rocsparse_index_base_PKiS3_S1_PiS4_
    .private_segment_fixed_size: 0
    .sgpr_count:     29
    .sgpr_spill_count: 0
    .symbol:         _ZN9rocsparseL27csr2gebsr_nnz_65_inf_kernelILi32EEEviiiiiii21rocsparse_index_base_PKiS3_S1_PiS4_.kd
    .uniform_work_group_size: 1
    .uses_dynamic_stack: false
    .vgpr_count:     26
    .vgpr_spill_count: 0
    .wavefront_size: 32
  - .args:
      - .offset:         0
        .size:           4
        .value_kind:     by_value
      - .offset:         4
        .size:           4
        .value_kind:     by_value
      - .offset:         8
        .size:           4
        .value_kind:     by_value
      - .offset:         12
        .size:           4
        .value_kind:     by_value
      - .offset:         16
        .size:           4
        .value_kind:     by_value
      - .address_space:  global
        .offset:         24
        .size:           8
        .value_kind:     global_buffer
      - .address_space:  global
        .offset:         32
        .size:           8
        .value_kind:     global_buffer
      - .address_space:  global
        .offset:         40
        .size:           8
        .value_kind:     global_buffer
      - .offset:         48
        .size:           4
        .value_kind:     by_value
      - .offset:         52
        .size:           4
        .value_kind:     by_value
      - .address_space:  global
        .offset:         56
        .size:           8
        .value_kind:     global_buffer
      - .address_space:  global
        .offset:         64
        .size:           8
        .value_kind:     global_buffer
      - .address_space:  global
        .offset:         72
        .size:           8
        .value_kind:     global_buffer
      - .offset:         80
        .size:           4
        .value_kind:     by_value
      - .offset:         84
        .size:           4
        .value_kind:     by_value
    .group_segment_fixed_size: 0
    .kernarg_segment_align: 8
    .kernarg_segment_size: 88
    .language:       OpenCL C
    .language_version:
      - 2
      - 0
    .max_flat_workgroup_size: 256
    .name:           _ZN9rocsparseL20csr2gebsr_kernel_bm1ILi256EfEEviiii21rocsparse_index_base_PKT0_PKiS6_20rocsparse_direction_S1_PS2_S6_Piii
    .private_segment_fixed_size: 0
    .sgpr_count:     22
    .sgpr_spill_count: 0
    .symbol:         _ZN9rocsparseL20csr2gebsr_kernel_bm1ILi256EfEEviiii21rocsparse_index_base_PKT0_PKiS6_20rocsparse_direction_S1_PS2_S6_Piii.kd
    .uniform_work_group_size: 1
    .uses_dynamic_stack: false
    .vgpr_count:     19
    .vgpr_spill_count: 0
    .wavefront_size: 32
  - .args:
      - .offset:         0
        .size:           4
        .value_kind:     by_value
      - .offset:         4
        .size:           4
        .value_kind:     by_value
      - .offset:         8
        .size:           4
        .value_kind:     by_value
      - .offset:         12
        .size:           4
        .value_kind:     by_value
      - .offset:         16
        .size:           4
        .value_kind:     by_value
      - .offset:         20
        .size:           4
        .value_kind:     by_value
      - .offset:         24
        .size:           4
        .value_kind:     by_value
      - .offset:         28
        .size:           4
        .value_kind:     by_value
      - .actual_access:  read_only
        .address_space:  global
        .offset:         32
        .size:           8
        .value_kind:     global_buffer
      - .actual_access:  read_only
        .address_space:  global
        .offset:         40
        .size:           8
        .value_kind:     global_buffer
      - .actual_access:  read_only
        .address_space:  global
        .offset:         48
        .size:           8
        .value_kind:     global_buffer
      - .offset:         56
        .size:           4
        .value_kind:     by_value
      - .actual_access:  write_only
        .address_space:  global
        .offset:         64
        .size:           8
        .value_kind:     global_buffer
      - .actual_access:  read_only
        .address_space:  global
        .offset:         72
        .size:           8
        .value_kind:     global_buffer
      - .actual_access:  write_only
        .address_space:  global
        .offset:         80
        .size:           8
        .value_kind:     global_buffer
    .group_segment_fixed_size: 1088
    .kernarg_segment_align: 8
    .kernarg_segment_size: 88
    .language:       OpenCL C
    .language_version:
      - 2
      - 0
    .max_flat_workgroup_size: 256
    .name:           _ZN9rocsparseL44csr2gebsr_wavefront_per_row_multipass_kernelILi256ELi2ELi2ELi4EfEEv20rocsparse_direction_iiiiii21rocsparse_index_base_PKT3_PKiS7_S2_PS3_PiS9_
    .private_segment_fixed_size: 0
    .sgpr_count:     25
    .sgpr_spill_count: 0
    .symbol:         _ZN9rocsparseL44csr2gebsr_wavefront_per_row_multipass_kernelILi256ELi2ELi2ELi4EfEEv20rocsparse_direction_iiiiii21rocsparse_index_base_PKT3_PKiS7_S2_PS3_PiS9_.kd
    .uniform_work_group_size: 1
    .uses_dynamic_stack: false
    .vgpr_count:     31
    .vgpr_spill_count: 0
    .wavefront_size: 32
  - .args:
      - .offset:         0
        .size:           4
        .value_kind:     by_value
      - .offset:         4
        .size:           4
        .value_kind:     by_value
      - .offset:         8
        .size:           4
        .value_kind:     by_value
      - .offset:         12
        .size:           4
        .value_kind:     by_value
      - .offset:         16
        .size:           4
        .value_kind:     by_value
      - .offset:         20
        .size:           4
        .value_kind:     by_value
      - .offset:         24
        .size:           4
        .value_kind:     by_value
      - .offset:         28
        .size:           4
        .value_kind:     by_value
      - .actual_access:  read_only
        .address_space:  global
        .offset:         32
        .size:           8
        .value_kind:     global_buffer
      - .actual_access:  read_only
        .address_space:  global
        .offset:         40
        .size:           8
        .value_kind:     global_buffer
      - .actual_access:  read_only
        .address_space:  global
        .offset:         48
        .size:           8
        .value_kind:     global_buffer
      - .offset:         56
        .size:           4
        .value_kind:     by_value
      - .actual_access:  write_only
        .address_space:  global
        .offset:         64
        .size:           8
        .value_kind:     global_buffer
      - .actual_access:  read_only
        .address_space:  global
        .offset:         72
        .size:           8
        .value_kind:     global_buffer
      - .actual_access:  write_only
        .address_space:  global
        .offset:         80
        .size:           8
        .value_kind:     global_buffer
    .group_segment_fixed_size: 1056
    .kernarg_segment_align: 8
    .kernarg_segment_size: 88
    .language:       OpenCL C
    .language_version:
      - 2
      - 0
    .max_flat_workgroup_size: 256
    .name:           _ZN9rocsparseL44csr2gebsr_wavefront_per_row_multipass_kernelILi256ELi2ELi4ELi8EfEEv20rocsparse_direction_iiiiii21rocsparse_index_base_PKT3_PKiS7_S2_PS3_PiS9_
    .private_segment_fixed_size: 0
    .sgpr_count:     25
    .sgpr_spill_count: 0
    .symbol:         _ZN9rocsparseL44csr2gebsr_wavefront_per_row_multipass_kernelILi256ELi2ELi4ELi8EfEEv20rocsparse_direction_iiiiii21rocsparse_index_base_PKT3_PKiS7_S2_PS3_PiS9_.kd
    .uniform_work_group_size: 1
    .uses_dynamic_stack: false
    .vgpr_count:     32
    .vgpr_spill_count: 0
    .wavefront_size: 32
  - .args:
      - .offset:         0
        .size:           4
        .value_kind:     by_value
      - .offset:         4
        .size:           4
        .value_kind:     by_value
      - .offset:         8
        .size:           4
        .value_kind:     by_value
      - .offset:         12
        .size:           4
        .value_kind:     by_value
      - .offset:         16
        .size:           4
        .value_kind:     by_value
      - .offset:         20
        .size:           4
        .value_kind:     by_value
      - .offset:         24
        .size:           4
        .value_kind:     by_value
      - .offset:         28
        .size:           4
        .value_kind:     by_value
      - .actual_access:  read_only
        .address_space:  global
        .offset:         32
        .size:           8
        .value_kind:     global_buffer
      - .actual_access:  read_only
        .address_space:  global
        .offset:         40
        .size:           8
        .value_kind:     global_buffer
      - .actual_access:  read_only
        .address_space:  global
        .offset:         48
        .size:           8
        .value_kind:     global_buffer
      - .offset:         56
        .size:           4
        .value_kind:     by_value
      - .actual_access:  write_only
        .address_space:  global
        .offset:         64
        .size:           8
        .value_kind:     global_buffer
      - .actual_access:  read_only
        .address_space:  global
        .offset:         72
        .size:           8
        .value_kind:     global_buffer
      - .actual_access:  write_only
        .address_space:  global
        .offset:         80
        .size:           8
        .value_kind:     global_buffer
    .group_segment_fixed_size: 1040
    .kernarg_segment_align: 8
    .kernarg_segment_size: 88
    .language:       OpenCL C
    .language_version:
      - 2
      - 0
    .max_flat_workgroup_size: 256
    .name:           _ZN9rocsparseL44csr2gebsr_wavefront_per_row_multipass_kernelILi256ELi2ELi8ELi16EfEEv20rocsparse_direction_iiiiii21rocsparse_index_base_PKT3_PKiS7_S2_PS3_PiS9_
    .private_segment_fixed_size: 0
    .sgpr_count:     25
    .sgpr_spill_count: 0
    .symbol:         _ZN9rocsparseL44csr2gebsr_wavefront_per_row_multipass_kernelILi256ELi2ELi8ELi16EfEEv20rocsparse_direction_iiiiii21rocsparse_index_base_PKT3_PKiS7_S2_PS3_PiS9_.kd
    .uniform_work_group_size: 1
    .uses_dynamic_stack: false
    .vgpr_count:     33
    .vgpr_spill_count: 0
    .wavefront_size: 32
  - .args:
      - .offset:         0
        .size:           4
        .value_kind:     by_value
      - .offset:         4
        .size:           4
        .value_kind:     by_value
      - .offset:         8
        .size:           4
        .value_kind:     by_value
      - .offset:         12
        .size:           4
        .value_kind:     by_value
      - .offset:         16
        .size:           4
        .value_kind:     by_value
      - .offset:         20
        .size:           4
        .value_kind:     by_value
      - .offset:         24
        .size:           4
        .value_kind:     by_value
      - .offset:         28
        .size:           4
        .value_kind:     by_value
      - .actual_access:  read_only
        .address_space:  global
        .offset:         32
        .size:           8
        .value_kind:     global_buffer
      - .actual_access:  read_only
        .address_space:  global
        .offset:         40
        .size:           8
        .value_kind:     global_buffer
      - .actual_access:  read_only
        .address_space:  global
        .offset:         48
        .size:           8
        .value_kind:     global_buffer
      - .offset:         56
        .size:           4
        .value_kind:     by_value
      - .actual_access:  write_only
        .address_space:  global
        .offset:         64
        .size:           8
        .value_kind:     global_buffer
      - .actual_access:  read_only
        .address_space:  global
        .offset:         72
        .size:           8
        .value_kind:     global_buffer
      - .actual_access:  write_only
        .address_space:  global
        .offset:         80
        .size:           8
        .value_kind:     global_buffer
    .group_segment_fixed_size: 1032
    .kernarg_segment_align: 8
    .kernarg_segment_size: 88
    .language:       OpenCL C
    .language_version:
      - 2
      - 0
    .max_flat_workgroup_size: 256
    .name:           _ZN9rocsparseL44csr2gebsr_wavefront_per_row_multipass_kernelILi256ELi2ELi16ELi32EfEEv20rocsparse_direction_iiiiii21rocsparse_index_base_PKT3_PKiS7_S2_PS3_PiS9_
    .private_segment_fixed_size: 0
    .sgpr_count:     25
    .sgpr_spill_count: 0
    .symbol:         _ZN9rocsparseL44csr2gebsr_wavefront_per_row_multipass_kernelILi256ELi2ELi16ELi32EfEEv20rocsparse_direction_iiiiii21rocsparse_index_base_PKT3_PKiS7_S2_PS3_PiS9_.kd
    .uniform_work_group_size: 1
    .uses_dynamic_stack: false
    .vgpr_count:     34
    .vgpr_spill_count: 0
    .wavefront_size: 32
  - .args:
      - .offset:         0
        .size:           4
        .value_kind:     by_value
      - .offset:         4
        .size:           4
        .value_kind:     by_value
      - .offset:         8
        .size:           4
        .value_kind:     by_value
      - .offset:         12
        .size:           4
        .value_kind:     by_value
      - .offset:         16
        .size:           4
        .value_kind:     by_value
      - .offset:         20
        .size:           4
        .value_kind:     by_value
      - .offset:         24
        .size:           4
        .value_kind:     by_value
      - .offset:         28
        .size:           4
        .value_kind:     by_value
      - .actual_access:  read_only
        .address_space:  global
        .offset:         32
        .size:           8
        .value_kind:     global_buffer
      - .actual_access:  read_only
        .address_space:  global
        .offset:         40
        .size:           8
        .value_kind:     global_buffer
      - .actual_access:  read_only
        .address_space:  global
        .offset:         48
        .size:           8
        .value_kind:     global_buffer
      - .offset:         56
        .size:           4
        .value_kind:     by_value
      - .actual_access:  write_only
        .address_space:  global
        .offset:         64
        .size:           8
        .value_kind:     global_buffer
      - .actual_access:  read_only
        .address_space:  global
        .offset:         72
        .size:           8
        .value_kind:     global_buffer
      - .actual_access:  write_only
        .address_space:  global
        .offset:         80
        .size:           8
        .value_kind:     global_buffer
    .group_segment_fixed_size: 1028
    .kernarg_segment_align: 8
    .kernarg_segment_size: 88
    .language:       OpenCL C
    .language_version:
      - 2
      - 0
    .max_flat_workgroup_size: 256
    .name:           _ZN9rocsparseL44csr2gebsr_wavefront_per_row_multipass_kernelILi256ELi2ELi32ELi64EfEEv20rocsparse_direction_iiiiii21rocsparse_index_base_PKT3_PKiS7_S2_PS3_PiS9_
    .private_segment_fixed_size: 0
    .sgpr_count:     25
    .sgpr_spill_count: 0
    .symbol:         _ZN9rocsparseL44csr2gebsr_wavefront_per_row_multipass_kernelILi256ELi2ELi32ELi64EfEEv20rocsparse_direction_iiiiii21rocsparse_index_base_PKT3_PKiS7_S2_PS3_PiS9_.kd
    .uniform_work_group_size: 1
    .uses_dynamic_stack: false
    .vgpr_count:     35
    .vgpr_spill_count: 0
    .wavefront_size: 32
  - .args:
      - .offset:         0
        .size:           4
        .value_kind:     by_value
      - .offset:         4
        .size:           4
        .value_kind:     by_value
      - .offset:         8
        .size:           4
        .value_kind:     by_value
      - .offset:         12
        .size:           4
        .value_kind:     by_value
      - .offset:         16
        .size:           4
        .value_kind:     by_value
      - .offset:         20
        .size:           4
        .value_kind:     by_value
      - .offset:         24
        .size:           4
        .value_kind:     by_value
      - .offset:         28
        .size:           4
        .value_kind:     by_value
      - .actual_access:  read_only
        .address_space:  global
        .offset:         32
        .size:           8
        .value_kind:     global_buffer
      - .actual_access:  read_only
        .address_space:  global
        .offset:         40
        .size:           8
        .value_kind:     global_buffer
      - .actual_access:  read_only
        .address_space:  global
        .offset:         48
        .size:           8
        .value_kind:     global_buffer
      - .offset:         56
        .size:           4
        .value_kind:     by_value
      - .actual_access:  write_only
        .address_space:  global
        .offset:         64
        .size:           8
        .value_kind:     global_buffer
      - .actual_access:  read_only
        .address_space:  global
        .offset:         72
        .size:           8
        .value_kind:     global_buffer
      - .actual_access:  write_only
        .address_space:  global
        .offset:         80
        .size:           8
        .value_kind:     global_buffer
    .group_segment_fixed_size: 2056
    .kernarg_segment_align: 8
    .kernarg_segment_size: 88
    .language:       OpenCL C
    .language_version:
      - 2
      - 0
    .max_flat_workgroup_size: 256
    .name:           _ZN9rocsparseL44csr2gebsr_wavefront_per_row_multipass_kernelILi256ELi2ELi32ELi32EfEEv20rocsparse_direction_iiiiii21rocsparse_index_base_PKT3_PKiS7_S2_PS3_PiS9_
    .private_segment_fixed_size: 0
    .sgpr_count:     26
    .sgpr_spill_count: 0
    .symbol:         _ZN9rocsparseL44csr2gebsr_wavefront_per_row_multipass_kernelILi256ELi2ELi32ELi32EfEEv20rocsparse_direction_iiiiii21rocsparse_index_base_PKT3_PKiS7_S2_PS3_PiS9_.kd
    .uniform_work_group_size: 1
    .uses_dynamic_stack: false
    .vgpr_count:     38
    .vgpr_spill_count: 0
    .wavefront_size: 32
  - .args:
      - .offset:         0
        .size:           4
        .value_kind:     by_value
      - .offset:         4
        .size:           4
        .value_kind:     by_value
      - .offset:         8
        .size:           4
        .value_kind:     by_value
      - .offset:         12
        .size:           4
        .value_kind:     by_value
      - .offset:         16
        .size:           4
        .value_kind:     by_value
      - .offset:         20
        .size:           4
        .value_kind:     by_value
      - .offset:         24
        .size:           4
        .value_kind:     by_value
      - .offset:         28
        .size:           4
        .value_kind:     by_value
      - .actual_access:  read_only
        .address_space:  global
        .offset:         32
        .size:           8
        .value_kind:     global_buffer
      - .actual_access:  read_only
        .address_space:  global
        .offset:         40
        .size:           8
        .value_kind:     global_buffer
      - .actual_access:  read_only
        .address_space:  global
        .offset:         48
        .size:           8
        .value_kind:     global_buffer
      - .offset:         56
        .size:           4
        .value_kind:     by_value
      - .actual_access:  write_only
        .address_space:  global
        .offset:         64
        .size:           8
        .value_kind:     global_buffer
      - .actual_access:  read_only
        .address_space:  global
        .offset:         72
        .size:           8
        .value_kind:     global_buffer
      - .actual_access:  write_only
        .address_space:  global
        .offset:         80
        .size:           8
        .value_kind:     global_buffer
    .group_segment_fixed_size: 2052
    .kernarg_segment_align: 8
    .kernarg_segment_size: 88
    .language:       OpenCL C
    .language_version:
      - 2
      - 0
    .max_flat_workgroup_size: 256
    .name:           _ZN9rocsparseL44csr2gebsr_wavefront_per_row_multipass_kernelILi256ELi2ELi64ELi64EfEEv20rocsparse_direction_iiiiii21rocsparse_index_base_PKT3_PKiS7_S2_PS3_PiS9_
    .private_segment_fixed_size: 0
    .sgpr_count:     26
    .sgpr_spill_count: 0
    .symbol:         _ZN9rocsparseL44csr2gebsr_wavefront_per_row_multipass_kernelILi256ELi2ELi64ELi64EfEEv20rocsparse_direction_iiiiii21rocsparse_index_base_PKT3_PKiS7_S2_PS3_PiS9_.kd
    .uniform_work_group_size: 1
    .uses_dynamic_stack: false
    .vgpr_count:     39
    .vgpr_spill_count: 0
    .wavefront_size: 32
  - .args:
      - .offset:         0
        .size:           4
        .value_kind:     by_value
      - .offset:         4
        .size:           4
        .value_kind:     by_value
      - .offset:         8
        .size:           4
        .value_kind:     by_value
      - .offset:         12
        .size:           4
        .value_kind:     by_value
      - .offset:         16
        .size:           4
        .value_kind:     by_value
      - .offset:         20
        .size:           4
        .value_kind:     by_value
      - .offset:         24
        .size:           4
        .value_kind:     by_value
      - .offset:         28
        .size:           4
        .value_kind:     by_value
      - .actual_access:  read_only
        .address_space:  global
        .offset:         32
        .size:           8
        .value_kind:     global_buffer
      - .actual_access:  read_only
        .address_space:  global
        .offset:         40
        .size:           8
        .value_kind:     global_buffer
      - .actual_access:  read_only
        .address_space:  global
        .offset:         48
        .size:           8
        .value_kind:     global_buffer
      - .offset:         56
        .size:           4
        .value_kind:     by_value
      - .actual_access:  write_only
        .address_space:  global
        .offset:         64
        .size:           8
        .value_kind:     global_buffer
      - .actual_access:  read_only
        .address_space:  global
        .offset:         72
        .size:           8
        .value_kind:     global_buffer
      - .actual_access:  write_only
        .address_space:  global
        .offset:         80
        .size:           8
        .value_kind:     global_buffer
    .group_segment_fixed_size: 4104
    .kernarg_segment_align: 8
    .kernarg_segment_size: 88
    .language:       OpenCL C
    .language_version:
      - 2
      - 0
    .max_flat_workgroup_size: 256
    .name:           _ZN9rocsparseL44csr2gebsr_wavefront_per_row_multipass_kernelILi256ELi2ELi64ELi32EfEEv20rocsparse_direction_iiiiii21rocsparse_index_base_PKT3_PKiS7_S2_PS3_PiS9_
    .private_segment_fixed_size: 0
    .sgpr_count:     28
    .sgpr_spill_count: 0
    .symbol:         _ZN9rocsparseL44csr2gebsr_wavefront_per_row_multipass_kernelILi256ELi2ELi64ELi32EfEEv20rocsparse_direction_iiiiii21rocsparse_index_base_PKT3_PKiS7_S2_PS3_PiS9_.kd
    .uniform_work_group_size: 1
    .uses_dynamic_stack: false
    .vgpr_count:     42
    .vgpr_spill_count: 0
    .wavefront_size: 32
  - .args:
      - .offset:         0
        .size:           4
        .value_kind:     by_value
      - .offset:         4
        .size:           4
        .value_kind:     by_value
      - .offset:         8
        .size:           4
        .value_kind:     by_value
      - .offset:         12
        .size:           4
        .value_kind:     by_value
      - .offset:         16
        .size:           4
        .value_kind:     by_value
      - .offset:         20
        .size:           4
        .value_kind:     by_value
      - .offset:         24
        .size:           4
        .value_kind:     by_value
      - .offset:         28
        .size:           4
        .value_kind:     by_value
      - .actual_access:  read_only
        .address_space:  global
        .offset:         32
        .size:           8
        .value_kind:     global_buffer
      - .actual_access:  read_only
        .address_space:  global
        .offset:         40
        .size:           8
        .value_kind:     global_buffer
      - .actual_access:  read_only
        .address_space:  global
        .offset:         48
        .size:           8
        .value_kind:     global_buffer
      - .offset:         56
        .size:           4
        .value_kind:     by_value
      - .actual_access:  write_only
        .address_space:  global
        .offset:         64
        .size:           8
        .value_kind:     global_buffer
      - .actual_access:  read_only
        .address_space:  global
        .offset:         72
        .size:           8
        .value_kind:     global_buffer
      - .actual_access:  write_only
        .address_space:  global
        .offset:         80
        .size:           8
        .value_kind:     global_buffer
    .group_segment_fixed_size: 1056
    .kernarg_segment_align: 8
    .kernarg_segment_size: 88
    .language:       OpenCL C
    .language_version:
      - 2
      - 0
    .max_flat_workgroup_size: 256
    .name:           _ZN9rocsparseL44csr2gebsr_wavefront_per_row_multipass_kernelILi256ELi4ELi2ELi8EfEEv20rocsparse_direction_iiiiii21rocsparse_index_base_PKT3_PKiS7_S2_PS3_PiS9_
    .private_segment_fixed_size: 0
    .sgpr_count:     25
    .sgpr_spill_count: 0
    .symbol:         _ZN9rocsparseL44csr2gebsr_wavefront_per_row_multipass_kernelILi256ELi4ELi2ELi8EfEEv20rocsparse_direction_iiiiii21rocsparse_index_base_PKT3_PKiS7_S2_PS3_PiS9_.kd
    .uniform_work_group_size: 1
    .uses_dynamic_stack: false
    .vgpr_count:     32
    .vgpr_spill_count: 0
    .wavefront_size: 32
  - .args:
      - .offset:         0
        .size:           4
        .value_kind:     by_value
      - .offset:         4
        .size:           4
        .value_kind:     by_value
      - .offset:         8
        .size:           4
        .value_kind:     by_value
      - .offset:         12
        .size:           4
        .value_kind:     by_value
      - .offset:         16
        .size:           4
        .value_kind:     by_value
      - .offset:         20
        .size:           4
        .value_kind:     by_value
      - .offset:         24
        .size:           4
        .value_kind:     by_value
      - .offset:         28
        .size:           4
        .value_kind:     by_value
      - .actual_access:  read_only
        .address_space:  global
        .offset:         32
        .size:           8
        .value_kind:     global_buffer
      - .actual_access:  read_only
        .address_space:  global
        .offset:         40
        .size:           8
        .value_kind:     global_buffer
      - .actual_access:  read_only
        .address_space:  global
        .offset:         48
        .size:           8
        .value_kind:     global_buffer
      - .offset:         56
        .size:           4
        .value_kind:     by_value
      - .actual_access:  write_only
        .address_space:  global
        .offset:         64
        .size:           8
        .value_kind:     global_buffer
      - .actual_access:  read_only
        .address_space:  global
        .offset:         72
        .size:           8
        .value_kind:     global_buffer
      - .actual_access:  write_only
        .address_space:  global
        .offset:         80
        .size:           8
        .value_kind:     global_buffer
    .group_segment_fixed_size: 1040
    .kernarg_segment_align: 8
    .kernarg_segment_size: 88
    .language:       OpenCL C
    .language_version:
      - 2
      - 0
    .max_flat_workgroup_size: 256
    .name:           _ZN9rocsparseL44csr2gebsr_wavefront_per_row_multipass_kernelILi256ELi4ELi4ELi16EfEEv20rocsparse_direction_iiiiii21rocsparse_index_base_PKT3_PKiS7_S2_PS3_PiS9_
    .private_segment_fixed_size: 0
    .sgpr_count:     25
    .sgpr_spill_count: 0
    .symbol:         _ZN9rocsparseL44csr2gebsr_wavefront_per_row_multipass_kernelILi256ELi4ELi4ELi16EfEEv20rocsparse_direction_iiiiii21rocsparse_index_base_PKT3_PKiS7_S2_PS3_PiS9_.kd
    .uniform_work_group_size: 1
    .uses_dynamic_stack: false
    .vgpr_count:     33
    .vgpr_spill_count: 0
    .wavefront_size: 32
  - .args:
      - .offset:         0
        .size:           4
        .value_kind:     by_value
      - .offset:         4
        .size:           4
        .value_kind:     by_value
      - .offset:         8
        .size:           4
        .value_kind:     by_value
      - .offset:         12
        .size:           4
        .value_kind:     by_value
      - .offset:         16
        .size:           4
        .value_kind:     by_value
      - .offset:         20
        .size:           4
        .value_kind:     by_value
      - .offset:         24
        .size:           4
        .value_kind:     by_value
      - .offset:         28
        .size:           4
        .value_kind:     by_value
      - .actual_access:  read_only
        .address_space:  global
        .offset:         32
        .size:           8
        .value_kind:     global_buffer
      - .actual_access:  read_only
        .address_space:  global
        .offset:         40
        .size:           8
        .value_kind:     global_buffer
      - .actual_access:  read_only
        .address_space:  global
        .offset:         48
        .size:           8
        .value_kind:     global_buffer
      - .offset:         56
        .size:           4
        .value_kind:     by_value
      - .actual_access:  write_only
        .address_space:  global
        .offset:         64
        .size:           8
        .value_kind:     global_buffer
      - .actual_access:  read_only
        .address_space:  global
        .offset:         72
        .size:           8
        .value_kind:     global_buffer
      - .actual_access:  write_only
        .address_space:  global
        .offset:         80
        .size:           8
        .value_kind:     global_buffer
    .group_segment_fixed_size: 1032
    .kernarg_segment_align: 8
    .kernarg_segment_size: 88
    .language:       OpenCL C
    .language_version:
      - 2
      - 0
    .max_flat_workgroup_size: 256
    .name:           _ZN9rocsparseL44csr2gebsr_wavefront_per_row_multipass_kernelILi256ELi4ELi8ELi32EfEEv20rocsparse_direction_iiiiii21rocsparse_index_base_PKT3_PKiS7_S2_PS3_PiS9_
    .private_segment_fixed_size: 0
    .sgpr_count:     25
    .sgpr_spill_count: 0
    .symbol:         _ZN9rocsparseL44csr2gebsr_wavefront_per_row_multipass_kernelILi256ELi4ELi8ELi32EfEEv20rocsparse_direction_iiiiii21rocsparse_index_base_PKT3_PKiS7_S2_PS3_PiS9_.kd
    .uniform_work_group_size: 1
    .uses_dynamic_stack: false
    .vgpr_count:     34
    .vgpr_spill_count: 0
    .wavefront_size: 32
  - .args:
      - .offset:         0
        .size:           4
        .value_kind:     by_value
      - .offset:         4
        .size:           4
        .value_kind:     by_value
      - .offset:         8
        .size:           4
        .value_kind:     by_value
      - .offset:         12
        .size:           4
        .value_kind:     by_value
      - .offset:         16
        .size:           4
        .value_kind:     by_value
      - .offset:         20
        .size:           4
        .value_kind:     by_value
      - .offset:         24
        .size:           4
        .value_kind:     by_value
      - .offset:         28
        .size:           4
        .value_kind:     by_value
      - .actual_access:  read_only
        .address_space:  global
        .offset:         32
        .size:           8
        .value_kind:     global_buffer
      - .actual_access:  read_only
        .address_space:  global
        .offset:         40
        .size:           8
        .value_kind:     global_buffer
      - .actual_access:  read_only
        .address_space:  global
        .offset:         48
        .size:           8
        .value_kind:     global_buffer
      - .offset:         56
        .size:           4
        .value_kind:     by_value
      - .actual_access:  write_only
        .address_space:  global
        .offset:         64
        .size:           8
        .value_kind:     global_buffer
      - .actual_access:  read_only
        .address_space:  global
        .offset:         72
        .size:           8
        .value_kind:     global_buffer
      - .actual_access:  write_only
        .address_space:  global
        .offset:         80
        .size:           8
        .value_kind:     global_buffer
    .group_segment_fixed_size: 1028
    .kernarg_segment_align: 8
    .kernarg_segment_size: 88
    .language:       OpenCL C
    .language_version:
      - 2
      - 0
    .max_flat_workgroup_size: 256
    .name:           _ZN9rocsparseL44csr2gebsr_wavefront_per_row_multipass_kernelILi256ELi4ELi16ELi64EfEEv20rocsparse_direction_iiiiii21rocsparse_index_base_PKT3_PKiS7_S2_PS3_PiS9_
    .private_segment_fixed_size: 0
    .sgpr_count:     25
    .sgpr_spill_count: 0
    .symbol:         _ZN9rocsparseL44csr2gebsr_wavefront_per_row_multipass_kernelILi256ELi4ELi16ELi64EfEEv20rocsparse_direction_iiiiii21rocsparse_index_base_PKT3_PKiS7_S2_PS3_PiS9_.kd
    .uniform_work_group_size: 1
    .uses_dynamic_stack: false
    .vgpr_count:     35
    .vgpr_spill_count: 0
    .wavefront_size: 32
  - .args:
      - .offset:         0
        .size:           4
        .value_kind:     by_value
      - .offset:         4
        .size:           4
        .value_kind:     by_value
      - .offset:         8
        .size:           4
        .value_kind:     by_value
      - .offset:         12
        .size:           4
        .value_kind:     by_value
      - .offset:         16
        .size:           4
        .value_kind:     by_value
      - .offset:         20
        .size:           4
        .value_kind:     by_value
      - .offset:         24
        .size:           4
        .value_kind:     by_value
      - .offset:         28
        .size:           4
        .value_kind:     by_value
      - .actual_access:  read_only
        .address_space:  global
        .offset:         32
        .size:           8
        .value_kind:     global_buffer
      - .actual_access:  read_only
        .address_space:  global
        .offset:         40
        .size:           8
        .value_kind:     global_buffer
      - .actual_access:  read_only
        .address_space:  global
        .offset:         48
        .size:           8
        .value_kind:     global_buffer
      - .offset:         56
        .size:           4
        .value_kind:     by_value
      - .actual_access:  write_only
        .address_space:  global
        .offset:         64
        .size:           8
        .value_kind:     global_buffer
      - .actual_access:  read_only
        .address_space:  global
        .offset:         72
        .size:           8
        .value_kind:     global_buffer
      - .actual_access:  write_only
        .address_space:  global
        .offset:         80
        .size:           8
        .value_kind:     global_buffer
    .group_segment_fixed_size: 2056
    .kernarg_segment_align: 8
    .kernarg_segment_size: 88
    .language:       OpenCL C
    .language_version:
      - 2
      - 0
    .max_flat_workgroup_size: 256
    .name:           _ZN9rocsparseL44csr2gebsr_wavefront_per_row_multipass_kernelILi256ELi4ELi16ELi32EfEEv20rocsparse_direction_iiiiii21rocsparse_index_base_PKT3_PKiS7_S2_PS3_PiS9_
    .private_segment_fixed_size: 0
    .sgpr_count:     26
    .sgpr_spill_count: 0
    .symbol:         _ZN9rocsparseL44csr2gebsr_wavefront_per_row_multipass_kernelILi256ELi4ELi16ELi32EfEEv20rocsparse_direction_iiiiii21rocsparse_index_base_PKT3_PKiS7_S2_PS3_PiS9_.kd
    .uniform_work_group_size: 1
    .uses_dynamic_stack: false
    .vgpr_count:     38
    .vgpr_spill_count: 0
    .wavefront_size: 32
  - .args:
      - .offset:         0
        .size:           4
        .value_kind:     by_value
      - .offset:         4
        .size:           4
        .value_kind:     by_value
      - .offset:         8
        .size:           4
        .value_kind:     by_value
      - .offset:         12
        .size:           4
        .value_kind:     by_value
      - .offset:         16
        .size:           4
        .value_kind:     by_value
      - .offset:         20
        .size:           4
        .value_kind:     by_value
      - .offset:         24
        .size:           4
        .value_kind:     by_value
      - .offset:         28
        .size:           4
        .value_kind:     by_value
      - .actual_access:  read_only
        .address_space:  global
        .offset:         32
        .size:           8
        .value_kind:     global_buffer
      - .actual_access:  read_only
        .address_space:  global
        .offset:         40
        .size:           8
        .value_kind:     global_buffer
      - .actual_access:  read_only
        .address_space:  global
        .offset:         48
        .size:           8
        .value_kind:     global_buffer
      - .offset:         56
        .size:           4
        .value_kind:     by_value
      - .actual_access:  write_only
        .address_space:  global
        .offset:         64
        .size:           8
        .value_kind:     global_buffer
      - .actual_access:  read_only
        .address_space:  global
        .offset:         72
        .size:           8
        .value_kind:     global_buffer
      - .actual_access:  write_only
        .address_space:  global
        .offset:         80
        .size:           8
        .value_kind:     global_buffer
    .group_segment_fixed_size: 2052
    .kernarg_segment_align: 8
    .kernarg_segment_size: 88
    .language:       OpenCL C
    .language_version:
      - 2
      - 0
    .max_flat_workgroup_size: 256
    .name:           _ZN9rocsparseL44csr2gebsr_wavefront_per_row_multipass_kernelILi256ELi4ELi32ELi64EfEEv20rocsparse_direction_iiiiii21rocsparse_index_base_PKT3_PKiS7_S2_PS3_PiS9_
    .private_segment_fixed_size: 0
    .sgpr_count:     26
    .sgpr_spill_count: 0
    .symbol:         _ZN9rocsparseL44csr2gebsr_wavefront_per_row_multipass_kernelILi256ELi4ELi32ELi64EfEEv20rocsparse_direction_iiiiii21rocsparse_index_base_PKT3_PKiS7_S2_PS3_PiS9_.kd
    .uniform_work_group_size: 1
    .uses_dynamic_stack: false
    .vgpr_count:     39
    .vgpr_spill_count: 0
    .wavefront_size: 32
  - .args:
      - .offset:         0
        .size:           4
        .value_kind:     by_value
      - .offset:         4
        .size:           4
        .value_kind:     by_value
      - .offset:         8
        .size:           4
        .value_kind:     by_value
      - .offset:         12
        .size:           4
        .value_kind:     by_value
      - .offset:         16
        .size:           4
        .value_kind:     by_value
      - .offset:         20
        .size:           4
        .value_kind:     by_value
      - .offset:         24
        .size:           4
        .value_kind:     by_value
      - .offset:         28
        .size:           4
        .value_kind:     by_value
      - .actual_access:  read_only
        .address_space:  global
        .offset:         32
        .size:           8
        .value_kind:     global_buffer
      - .actual_access:  read_only
        .address_space:  global
        .offset:         40
        .size:           8
        .value_kind:     global_buffer
      - .actual_access:  read_only
        .address_space:  global
        .offset:         48
        .size:           8
        .value_kind:     global_buffer
      - .offset:         56
        .size:           4
        .value_kind:     by_value
      - .actual_access:  write_only
        .address_space:  global
        .offset:         64
        .size:           8
        .value_kind:     global_buffer
      - .actual_access:  read_only
        .address_space:  global
        .offset:         72
        .size:           8
        .value_kind:     global_buffer
      - .actual_access:  write_only
        .address_space:  global
        .offset:         80
        .size:           8
        .value_kind:     global_buffer
    .group_segment_fixed_size: 4104
    .kernarg_segment_align: 8
    .kernarg_segment_size: 88
    .language:       OpenCL C
    .language_version:
      - 2
      - 0
    .max_flat_workgroup_size: 256
    .name:           _ZN9rocsparseL44csr2gebsr_wavefront_per_row_multipass_kernelILi256ELi4ELi32ELi32EfEEv20rocsparse_direction_iiiiii21rocsparse_index_base_PKT3_PKiS7_S2_PS3_PiS9_
    .private_segment_fixed_size: 0
    .sgpr_count:     28
    .sgpr_spill_count: 0
    .symbol:         _ZN9rocsparseL44csr2gebsr_wavefront_per_row_multipass_kernelILi256ELi4ELi32ELi32EfEEv20rocsparse_direction_iiiiii21rocsparse_index_base_PKT3_PKiS7_S2_PS3_PiS9_.kd
    .uniform_work_group_size: 1
    .uses_dynamic_stack: false
    .vgpr_count:     42
    .vgpr_spill_count: 0
    .wavefront_size: 32
  - .args:
      - .offset:         0
        .size:           4
        .value_kind:     by_value
      - .offset:         4
        .size:           4
        .value_kind:     by_value
      - .offset:         8
        .size:           4
        .value_kind:     by_value
      - .offset:         12
        .size:           4
        .value_kind:     by_value
      - .offset:         16
        .size:           4
        .value_kind:     by_value
      - .offset:         20
        .size:           4
        .value_kind:     by_value
      - .offset:         24
        .size:           4
        .value_kind:     by_value
      - .offset:         28
        .size:           4
        .value_kind:     by_value
      - .actual_access:  read_only
        .address_space:  global
        .offset:         32
        .size:           8
        .value_kind:     global_buffer
      - .actual_access:  read_only
        .address_space:  global
        .offset:         40
        .size:           8
        .value_kind:     global_buffer
      - .actual_access:  read_only
        .address_space:  global
        .offset:         48
        .size:           8
        .value_kind:     global_buffer
      - .offset:         56
        .size:           4
        .value_kind:     by_value
      - .actual_access:  write_only
        .address_space:  global
        .offset:         64
        .size:           8
        .value_kind:     global_buffer
      - .actual_access:  read_only
        .address_space:  global
        .offset:         72
        .size:           8
        .value_kind:     global_buffer
      - .actual_access:  write_only
        .address_space:  global
        .offset:         80
        .size:           8
        .value_kind:     global_buffer
    .group_segment_fixed_size: 4100
    .kernarg_segment_align: 8
    .kernarg_segment_size: 88
    .language:       OpenCL C
    .language_version:
      - 2
      - 0
    .max_flat_workgroup_size: 256
    .name:           _ZN9rocsparseL44csr2gebsr_wavefront_per_row_multipass_kernelILi256ELi4ELi64ELi64EfEEv20rocsparse_direction_iiiiii21rocsparse_index_base_PKT3_PKiS7_S2_PS3_PiS9_
    .private_segment_fixed_size: 0
    .sgpr_count:     28
    .sgpr_spill_count: 0
    .symbol:         _ZN9rocsparseL44csr2gebsr_wavefront_per_row_multipass_kernelILi256ELi4ELi64ELi64EfEEv20rocsparse_direction_iiiiii21rocsparse_index_base_PKT3_PKiS7_S2_PS3_PiS9_.kd
    .uniform_work_group_size: 1
    .uses_dynamic_stack: false
    .vgpr_count:     43
    .vgpr_spill_count: 0
    .wavefront_size: 32
  - .args:
      - .offset:         0
        .size:           4
        .value_kind:     by_value
      - .offset:         4
        .size:           4
        .value_kind:     by_value
      - .offset:         8
        .size:           4
        .value_kind:     by_value
      - .offset:         12
        .size:           4
        .value_kind:     by_value
      - .offset:         16
        .size:           4
        .value_kind:     by_value
      - .offset:         20
        .size:           4
        .value_kind:     by_value
      - .offset:         24
        .size:           4
        .value_kind:     by_value
      - .offset:         28
        .size:           4
        .value_kind:     by_value
      - .actual_access:  read_only
        .address_space:  global
        .offset:         32
        .size:           8
        .value_kind:     global_buffer
      - .actual_access:  read_only
        .address_space:  global
        .offset:         40
        .size:           8
        .value_kind:     global_buffer
      - .actual_access:  read_only
        .address_space:  global
        .offset:         48
        .size:           8
        .value_kind:     global_buffer
      - .offset:         56
        .size:           4
        .value_kind:     by_value
      - .actual_access:  write_only
        .address_space:  global
        .offset:         64
        .size:           8
        .value_kind:     global_buffer
      - .actual_access:  read_only
        .address_space:  global
        .offset:         72
        .size:           8
        .value_kind:     global_buffer
      - .actual_access:  write_only
        .address_space:  global
        .offset:         80
        .size:           8
        .value_kind:     global_buffer
    .group_segment_fixed_size: 8200
    .kernarg_segment_align: 8
    .kernarg_segment_size: 88
    .language:       OpenCL C
    .language_version:
      - 2
      - 0
    .max_flat_workgroup_size: 256
    .name:           _ZN9rocsparseL44csr2gebsr_wavefront_per_row_multipass_kernelILi256ELi4ELi64ELi32EfEEv20rocsparse_direction_iiiiii21rocsparse_index_base_PKT3_PKiS7_S2_PS3_PiS9_
    .private_segment_fixed_size: 0
    .sgpr_count:     32
    .sgpr_spill_count: 0
    .symbol:         _ZN9rocsparseL44csr2gebsr_wavefront_per_row_multipass_kernelILi256ELi4ELi64ELi32EfEEv20rocsparse_direction_iiiiii21rocsparse_index_base_PKT3_PKiS7_S2_PS3_PiS9_.kd
    .uniform_work_group_size: 1
    .uses_dynamic_stack: false
    .vgpr_count:     50
    .vgpr_spill_count: 0
    .wavefront_size: 32
  - .args:
      - .offset:         0
        .size:           4
        .value_kind:     by_value
      - .offset:         4
        .size:           4
        .value_kind:     by_value
      - .offset:         8
        .size:           4
        .value_kind:     by_value
      - .offset:         12
        .size:           4
        .value_kind:     by_value
      - .offset:         16
        .size:           4
        .value_kind:     by_value
      - .offset:         20
        .size:           4
        .value_kind:     by_value
      - .offset:         24
        .size:           4
        .value_kind:     by_value
      - .offset:         28
        .size:           4
        .value_kind:     by_value
      - .actual_access:  read_only
        .address_space:  global
        .offset:         32
        .size:           8
        .value_kind:     global_buffer
      - .actual_access:  read_only
        .address_space:  global
        .offset:         40
        .size:           8
        .value_kind:     global_buffer
      - .actual_access:  read_only
        .address_space:  global
        .offset:         48
        .size:           8
        .value_kind:     global_buffer
      - .offset:         56
        .size:           4
        .value_kind:     by_value
      - .actual_access:  write_only
        .address_space:  global
        .offset:         64
        .size:           8
        .value_kind:     global_buffer
      - .actual_access:  read_only
        .address_space:  global
        .offset:         72
        .size:           8
        .value_kind:     global_buffer
      - .actual_access:  write_only
        .address_space:  global
        .offset:         80
        .size:           8
        .value_kind:     global_buffer
    .group_segment_fixed_size: 1040
    .kernarg_segment_align: 8
    .kernarg_segment_size: 88
    .language:       OpenCL C
    .language_version:
      - 2
      - 0
    .max_flat_workgroup_size: 256
    .name:           _ZN9rocsparseL44csr2gebsr_wavefront_per_row_multipass_kernelILi256ELi8ELi2ELi16EfEEv20rocsparse_direction_iiiiii21rocsparse_index_base_PKT3_PKiS7_S2_PS3_PiS9_
    .private_segment_fixed_size: 0
    .sgpr_count:     25
    .sgpr_spill_count: 0
    .symbol:         _ZN9rocsparseL44csr2gebsr_wavefront_per_row_multipass_kernelILi256ELi8ELi2ELi16EfEEv20rocsparse_direction_iiiiii21rocsparse_index_base_PKT3_PKiS7_S2_PS3_PiS9_.kd
    .uniform_work_group_size: 1
    .uses_dynamic_stack: false
    .vgpr_count:     33
    .vgpr_spill_count: 0
    .wavefront_size: 32
  - .args:
      - .offset:         0
        .size:           4
        .value_kind:     by_value
      - .offset:         4
        .size:           4
        .value_kind:     by_value
      - .offset:         8
        .size:           4
        .value_kind:     by_value
      - .offset:         12
        .size:           4
        .value_kind:     by_value
      - .offset:         16
        .size:           4
        .value_kind:     by_value
      - .offset:         20
        .size:           4
        .value_kind:     by_value
      - .offset:         24
        .size:           4
        .value_kind:     by_value
      - .offset:         28
        .size:           4
        .value_kind:     by_value
      - .actual_access:  read_only
        .address_space:  global
        .offset:         32
        .size:           8
        .value_kind:     global_buffer
      - .actual_access:  read_only
        .address_space:  global
        .offset:         40
        .size:           8
        .value_kind:     global_buffer
      - .actual_access:  read_only
        .address_space:  global
        .offset:         48
        .size:           8
        .value_kind:     global_buffer
      - .offset:         56
        .size:           4
        .value_kind:     by_value
      - .actual_access:  write_only
        .address_space:  global
        .offset:         64
        .size:           8
        .value_kind:     global_buffer
      - .actual_access:  read_only
        .address_space:  global
        .offset:         72
        .size:           8
        .value_kind:     global_buffer
      - .actual_access:  write_only
        .address_space:  global
        .offset:         80
        .size:           8
        .value_kind:     global_buffer
    .group_segment_fixed_size: 1032
    .kernarg_segment_align: 8
    .kernarg_segment_size: 88
    .language:       OpenCL C
    .language_version:
      - 2
      - 0
    .max_flat_workgroup_size: 256
    .name:           _ZN9rocsparseL44csr2gebsr_wavefront_per_row_multipass_kernelILi256ELi8ELi4ELi32EfEEv20rocsparse_direction_iiiiii21rocsparse_index_base_PKT3_PKiS7_S2_PS3_PiS9_
    .private_segment_fixed_size: 0
    .sgpr_count:     25
    .sgpr_spill_count: 0
    .symbol:         _ZN9rocsparseL44csr2gebsr_wavefront_per_row_multipass_kernelILi256ELi8ELi4ELi32EfEEv20rocsparse_direction_iiiiii21rocsparse_index_base_PKT3_PKiS7_S2_PS3_PiS9_.kd
    .uniform_work_group_size: 1
    .uses_dynamic_stack: false
    .vgpr_count:     34
    .vgpr_spill_count: 0
    .wavefront_size: 32
  - .args:
      - .offset:         0
        .size:           4
        .value_kind:     by_value
      - .offset:         4
        .size:           4
        .value_kind:     by_value
      - .offset:         8
        .size:           4
        .value_kind:     by_value
      - .offset:         12
        .size:           4
        .value_kind:     by_value
      - .offset:         16
        .size:           4
        .value_kind:     by_value
      - .offset:         20
        .size:           4
        .value_kind:     by_value
      - .offset:         24
        .size:           4
        .value_kind:     by_value
      - .offset:         28
        .size:           4
        .value_kind:     by_value
      - .actual_access:  read_only
        .address_space:  global
        .offset:         32
        .size:           8
        .value_kind:     global_buffer
      - .actual_access:  read_only
        .address_space:  global
        .offset:         40
        .size:           8
        .value_kind:     global_buffer
      - .actual_access:  read_only
        .address_space:  global
        .offset:         48
        .size:           8
        .value_kind:     global_buffer
      - .offset:         56
        .size:           4
        .value_kind:     by_value
      - .actual_access:  write_only
        .address_space:  global
        .offset:         64
        .size:           8
        .value_kind:     global_buffer
      - .actual_access:  read_only
        .address_space:  global
        .offset:         72
        .size:           8
        .value_kind:     global_buffer
      - .actual_access:  write_only
        .address_space:  global
        .offset:         80
        .size:           8
        .value_kind:     global_buffer
    .group_segment_fixed_size: 1028
    .kernarg_segment_align: 8
    .kernarg_segment_size: 88
    .language:       OpenCL C
    .language_version:
      - 2
      - 0
    .max_flat_workgroup_size: 256
    .name:           _ZN9rocsparseL44csr2gebsr_wavefront_per_row_multipass_kernelILi256ELi8ELi8ELi64EfEEv20rocsparse_direction_iiiiii21rocsparse_index_base_PKT3_PKiS7_S2_PS3_PiS9_
    .private_segment_fixed_size: 0
    .sgpr_count:     25
    .sgpr_spill_count: 0
    .symbol:         _ZN9rocsparseL44csr2gebsr_wavefront_per_row_multipass_kernelILi256ELi8ELi8ELi64EfEEv20rocsparse_direction_iiiiii21rocsparse_index_base_PKT3_PKiS7_S2_PS3_PiS9_.kd
    .uniform_work_group_size: 1
    .uses_dynamic_stack: false
    .vgpr_count:     35
    .vgpr_spill_count: 0
    .wavefront_size: 32
  - .args:
      - .offset:         0
        .size:           4
        .value_kind:     by_value
      - .offset:         4
        .size:           4
        .value_kind:     by_value
      - .offset:         8
        .size:           4
        .value_kind:     by_value
      - .offset:         12
        .size:           4
        .value_kind:     by_value
      - .offset:         16
        .size:           4
        .value_kind:     by_value
      - .offset:         20
        .size:           4
        .value_kind:     by_value
      - .offset:         24
        .size:           4
        .value_kind:     by_value
      - .offset:         28
        .size:           4
        .value_kind:     by_value
      - .actual_access:  read_only
        .address_space:  global
        .offset:         32
        .size:           8
        .value_kind:     global_buffer
      - .actual_access:  read_only
        .address_space:  global
        .offset:         40
        .size:           8
        .value_kind:     global_buffer
      - .actual_access:  read_only
        .address_space:  global
        .offset:         48
        .size:           8
        .value_kind:     global_buffer
      - .offset:         56
        .size:           4
        .value_kind:     by_value
      - .actual_access:  write_only
        .address_space:  global
        .offset:         64
        .size:           8
        .value_kind:     global_buffer
      - .actual_access:  read_only
        .address_space:  global
        .offset:         72
        .size:           8
        .value_kind:     global_buffer
      - .actual_access:  write_only
        .address_space:  global
        .offset:         80
        .size:           8
        .value_kind:     global_buffer
    .group_segment_fixed_size: 2056
    .kernarg_segment_align: 8
    .kernarg_segment_size: 88
    .language:       OpenCL C
    .language_version:
      - 2
      - 0
    .max_flat_workgroup_size: 256
    .name:           _ZN9rocsparseL44csr2gebsr_wavefront_per_row_multipass_kernelILi256ELi8ELi8ELi32EfEEv20rocsparse_direction_iiiiii21rocsparse_index_base_PKT3_PKiS7_S2_PS3_PiS9_
    .private_segment_fixed_size: 0
    .sgpr_count:     26
    .sgpr_spill_count: 0
    .symbol:         _ZN9rocsparseL44csr2gebsr_wavefront_per_row_multipass_kernelILi256ELi8ELi8ELi32EfEEv20rocsparse_direction_iiiiii21rocsparse_index_base_PKT3_PKiS7_S2_PS3_PiS9_.kd
    .uniform_work_group_size: 1
    .uses_dynamic_stack: false
    .vgpr_count:     38
    .vgpr_spill_count: 0
    .wavefront_size: 32
  - .args:
      - .offset:         0
        .size:           4
        .value_kind:     by_value
      - .offset:         4
        .size:           4
        .value_kind:     by_value
      - .offset:         8
        .size:           4
        .value_kind:     by_value
      - .offset:         12
        .size:           4
        .value_kind:     by_value
      - .offset:         16
        .size:           4
        .value_kind:     by_value
      - .offset:         20
        .size:           4
        .value_kind:     by_value
      - .offset:         24
        .size:           4
        .value_kind:     by_value
      - .offset:         28
        .size:           4
        .value_kind:     by_value
      - .actual_access:  read_only
        .address_space:  global
        .offset:         32
        .size:           8
        .value_kind:     global_buffer
      - .actual_access:  read_only
        .address_space:  global
        .offset:         40
        .size:           8
        .value_kind:     global_buffer
      - .actual_access:  read_only
        .address_space:  global
        .offset:         48
        .size:           8
        .value_kind:     global_buffer
      - .offset:         56
        .size:           4
        .value_kind:     by_value
      - .actual_access:  write_only
        .address_space:  global
        .offset:         64
        .size:           8
        .value_kind:     global_buffer
      - .actual_access:  read_only
        .address_space:  global
        .offset:         72
        .size:           8
        .value_kind:     global_buffer
      - .actual_access:  write_only
        .address_space:  global
        .offset:         80
        .size:           8
        .value_kind:     global_buffer
    .group_segment_fixed_size: 2052
    .kernarg_segment_align: 8
    .kernarg_segment_size: 88
    .language:       OpenCL C
    .language_version:
      - 2
      - 0
    .max_flat_workgroup_size: 256
    .name:           _ZN9rocsparseL44csr2gebsr_wavefront_per_row_multipass_kernelILi256ELi8ELi16ELi64EfEEv20rocsparse_direction_iiiiii21rocsparse_index_base_PKT3_PKiS7_S2_PS3_PiS9_
    .private_segment_fixed_size: 0
    .sgpr_count:     26
    .sgpr_spill_count: 0
    .symbol:         _ZN9rocsparseL44csr2gebsr_wavefront_per_row_multipass_kernelILi256ELi8ELi16ELi64EfEEv20rocsparse_direction_iiiiii21rocsparse_index_base_PKT3_PKiS7_S2_PS3_PiS9_.kd
    .uniform_work_group_size: 1
    .uses_dynamic_stack: false
    .vgpr_count:     39
    .vgpr_spill_count: 0
    .wavefront_size: 32
  - .args:
      - .offset:         0
        .size:           4
        .value_kind:     by_value
      - .offset:         4
        .size:           4
        .value_kind:     by_value
      - .offset:         8
        .size:           4
        .value_kind:     by_value
      - .offset:         12
        .size:           4
        .value_kind:     by_value
      - .offset:         16
        .size:           4
        .value_kind:     by_value
      - .offset:         20
        .size:           4
        .value_kind:     by_value
      - .offset:         24
        .size:           4
        .value_kind:     by_value
      - .offset:         28
        .size:           4
        .value_kind:     by_value
      - .actual_access:  read_only
        .address_space:  global
        .offset:         32
        .size:           8
        .value_kind:     global_buffer
      - .actual_access:  read_only
        .address_space:  global
        .offset:         40
        .size:           8
        .value_kind:     global_buffer
      - .actual_access:  read_only
        .address_space:  global
        .offset:         48
        .size:           8
        .value_kind:     global_buffer
      - .offset:         56
        .size:           4
        .value_kind:     by_value
      - .actual_access:  write_only
        .address_space:  global
        .offset:         64
        .size:           8
        .value_kind:     global_buffer
      - .actual_access:  read_only
        .address_space:  global
        .offset:         72
        .size:           8
        .value_kind:     global_buffer
      - .actual_access:  write_only
        .address_space:  global
        .offset:         80
        .size:           8
        .value_kind:     global_buffer
    .group_segment_fixed_size: 4104
    .kernarg_segment_align: 8
    .kernarg_segment_size: 88
    .language:       OpenCL C
    .language_version:
      - 2
      - 0
    .max_flat_workgroup_size: 256
    .name:           _ZN9rocsparseL44csr2gebsr_wavefront_per_row_multipass_kernelILi256ELi8ELi16ELi32EfEEv20rocsparse_direction_iiiiii21rocsparse_index_base_PKT3_PKiS7_S2_PS3_PiS9_
    .private_segment_fixed_size: 0
    .sgpr_count:     28
    .sgpr_spill_count: 0
    .symbol:         _ZN9rocsparseL44csr2gebsr_wavefront_per_row_multipass_kernelILi256ELi8ELi16ELi32EfEEv20rocsparse_direction_iiiiii21rocsparse_index_base_PKT3_PKiS7_S2_PS3_PiS9_.kd
    .uniform_work_group_size: 1
    .uses_dynamic_stack: false
    .vgpr_count:     42
    .vgpr_spill_count: 0
    .wavefront_size: 32
  - .args:
      - .offset:         0
        .size:           4
        .value_kind:     by_value
      - .offset:         4
        .size:           4
        .value_kind:     by_value
      - .offset:         8
        .size:           4
        .value_kind:     by_value
      - .offset:         12
        .size:           4
        .value_kind:     by_value
      - .offset:         16
        .size:           4
        .value_kind:     by_value
      - .offset:         20
        .size:           4
        .value_kind:     by_value
      - .offset:         24
        .size:           4
        .value_kind:     by_value
      - .offset:         28
        .size:           4
        .value_kind:     by_value
      - .actual_access:  read_only
        .address_space:  global
        .offset:         32
        .size:           8
        .value_kind:     global_buffer
      - .actual_access:  read_only
        .address_space:  global
        .offset:         40
        .size:           8
        .value_kind:     global_buffer
      - .actual_access:  read_only
        .address_space:  global
        .offset:         48
        .size:           8
        .value_kind:     global_buffer
      - .offset:         56
        .size:           4
        .value_kind:     by_value
      - .actual_access:  write_only
        .address_space:  global
        .offset:         64
        .size:           8
        .value_kind:     global_buffer
      - .actual_access:  read_only
        .address_space:  global
        .offset:         72
        .size:           8
        .value_kind:     global_buffer
      - .actual_access:  write_only
        .address_space:  global
        .offset:         80
        .size:           8
        .value_kind:     global_buffer
    .group_segment_fixed_size: 4100
    .kernarg_segment_align: 8
    .kernarg_segment_size: 88
    .language:       OpenCL C
    .language_version:
      - 2
      - 0
    .max_flat_workgroup_size: 256
    .name:           _ZN9rocsparseL44csr2gebsr_wavefront_per_row_multipass_kernelILi256ELi8ELi32ELi64EfEEv20rocsparse_direction_iiiiii21rocsparse_index_base_PKT3_PKiS7_S2_PS3_PiS9_
    .private_segment_fixed_size: 0
    .sgpr_count:     28
    .sgpr_spill_count: 0
    .symbol:         _ZN9rocsparseL44csr2gebsr_wavefront_per_row_multipass_kernelILi256ELi8ELi32ELi64EfEEv20rocsparse_direction_iiiiii21rocsparse_index_base_PKT3_PKiS7_S2_PS3_PiS9_.kd
    .uniform_work_group_size: 1
    .uses_dynamic_stack: false
    .vgpr_count:     43
    .vgpr_spill_count: 0
    .wavefront_size: 32
  - .args:
      - .offset:         0
        .size:           4
        .value_kind:     by_value
      - .offset:         4
        .size:           4
        .value_kind:     by_value
      - .offset:         8
        .size:           4
        .value_kind:     by_value
      - .offset:         12
        .size:           4
        .value_kind:     by_value
      - .offset:         16
        .size:           4
        .value_kind:     by_value
      - .offset:         20
        .size:           4
        .value_kind:     by_value
      - .offset:         24
        .size:           4
        .value_kind:     by_value
      - .offset:         28
        .size:           4
        .value_kind:     by_value
      - .actual_access:  read_only
        .address_space:  global
        .offset:         32
        .size:           8
        .value_kind:     global_buffer
      - .actual_access:  read_only
        .address_space:  global
        .offset:         40
        .size:           8
        .value_kind:     global_buffer
      - .actual_access:  read_only
        .address_space:  global
        .offset:         48
        .size:           8
        .value_kind:     global_buffer
      - .offset:         56
        .size:           4
        .value_kind:     by_value
      - .actual_access:  write_only
        .address_space:  global
        .offset:         64
        .size:           8
        .value_kind:     global_buffer
      - .actual_access:  read_only
        .address_space:  global
        .offset:         72
        .size:           8
        .value_kind:     global_buffer
      - .actual_access:  write_only
        .address_space:  global
        .offset:         80
        .size:           8
        .value_kind:     global_buffer
    .group_segment_fixed_size: 8200
    .kernarg_segment_align: 8
    .kernarg_segment_size: 88
    .language:       OpenCL C
    .language_version:
      - 2
      - 0
    .max_flat_workgroup_size: 256
    .name:           _ZN9rocsparseL44csr2gebsr_wavefront_per_row_multipass_kernelILi256ELi8ELi32ELi32EfEEv20rocsparse_direction_iiiiii21rocsparse_index_base_PKT3_PKiS7_S2_PS3_PiS9_
    .private_segment_fixed_size: 0
    .sgpr_count:     32
    .sgpr_spill_count: 0
    .symbol:         _ZN9rocsparseL44csr2gebsr_wavefront_per_row_multipass_kernelILi256ELi8ELi32ELi32EfEEv20rocsparse_direction_iiiiii21rocsparse_index_base_PKT3_PKiS7_S2_PS3_PiS9_.kd
    .uniform_work_group_size: 1
    .uses_dynamic_stack: false
    .vgpr_count:     50
    .vgpr_spill_count: 0
    .wavefront_size: 32
  - .args:
      - .offset:         0
        .size:           4
        .value_kind:     by_value
      - .offset:         4
        .size:           4
        .value_kind:     by_value
      - .offset:         8
        .size:           4
        .value_kind:     by_value
      - .offset:         12
        .size:           4
        .value_kind:     by_value
      - .offset:         16
        .size:           4
        .value_kind:     by_value
      - .offset:         20
        .size:           4
        .value_kind:     by_value
      - .offset:         24
        .size:           4
        .value_kind:     by_value
      - .offset:         28
        .size:           4
        .value_kind:     by_value
      - .actual_access:  read_only
        .address_space:  global
        .offset:         32
        .size:           8
        .value_kind:     global_buffer
      - .actual_access:  read_only
        .address_space:  global
        .offset:         40
        .size:           8
        .value_kind:     global_buffer
      - .actual_access:  read_only
        .address_space:  global
        .offset:         48
        .size:           8
        .value_kind:     global_buffer
      - .offset:         56
        .size:           4
        .value_kind:     by_value
      - .actual_access:  write_only
        .address_space:  global
        .offset:         64
        .size:           8
        .value_kind:     global_buffer
      - .actual_access:  read_only
        .address_space:  global
        .offset:         72
        .size:           8
        .value_kind:     global_buffer
      - .actual_access:  write_only
        .address_space:  global
        .offset:         80
        .size:           8
        .value_kind:     global_buffer
    .group_segment_fixed_size: 8196
    .kernarg_segment_align: 8
    .kernarg_segment_size: 88
    .language:       OpenCL C
    .language_version:
      - 2
      - 0
    .max_flat_workgroup_size: 256
    .name:           _ZN9rocsparseL44csr2gebsr_wavefront_per_row_multipass_kernelILi256ELi8ELi64ELi64EfEEv20rocsparse_direction_iiiiii21rocsparse_index_base_PKT3_PKiS7_S2_PS3_PiS9_
    .private_segment_fixed_size: 0
    .sgpr_count:     32
    .sgpr_spill_count: 0
    .symbol:         _ZN9rocsparseL44csr2gebsr_wavefront_per_row_multipass_kernelILi256ELi8ELi64ELi64EfEEv20rocsparse_direction_iiiiii21rocsparse_index_base_PKT3_PKiS7_S2_PS3_PiS9_.kd
    .uniform_work_group_size: 1
    .uses_dynamic_stack: false
    .vgpr_count:     51
    .vgpr_spill_count: 0
    .wavefront_size: 32
  - .args:
      - .offset:         0
        .size:           4
        .value_kind:     by_value
      - .offset:         4
        .size:           4
        .value_kind:     by_value
      - .offset:         8
        .size:           4
        .value_kind:     by_value
      - .offset:         12
        .size:           4
        .value_kind:     by_value
      - .offset:         16
        .size:           4
        .value_kind:     by_value
      - .offset:         20
        .size:           4
        .value_kind:     by_value
      - .offset:         24
        .size:           4
        .value_kind:     by_value
      - .offset:         28
        .size:           4
        .value_kind:     by_value
      - .actual_access:  read_only
        .address_space:  global
        .offset:         32
        .size:           8
        .value_kind:     global_buffer
      - .actual_access:  read_only
        .address_space:  global
        .offset:         40
        .size:           8
        .value_kind:     global_buffer
      - .actual_access:  read_only
        .address_space:  global
        .offset:         48
        .size:           8
        .value_kind:     global_buffer
      - .offset:         56
        .size:           4
        .value_kind:     by_value
      - .actual_access:  write_only
        .address_space:  global
        .offset:         64
        .size:           8
        .value_kind:     global_buffer
      - .actual_access:  read_only
        .address_space:  global
        .offset:         72
        .size:           8
        .value_kind:     global_buffer
      - .actual_access:  write_only
        .address_space:  global
        .offset:         80
        .size:           8
        .value_kind:     global_buffer
    .group_segment_fixed_size: 8196
    .kernarg_segment_align: 8
    .kernarg_segment_size: 88
    .language:       OpenCL C
    .language_version:
      - 2
      - 0
    .max_flat_workgroup_size: 128
    .name:           _ZN9rocsparseL44csr2gebsr_wavefront_per_row_multipass_kernelILi128ELi8ELi64ELi32EfEEv20rocsparse_direction_iiiiii21rocsparse_index_base_PKT3_PKiS7_S2_PS3_PiS9_
    .private_segment_fixed_size: 0
    .sgpr_count:     41
    .sgpr_spill_count: 0
    .symbol:         _ZN9rocsparseL44csr2gebsr_wavefront_per_row_multipass_kernelILi128ELi8ELi64ELi32EfEEv20rocsparse_direction_iiiiii21rocsparse_index_base_PKT3_PKiS7_S2_PS3_PiS9_.kd
    .uniform_work_group_size: 1
    .uses_dynamic_stack: false
    .vgpr_count:     63
    .vgpr_spill_count: 0
    .wavefront_size: 32
  - .args:
      - .offset:         0
        .size:           4
        .value_kind:     by_value
      - .offset:         4
        .size:           4
        .value_kind:     by_value
      - .offset:         8
        .size:           4
        .value_kind:     by_value
      - .offset:         12
        .size:           4
        .value_kind:     by_value
      - .offset:         16
        .size:           4
        .value_kind:     by_value
      - .offset:         20
        .size:           4
        .value_kind:     by_value
      - .offset:         24
        .size:           4
        .value_kind:     by_value
      - .offset:         28
        .size:           4
        .value_kind:     by_value
      - .actual_access:  read_only
        .address_space:  global
        .offset:         32
        .size:           8
        .value_kind:     global_buffer
      - .actual_access:  read_only
        .address_space:  global
        .offset:         40
        .size:           8
        .value_kind:     global_buffer
      - .actual_access:  read_only
        .address_space:  global
        .offset:         48
        .size:           8
        .value_kind:     global_buffer
      - .offset:         56
        .size:           4
        .value_kind:     by_value
      - .actual_access:  write_only
        .address_space:  global
        .offset:         64
        .size:           8
        .value_kind:     global_buffer
      - .actual_access:  read_only
        .address_space:  global
        .offset:         72
        .size:           8
        .value_kind:     global_buffer
      - .actual_access:  write_only
        .address_space:  global
        .offset:         80
        .size:           8
        .value_kind:     global_buffer
    .group_segment_fixed_size: 1032
    .kernarg_segment_align: 8
    .kernarg_segment_size: 88
    .language:       OpenCL C
    .language_version:
      - 2
      - 0
    .max_flat_workgroup_size: 256
    .name:           _ZN9rocsparseL44csr2gebsr_wavefront_per_row_multipass_kernelILi256ELi16ELi2ELi32EfEEv20rocsparse_direction_iiiiii21rocsparse_index_base_PKT3_PKiS7_S2_PS3_PiS9_
    .private_segment_fixed_size: 0
    .sgpr_count:     25
    .sgpr_spill_count: 0
    .symbol:         _ZN9rocsparseL44csr2gebsr_wavefront_per_row_multipass_kernelILi256ELi16ELi2ELi32EfEEv20rocsparse_direction_iiiiii21rocsparse_index_base_PKT3_PKiS7_S2_PS3_PiS9_.kd
    .uniform_work_group_size: 1
    .uses_dynamic_stack: false
    .vgpr_count:     34
    .vgpr_spill_count: 0
    .wavefront_size: 32
  - .args:
      - .offset:         0
        .size:           4
        .value_kind:     by_value
      - .offset:         4
        .size:           4
        .value_kind:     by_value
      - .offset:         8
        .size:           4
        .value_kind:     by_value
      - .offset:         12
        .size:           4
        .value_kind:     by_value
      - .offset:         16
        .size:           4
        .value_kind:     by_value
      - .offset:         20
        .size:           4
        .value_kind:     by_value
      - .offset:         24
        .size:           4
        .value_kind:     by_value
      - .offset:         28
        .size:           4
        .value_kind:     by_value
      - .actual_access:  read_only
        .address_space:  global
        .offset:         32
        .size:           8
        .value_kind:     global_buffer
      - .actual_access:  read_only
        .address_space:  global
        .offset:         40
        .size:           8
        .value_kind:     global_buffer
      - .actual_access:  read_only
        .address_space:  global
        .offset:         48
        .size:           8
        .value_kind:     global_buffer
      - .offset:         56
        .size:           4
        .value_kind:     by_value
      - .actual_access:  write_only
        .address_space:  global
        .offset:         64
        .size:           8
        .value_kind:     global_buffer
      - .actual_access:  read_only
        .address_space:  global
        .offset:         72
        .size:           8
        .value_kind:     global_buffer
      - .actual_access:  write_only
        .address_space:  global
        .offset:         80
        .size:           8
        .value_kind:     global_buffer
    .group_segment_fixed_size: 1028
    .kernarg_segment_align: 8
    .kernarg_segment_size: 88
    .language:       OpenCL C
    .language_version:
      - 2
      - 0
    .max_flat_workgroup_size: 256
    .name:           _ZN9rocsparseL44csr2gebsr_wavefront_per_row_multipass_kernelILi256ELi16ELi4ELi64EfEEv20rocsparse_direction_iiiiii21rocsparse_index_base_PKT3_PKiS7_S2_PS3_PiS9_
    .private_segment_fixed_size: 0
    .sgpr_count:     25
    .sgpr_spill_count: 0
    .symbol:         _ZN9rocsparseL44csr2gebsr_wavefront_per_row_multipass_kernelILi256ELi16ELi4ELi64EfEEv20rocsparse_direction_iiiiii21rocsparse_index_base_PKT3_PKiS7_S2_PS3_PiS9_.kd
    .uniform_work_group_size: 1
    .uses_dynamic_stack: false
    .vgpr_count:     35
    .vgpr_spill_count: 0
    .wavefront_size: 32
  - .args:
      - .offset:         0
        .size:           4
        .value_kind:     by_value
      - .offset:         4
        .size:           4
        .value_kind:     by_value
      - .offset:         8
        .size:           4
        .value_kind:     by_value
      - .offset:         12
        .size:           4
        .value_kind:     by_value
      - .offset:         16
        .size:           4
        .value_kind:     by_value
      - .offset:         20
        .size:           4
        .value_kind:     by_value
      - .offset:         24
        .size:           4
        .value_kind:     by_value
      - .offset:         28
        .size:           4
        .value_kind:     by_value
      - .actual_access:  read_only
        .address_space:  global
        .offset:         32
        .size:           8
        .value_kind:     global_buffer
      - .actual_access:  read_only
        .address_space:  global
        .offset:         40
        .size:           8
        .value_kind:     global_buffer
      - .actual_access:  read_only
        .address_space:  global
        .offset:         48
        .size:           8
        .value_kind:     global_buffer
      - .offset:         56
        .size:           4
        .value_kind:     by_value
      - .actual_access:  write_only
        .address_space:  global
        .offset:         64
        .size:           8
        .value_kind:     global_buffer
      - .actual_access:  read_only
        .address_space:  global
        .offset:         72
        .size:           8
        .value_kind:     global_buffer
      - .actual_access:  write_only
        .address_space:  global
        .offset:         80
        .size:           8
        .value_kind:     global_buffer
    .group_segment_fixed_size: 2056
    .kernarg_segment_align: 8
    .kernarg_segment_size: 88
    .language:       OpenCL C
    .language_version:
      - 2
      - 0
    .max_flat_workgroup_size: 256
    .name:           _ZN9rocsparseL44csr2gebsr_wavefront_per_row_multipass_kernelILi256ELi16ELi4ELi32EfEEv20rocsparse_direction_iiiiii21rocsparse_index_base_PKT3_PKiS7_S2_PS3_PiS9_
    .private_segment_fixed_size: 0
    .sgpr_count:     26
    .sgpr_spill_count: 0
    .symbol:         _ZN9rocsparseL44csr2gebsr_wavefront_per_row_multipass_kernelILi256ELi16ELi4ELi32EfEEv20rocsparse_direction_iiiiii21rocsparse_index_base_PKT3_PKiS7_S2_PS3_PiS9_.kd
    .uniform_work_group_size: 1
    .uses_dynamic_stack: false
    .vgpr_count:     38
    .vgpr_spill_count: 0
    .wavefront_size: 32
  - .args:
      - .offset:         0
        .size:           4
        .value_kind:     by_value
      - .offset:         4
        .size:           4
        .value_kind:     by_value
      - .offset:         8
        .size:           4
        .value_kind:     by_value
      - .offset:         12
        .size:           4
        .value_kind:     by_value
      - .offset:         16
        .size:           4
        .value_kind:     by_value
      - .offset:         20
        .size:           4
        .value_kind:     by_value
      - .offset:         24
        .size:           4
        .value_kind:     by_value
      - .offset:         28
        .size:           4
        .value_kind:     by_value
      - .actual_access:  read_only
        .address_space:  global
        .offset:         32
        .size:           8
        .value_kind:     global_buffer
      - .actual_access:  read_only
        .address_space:  global
        .offset:         40
        .size:           8
        .value_kind:     global_buffer
      - .actual_access:  read_only
        .address_space:  global
        .offset:         48
        .size:           8
        .value_kind:     global_buffer
      - .offset:         56
        .size:           4
        .value_kind:     by_value
      - .actual_access:  write_only
        .address_space:  global
        .offset:         64
        .size:           8
        .value_kind:     global_buffer
      - .actual_access:  read_only
        .address_space:  global
        .offset:         72
        .size:           8
        .value_kind:     global_buffer
      - .actual_access:  write_only
        .address_space:  global
        .offset:         80
        .size:           8
        .value_kind:     global_buffer
    .group_segment_fixed_size: 2052
    .kernarg_segment_align: 8
    .kernarg_segment_size: 88
    .language:       OpenCL C
    .language_version:
      - 2
      - 0
    .max_flat_workgroup_size: 256
    .name:           _ZN9rocsparseL44csr2gebsr_wavefront_per_row_multipass_kernelILi256ELi16ELi8ELi64EfEEv20rocsparse_direction_iiiiii21rocsparse_index_base_PKT3_PKiS7_S2_PS3_PiS9_
    .private_segment_fixed_size: 0
    .sgpr_count:     26
    .sgpr_spill_count: 0
    .symbol:         _ZN9rocsparseL44csr2gebsr_wavefront_per_row_multipass_kernelILi256ELi16ELi8ELi64EfEEv20rocsparse_direction_iiiiii21rocsparse_index_base_PKT3_PKiS7_S2_PS3_PiS9_.kd
    .uniform_work_group_size: 1
    .uses_dynamic_stack: false
    .vgpr_count:     39
    .vgpr_spill_count: 0
    .wavefront_size: 32
  - .args:
      - .offset:         0
        .size:           4
        .value_kind:     by_value
      - .offset:         4
        .size:           4
        .value_kind:     by_value
      - .offset:         8
        .size:           4
        .value_kind:     by_value
      - .offset:         12
        .size:           4
        .value_kind:     by_value
      - .offset:         16
        .size:           4
        .value_kind:     by_value
      - .offset:         20
        .size:           4
        .value_kind:     by_value
      - .offset:         24
        .size:           4
        .value_kind:     by_value
      - .offset:         28
        .size:           4
        .value_kind:     by_value
      - .actual_access:  read_only
        .address_space:  global
        .offset:         32
        .size:           8
        .value_kind:     global_buffer
      - .actual_access:  read_only
        .address_space:  global
        .offset:         40
        .size:           8
        .value_kind:     global_buffer
      - .actual_access:  read_only
        .address_space:  global
        .offset:         48
        .size:           8
        .value_kind:     global_buffer
      - .offset:         56
        .size:           4
        .value_kind:     by_value
      - .actual_access:  write_only
        .address_space:  global
        .offset:         64
        .size:           8
        .value_kind:     global_buffer
      - .actual_access:  read_only
        .address_space:  global
        .offset:         72
        .size:           8
        .value_kind:     global_buffer
      - .actual_access:  write_only
        .address_space:  global
        .offset:         80
        .size:           8
        .value_kind:     global_buffer
    .group_segment_fixed_size: 4104
    .kernarg_segment_align: 8
    .kernarg_segment_size: 88
    .language:       OpenCL C
    .language_version:
      - 2
      - 0
    .max_flat_workgroup_size: 256
    .name:           _ZN9rocsparseL44csr2gebsr_wavefront_per_row_multipass_kernelILi256ELi16ELi8ELi32EfEEv20rocsparse_direction_iiiiii21rocsparse_index_base_PKT3_PKiS7_S2_PS3_PiS9_
    .private_segment_fixed_size: 0
    .sgpr_count:     28
    .sgpr_spill_count: 0
    .symbol:         _ZN9rocsparseL44csr2gebsr_wavefront_per_row_multipass_kernelILi256ELi16ELi8ELi32EfEEv20rocsparse_direction_iiiiii21rocsparse_index_base_PKT3_PKiS7_S2_PS3_PiS9_.kd
    .uniform_work_group_size: 1
    .uses_dynamic_stack: false
    .vgpr_count:     42
    .vgpr_spill_count: 0
    .wavefront_size: 32
  - .args:
      - .offset:         0
        .size:           4
        .value_kind:     by_value
      - .offset:         4
        .size:           4
        .value_kind:     by_value
      - .offset:         8
        .size:           4
        .value_kind:     by_value
      - .offset:         12
        .size:           4
        .value_kind:     by_value
      - .offset:         16
        .size:           4
        .value_kind:     by_value
      - .offset:         20
        .size:           4
        .value_kind:     by_value
      - .offset:         24
        .size:           4
        .value_kind:     by_value
      - .offset:         28
        .size:           4
        .value_kind:     by_value
      - .actual_access:  read_only
        .address_space:  global
        .offset:         32
        .size:           8
        .value_kind:     global_buffer
      - .actual_access:  read_only
        .address_space:  global
        .offset:         40
        .size:           8
        .value_kind:     global_buffer
      - .actual_access:  read_only
        .address_space:  global
        .offset:         48
        .size:           8
        .value_kind:     global_buffer
      - .offset:         56
        .size:           4
        .value_kind:     by_value
      - .actual_access:  write_only
        .address_space:  global
        .offset:         64
        .size:           8
        .value_kind:     global_buffer
      - .actual_access:  read_only
        .address_space:  global
        .offset:         72
        .size:           8
        .value_kind:     global_buffer
      - .actual_access:  write_only
        .address_space:  global
        .offset:         80
        .size:           8
        .value_kind:     global_buffer
    .group_segment_fixed_size: 4100
    .kernarg_segment_align: 8
    .kernarg_segment_size: 88
    .language:       OpenCL C
    .language_version:
      - 2
      - 0
    .max_flat_workgroup_size: 256
    .name:           _ZN9rocsparseL44csr2gebsr_wavefront_per_row_multipass_kernelILi256ELi16ELi16ELi64EfEEv20rocsparse_direction_iiiiii21rocsparse_index_base_PKT3_PKiS7_S2_PS3_PiS9_
    .private_segment_fixed_size: 0
    .sgpr_count:     28
    .sgpr_spill_count: 0
    .symbol:         _ZN9rocsparseL44csr2gebsr_wavefront_per_row_multipass_kernelILi256ELi16ELi16ELi64EfEEv20rocsparse_direction_iiiiii21rocsparse_index_base_PKT3_PKiS7_S2_PS3_PiS9_.kd
    .uniform_work_group_size: 1
    .uses_dynamic_stack: false
    .vgpr_count:     43
    .vgpr_spill_count: 0
    .wavefront_size: 32
  - .args:
      - .offset:         0
        .size:           4
        .value_kind:     by_value
      - .offset:         4
        .size:           4
        .value_kind:     by_value
      - .offset:         8
        .size:           4
        .value_kind:     by_value
      - .offset:         12
        .size:           4
        .value_kind:     by_value
      - .offset:         16
        .size:           4
        .value_kind:     by_value
      - .offset:         20
        .size:           4
        .value_kind:     by_value
      - .offset:         24
        .size:           4
        .value_kind:     by_value
      - .offset:         28
        .size:           4
        .value_kind:     by_value
      - .actual_access:  read_only
        .address_space:  global
        .offset:         32
        .size:           8
        .value_kind:     global_buffer
      - .actual_access:  read_only
        .address_space:  global
        .offset:         40
        .size:           8
        .value_kind:     global_buffer
      - .actual_access:  read_only
        .address_space:  global
        .offset:         48
        .size:           8
        .value_kind:     global_buffer
      - .offset:         56
        .size:           4
        .value_kind:     by_value
      - .actual_access:  write_only
        .address_space:  global
        .offset:         64
        .size:           8
        .value_kind:     global_buffer
      - .actual_access:  read_only
        .address_space:  global
        .offset:         72
        .size:           8
        .value_kind:     global_buffer
      - .actual_access:  write_only
        .address_space:  global
        .offset:         80
        .size:           8
        .value_kind:     global_buffer
    .group_segment_fixed_size: 8200
    .kernarg_segment_align: 8
    .kernarg_segment_size: 88
    .language:       OpenCL C
    .language_version:
      - 2
      - 0
    .max_flat_workgroup_size: 256
    .name:           _ZN9rocsparseL44csr2gebsr_wavefront_per_row_multipass_kernelILi256ELi16ELi16ELi32EfEEv20rocsparse_direction_iiiiii21rocsparse_index_base_PKT3_PKiS7_S2_PS3_PiS9_
    .private_segment_fixed_size: 0
    .sgpr_count:     32
    .sgpr_spill_count: 0
    .symbol:         _ZN9rocsparseL44csr2gebsr_wavefront_per_row_multipass_kernelILi256ELi16ELi16ELi32EfEEv20rocsparse_direction_iiiiii21rocsparse_index_base_PKT3_PKiS7_S2_PS3_PiS9_.kd
    .uniform_work_group_size: 1
    .uses_dynamic_stack: false
    .vgpr_count:     50
    .vgpr_spill_count: 0
    .wavefront_size: 32
  - .args:
      - .offset:         0
        .size:           4
        .value_kind:     by_value
      - .offset:         4
        .size:           4
        .value_kind:     by_value
      - .offset:         8
        .size:           4
        .value_kind:     by_value
      - .offset:         12
        .size:           4
        .value_kind:     by_value
      - .offset:         16
        .size:           4
        .value_kind:     by_value
      - .offset:         20
        .size:           4
        .value_kind:     by_value
      - .offset:         24
        .size:           4
        .value_kind:     by_value
      - .offset:         28
        .size:           4
        .value_kind:     by_value
      - .actual_access:  read_only
        .address_space:  global
        .offset:         32
        .size:           8
        .value_kind:     global_buffer
      - .actual_access:  read_only
        .address_space:  global
        .offset:         40
        .size:           8
        .value_kind:     global_buffer
      - .actual_access:  read_only
        .address_space:  global
        .offset:         48
        .size:           8
        .value_kind:     global_buffer
      - .offset:         56
        .size:           4
        .value_kind:     by_value
      - .actual_access:  write_only
        .address_space:  global
        .offset:         64
        .size:           8
        .value_kind:     global_buffer
      - .actual_access:  read_only
        .address_space:  global
        .offset:         72
        .size:           8
        .value_kind:     global_buffer
      - .actual_access:  write_only
        .address_space:  global
        .offset:         80
        .size:           8
        .value_kind:     global_buffer
    .group_segment_fixed_size: 2052
    .kernarg_segment_align: 8
    .kernarg_segment_size: 88
    .language:       OpenCL C
    .language_version:
      - 2
      - 0
    .max_flat_workgroup_size: 128
    .name:           _ZN9rocsparseL40csr2gebsr_block_per_row_multipass_kernelILj128ELj16ELj32EfEEv20rocsparse_direction_iiiiii21rocsparse_index_base_PKT2_PKiS7_S2_PS3_PiS9_
    .private_segment_fixed_size: 0
    .sgpr_count:     38
    .sgpr_spill_count: 0
    .symbol:         _ZN9rocsparseL40csr2gebsr_block_per_row_multipass_kernelILj128ELj16ELj32EfEEv20rocsparse_direction_iiiiii21rocsparse_index_base_PKT2_PKiS7_S2_PS3_PiS9_.kd
    .uniform_work_group_size: 1
    .uses_dynamic_stack: false
    .vgpr_count:     33
    .vgpr_spill_count: 0
    .wavefront_size: 32
  - .args:
      - .offset:         0
        .size:           4
        .value_kind:     by_value
      - .offset:         4
        .size:           4
        .value_kind:     by_value
      - .offset:         8
        .size:           4
        .value_kind:     by_value
      - .offset:         12
        .size:           4
        .value_kind:     by_value
      - .offset:         16
        .size:           4
        .value_kind:     by_value
      - .offset:         20
        .size:           4
        .value_kind:     by_value
      - .offset:         24
        .size:           4
        .value_kind:     by_value
      - .offset:         28
        .size:           4
        .value_kind:     by_value
      - .actual_access:  read_only
        .address_space:  global
        .offset:         32
        .size:           8
        .value_kind:     global_buffer
      - .actual_access:  read_only
        .address_space:  global
        .offset:         40
        .size:           8
        .value_kind:     global_buffer
      - .actual_access:  read_only
        .address_space:  global
        .offset:         48
        .size:           8
        .value_kind:     global_buffer
      - .offset:         56
        .size:           4
        .value_kind:     by_value
      - .actual_access:  write_only
        .address_space:  global
        .offset:         64
        .size:           8
        .value_kind:     global_buffer
      - .actual_access:  read_only
        .address_space:  global
        .offset:         72
        .size:           8
        .value_kind:     global_buffer
      - .actual_access:  write_only
        .address_space:  global
        .offset:         80
        .size:           8
        .value_kind:     global_buffer
    .group_segment_fixed_size: 4100
    .kernarg_segment_align: 8
    .kernarg_segment_size: 88
    .language:       OpenCL C
    .language_version:
      - 2
      - 0
    .max_flat_workgroup_size: 128
    .name:           _ZN9rocsparseL40csr2gebsr_block_per_row_multipass_kernelILj128ELj16ELj64EfEEv20rocsparse_direction_iiiiii21rocsparse_index_base_PKT2_PKiS7_S2_PS3_PiS9_
    .private_segment_fixed_size: 0
    .sgpr_count:     40
    .sgpr_spill_count: 0
    .symbol:         _ZN9rocsparseL40csr2gebsr_block_per_row_multipass_kernelILj128ELj16ELj64EfEEv20rocsparse_direction_iiiiii21rocsparse_index_base_PKT2_PKiS7_S2_PS3_PiS9_.kd
    .uniform_work_group_size: 1
    .uses_dynamic_stack: false
    .vgpr_count:     41
    .vgpr_spill_count: 0
    .wavefront_size: 32
  - .args:
      - .offset:         0
        .size:           4
        .value_kind:     by_value
      - .offset:         4
        .size:           4
        .value_kind:     by_value
      - .offset:         8
        .size:           4
        .value_kind:     by_value
      - .offset:         12
        .size:           4
        .value_kind:     by_value
      - .offset:         16
        .size:           4
        .value_kind:     by_value
      - .offset:         20
        .size:           4
        .value_kind:     by_value
      - .offset:         24
        .size:           4
        .value_kind:     by_value
      - .offset:         28
        .size:           4
        .value_kind:     by_value
      - .actual_access:  read_only
        .address_space:  global
        .offset:         32
        .size:           8
        .value_kind:     global_buffer
      - .actual_access:  read_only
        .address_space:  global
        .offset:         40
        .size:           8
        .value_kind:     global_buffer
      - .actual_access:  read_only
        .address_space:  global
        .offset:         48
        .size:           8
        .value_kind:     global_buffer
      - .offset:         56
        .size:           4
        .value_kind:     by_value
      - .actual_access:  write_only
        .address_space:  global
        .offset:         64
        .size:           8
        .value_kind:     global_buffer
      - .actual_access:  read_only
        .address_space:  global
        .offset:         72
        .size:           8
        .value_kind:     global_buffer
      - .actual_access:  write_only
        .address_space:  global
        .offset:         80
        .size:           8
        .value_kind:     global_buffer
    .group_segment_fixed_size: 1028
    .kernarg_segment_align: 8
    .kernarg_segment_size: 88
    .language:       OpenCL C
    .language_version:
      - 2
      - 0
    .max_flat_workgroup_size: 256
    .name:           _ZN9rocsparseL44csr2gebsr_wavefront_per_row_multipass_kernelILi256ELi32ELi2ELi64EfEEv20rocsparse_direction_iiiiii21rocsparse_index_base_PKT3_PKiS7_S2_PS3_PiS9_
    .private_segment_fixed_size: 0
    .sgpr_count:     25
    .sgpr_spill_count: 0
    .symbol:         _ZN9rocsparseL44csr2gebsr_wavefront_per_row_multipass_kernelILi256ELi32ELi2ELi64EfEEv20rocsparse_direction_iiiiii21rocsparse_index_base_PKT3_PKiS7_S2_PS3_PiS9_.kd
    .uniform_work_group_size: 1
    .uses_dynamic_stack: false
    .vgpr_count:     35
    .vgpr_spill_count: 0
    .wavefront_size: 32
  - .args:
      - .offset:         0
        .size:           4
        .value_kind:     by_value
      - .offset:         4
        .size:           4
        .value_kind:     by_value
      - .offset:         8
        .size:           4
        .value_kind:     by_value
      - .offset:         12
        .size:           4
        .value_kind:     by_value
      - .offset:         16
        .size:           4
        .value_kind:     by_value
      - .offset:         20
        .size:           4
        .value_kind:     by_value
      - .offset:         24
        .size:           4
        .value_kind:     by_value
      - .offset:         28
        .size:           4
        .value_kind:     by_value
      - .actual_access:  read_only
        .address_space:  global
        .offset:         32
        .size:           8
        .value_kind:     global_buffer
      - .actual_access:  read_only
        .address_space:  global
        .offset:         40
        .size:           8
        .value_kind:     global_buffer
      - .actual_access:  read_only
        .address_space:  global
        .offset:         48
        .size:           8
        .value_kind:     global_buffer
      - .offset:         56
        .size:           4
        .value_kind:     by_value
      - .actual_access:  write_only
        .address_space:  global
        .offset:         64
        .size:           8
        .value_kind:     global_buffer
      - .actual_access:  read_only
        .address_space:  global
        .offset:         72
        .size:           8
        .value_kind:     global_buffer
      - .actual_access:  write_only
        .address_space:  global
        .offset:         80
        .size:           8
        .value_kind:     global_buffer
    .group_segment_fixed_size: 2056
    .kernarg_segment_align: 8
    .kernarg_segment_size: 88
    .language:       OpenCL C
    .language_version:
      - 2
      - 0
    .max_flat_workgroup_size: 256
    .name:           _ZN9rocsparseL44csr2gebsr_wavefront_per_row_multipass_kernelILi256ELi32ELi2ELi32EfEEv20rocsparse_direction_iiiiii21rocsparse_index_base_PKT3_PKiS7_S2_PS3_PiS9_
    .private_segment_fixed_size: 0
    .sgpr_count:     28
    .sgpr_spill_count: 0
    .symbol:         _ZN9rocsparseL44csr2gebsr_wavefront_per_row_multipass_kernelILi256ELi32ELi2ELi32EfEEv20rocsparse_direction_iiiiii21rocsparse_index_base_PKT3_PKiS7_S2_PS3_PiS9_.kd
    .uniform_work_group_size: 1
    .uses_dynamic_stack: false
    .vgpr_count:     33
    .vgpr_spill_count: 0
    .wavefront_size: 32
  - .args:
      - .offset:         0
        .size:           4
        .value_kind:     by_value
      - .offset:         4
        .size:           4
        .value_kind:     by_value
      - .offset:         8
        .size:           4
        .value_kind:     by_value
      - .offset:         12
        .size:           4
        .value_kind:     by_value
      - .offset:         16
        .size:           4
        .value_kind:     by_value
      - .offset:         20
        .size:           4
        .value_kind:     by_value
      - .offset:         24
        .size:           4
        .value_kind:     by_value
      - .offset:         28
        .size:           4
        .value_kind:     by_value
      - .actual_access:  read_only
        .address_space:  global
        .offset:         32
        .size:           8
        .value_kind:     global_buffer
      - .actual_access:  read_only
        .address_space:  global
        .offset:         40
        .size:           8
        .value_kind:     global_buffer
      - .actual_access:  read_only
        .address_space:  global
        .offset:         48
        .size:           8
        .value_kind:     global_buffer
      - .offset:         56
        .size:           4
        .value_kind:     by_value
      - .actual_access:  write_only
        .address_space:  global
        .offset:         64
        .size:           8
        .value_kind:     global_buffer
      - .actual_access:  read_only
        .address_space:  global
        .offset:         72
        .size:           8
        .value_kind:     global_buffer
      - .actual_access:  write_only
        .address_space:  global
        .offset:         80
        .size:           8
        .value_kind:     global_buffer
    .group_segment_fixed_size: 2052
    .kernarg_segment_align: 8
    .kernarg_segment_size: 88
    .language:       OpenCL C
    .language_version:
      - 2
      - 0
    .max_flat_workgroup_size: 256
    .name:           _ZN9rocsparseL44csr2gebsr_wavefront_per_row_multipass_kernelILi256ELi32ELi4ELi64EfEEv20rocsparse_direction_iiiiii21rocsparse_index_base_PKT3_PKiS7_S2_PS3_PiS9_
    .private_segment_fixed_size: 0
    .sgpr_count:     26
    .sgpr_spill_count: 0
    .symbol:         _ZN9rocsparseL44csr2gebsr_wavefront_per_row_multipass_kernelILi256ELi32ELi4ELi64EfEEv20rocsparse_direction_iiiiii21rocsparse_index_base_PKT3_PKiS7_S2_PS3_PiS9_.kd
    .uniform_work_group_size: 1
    .uses_dynamic_stack: false
    .vgpr_count:     39
    .vgpr_spill_count: 0
    .wavefront_size: 32
  - .args:
      - .offset:         0
        .size:           4
        .value_kind:     by_value
      - .offset:         4
        .size:           4
        .value_kind:     by_value
      - .offset:         8
        .size:           4
        .value_kind:     by_value
      - .offset:         12
        .size:           4
        .value_kind:     by_value
      - .offset:         16
        .size:           4
        .value_kind:     by_value
      - .offset:         20
        .size:           4
        .value_kind:     by_value
      - .offset:         24
        .size:           4
        .value_kind:     by_value
      - .offset:         28
        .size:           4
        .value_kind:     by_value
      - .actual_access:  read_only
        .address_space:  global
        .offset:         32
        .size:           8
        .value_kind:     global_buffer
      - .actual_access:  read_only
        .address_space:  global
        .offset:         40
        .size:           8
        .value_kind:     global_buffer
      - .actual_access:  read_only
        .address_space:  global
        .offset:         48
        .size:           8
        .value_kind:     global_buffer
      - .offset:         56
        .size:           4
        .value_kind:     by_value
      - .actual_access:  write_only
        .address_space:  global
        .offset:         64
        .size:           8
        .value_kind:     global_buffer
      - .actual_access:  read_only
        .address_space:  global
        .offset:         72
        .size:           8
        .value_kind:     global_buffer
      - .actual_access:  write_only
        .address_space:  global
        .offset:         80
        .size:           8
        .value_kind:     global_buffer
    .group_segment_fixed_size: 4104
    .kernarg_segment_align: 8
    .kernarg_segment_size: 88
    .language:       OpenCL C
    .language_version:
      - 2
      - 0
    .max_flat_workgroup_size: 256
    .name:           _ZN9rocsparseL44csr2gebsr_wavefront_per_row_multipass_kernelILi256ELi32ELi4ELi32EfEEv20rocsparse_direction_iiiiii21rocsparse_index_base_PKT3_PKiS7_S2_PS3_PiS9_
    .private_segment_fixed_size: 0
    .sgpr_count:     34
    .sgpr_spill_count: 0
    .symbol:         _ZN9rocsparseL44csr2gebsr_wavefront_per_row_multipass_kernelILi256ELi32ELi4ELi32EfEEv20rocsparse_direction_iiiiii21rocsparse_index_base_PKT3_PKiS7_S2_PS3_PiS9_.kd
    .uniform_work_group_size: 1
    .uses_dynamic_stack: false
    .vgpr_count:     35
    .vgpr_spill_count: 0
    .wavefront_size: 32
  - .args:
      - .offset:         0
        .size:           4
        .value_kind:     by_value
      - .offset:         4
        .size:           4
        .value_kind:     by_value
      - .offset:         8
        .size:           4
        .value_kind:     by_value
      - .offset:         12
        .size:           4
        .value_kind:     by_value
      - .offset:         16
        .size:           4
        .value_kind:     by_value
      - .offset:         20
        .size:           4
        .value_kind:     by_value
      - .offset:         24
        .size:           4
        .value_kind:     by_value
      - .offset:         28
        .size:           4
        .value_kind:     by_value
      - .actual_access:  read_only
        .address_space:  global
        .offset:         32
        .size:           8
        .value_kind:     global_buffer
      - .actual_access:  read_only
        .address_space:  global
        .offset:         40
        .size:           8
        .value_kind:     global_buffer
      - .actual_access:  read_only
        .address_space:  global
        .offset:         48
        .size:           8
        .value_kind:     global_buffer
      - .offset:         56
        .size:           4
        .value_kind:     by_value
      - .actual_access:  write_only
        .address_space:  global
        .offset:         64
        .size:           8
        .value_kind:     global_buffer
      - .actual_access:  read_only
        .address_space:  global
        .offset:         72
        .size:           8
        .value_kind:     global_buffer
      - .actual_access:  write_only
        .address_space:  global
        .offset:         80
        .size:           8
        .value_kind:     global_buffer
    .group_segment_fixed_size: 4100
    .kernarg_segment_align: 8
    .kernarg_segment_size: 88
    .language:       OpenCL C
    .language_version:
      - 2
      - 0
    .max_flat_workgroup_size: 256
    .name:           _ZN9rocsparseL44csr2gebsr_wavefront_per_row_multipass_kernelILi256ELi32ELi8ELi64EfEEv20rocsparse_direction_iiiiii21rocsparse_index_base_PKT3_PKiS7_S2_PS3_PiS9_
    .private_segment_fixed_size: 0
    .sgpr_count:     28
    .sgpr_spill_count: 0
    .symbol:         _ZN9rocsparseL44csr2gebsr_wavefront_per_row_multipass_kernelILi256ELi32ELi8ELi64EfEEv20rocsparse_direction_iiiiii21rocsparse_index_base_PKT3_PKiS7_S2_PS3_PiS9_.kd
    .uniform_work_group_size: 1
    .uses_dynamic_stack: false
    .vgpr_count:     43
    .vgpr_spill_count: 0
    .wavefront_size: 32
  - .args:
      - .offset:         0
        .size:           4
        .value_kind:     by_value
      - .offset:         4
        .size:           4
        .value_kind:     by_value
      - .offset:         8
        .size:           4
        .value_kind:     by_value
      - .offset:         12
        .size:           4
        .value_kind:     by_value
      - .offset:         16
        .size:           4
        .value_kind:     by_value
      - .offset:         20
        .size:           4
        .value_kind:     by_value
      - .offset:         24
        .size:           4
        .value_kind:     by_value
      - .offset:         28
        .size:           4
        .value_kind:     by_value
      - .actual_access:  read_only
        .address_space:  global
        .offset:         32
        .size:           8
        .value_kind:     global_buffer
      - .actual_access:  read_only
        .address_space:  global
        .offset:         40
        .size:           8
        .value_kind:     global_buffer
      - .actual_access:  read_only
        .address_space:  global
        .offset:         48
        .size:           8
        .value_kind:     global_buffer
      - .offset:         56
        .size:           4
        .value_kind:     by_value
      - .actual_access:  write_only
        .address_space:  global
        .offset:         64
        .size:           8
        .value_kind:     global_buffer
      - .actual_access:  read_only
        .address_space:  global
        .offset:         72
        .size:           8
        .value_kind:     global_buffer
      - .actual_access:  write_only
        .address_space:  global
        .offset:         80
        .size:           8
        .value_kind:     global_buffer
    .group_segment_fixed_size: 8200
    .kernarg_segment_align: 8
    .kernarg_segment_size: 88
    .language:       OpenCL C
    .language_version:
      - 2
      - 0
    .max_flat_workgroup_size: 256
    .name:           _ZN9rocsparseL44csr2gebsr_wavefront_per_row_multipass_kernelILi256ELi32ELi8ELi32EfEEv20rocsparse_direction_iiiiii21rocsparse_index_base_PKT3_PKiS7_S2_PS3_PiS9_
    .private_segment_fixed_size: 0
    .sgpr_count:     50
    .sgpr_spill_count: 0
    .symbol:         _ZN9rocsparseL44csr2gebsr_wavefront_per_row_multipass_kernelILi256ELi32ELi8ELi32EfEEv20rocsparse_direction_iiiiii21rocsparse_index_base_PKT3_PKiS7_S2_PS3_PiS9_.kd
    .uniform_work_group_size: 1
    .uses_dynamic_stack: false
    .vgpr_count:     35
    .vgpr_spill_count: 0
    .wavefront_size: 32
  - .args:
      - .offset:         0
        .size:           4
        .value_kind:     by_value
      - .offset:         4
        .size:           4
        .value_kind:     by_value
      - .offset:         8
        .size:           4
        .value_kind:     by_value
      - .offset:         12
        .size:           4
        .value_kind:     by_value
      - .offset:         16
        .size:           4
        .value_kind:     by_value
      - .offset:         20
        .size:           4
        .value_kind:     by_value
      - .offset:         24
        .size:           4
        .value_kind:     by_value
      - .offset:         28
        .size:           4
        .value_kind:     by_value
      - .actual_access:  read_only
        .address_space:  global
        .offset:         32
        .size:           8
        .value_kind:     global_buffer
      - .actual_access:  read_only
        .address_space:  global
        .offset:         40
        .size:           8
        .value_kind:     global_buffer
      - .actual_access:  read_only
        .address_space:  global
        .offset:         48
        .size:           8
        .value_kind:     global_buffer
      - .offset:         56
        .size:           4
        .value_kind:     by_value
      - .actual_access:  write_only
        .address_space:  global
        .offset:         64
        .size:           8
        .value_kind:     global_buffer
      - .actual_access:  read_only
        .address_space:  global
        .offset:         72
        .size:           8
        .value_kind:     global_buffer
      - .actual_access:  write_only
        .address_space:  global
        .offset:         80
        .size:           8
        .value_kind:     global_buffer
    .group_segment_fixed_size: 2052
    .kernarg_segment_align: 8
    .kernarg_segment_size: 88
    .language:       OpenCL C
    .language_version:
      - 2
      - 0
    .max_flat_workgroup_size: 256
    .name:           _ZN9rocsparseL40csr2gebsr_block_per_row_multipass_kernelILj256ELj32ELj16EfEEv20rocsparse_direction_iiiiii21rocsparse_index_base_PKT2_PKiS7_S2_PS3_PiS9_
    .private_segment_fixed_size: 0
    .sgpr_count:     38
    .sgpr_spill_count: 0
    .symbol:         _ZN9rocsparseL40csr2gebsr_block_per_row_multipass_kernelILj256ELj32ELj16EfEEv20rocsparse_direction_iiiiii21rocsparse_index_base_PKT2_PKiS7_S2_PS3_PiS9_.kd
    .uniform_work_group_size: 1
    .uses_dynamic_stack: false
    .vgpr_count:     29
    .vgpr_spill_count: 0
    .wavefront_size: 32
  - .args:
      - .offset:         0
        .size:           4
        .value_kind:     by_value
      - .offset:         4
        .size:           4
        .value_kind:     by_value
      - .offset:         8
        .size:           4
        .value_kind:     by_value
      - .offset:         12
        .size:           4
        .value_kind:     by_value
      - .offset:         16
        .size:           4
        .value_kind:     by_value
      - .offset:         20
        .size:           4
        .value_kind:     by_value
      - .offset:         24
        .size:           4
        .value_kind:     by_value
      - .offset:         28
        .size:           4
        .value_kind:     by_value
      - .actual_access:  read_only
        .address_space:  global
        .offset:         32
        .size:           8
        .value_kind:     global_buffer
      - .actual_access:  read_only
        .address_space:  global
        .offset:         40
        .size:           8
        .value_kind:     global_buffer
      - .actual_access:  read_only
        .address_space:  global
        .offset:         48
        .size:           8
        .value_kind:     global_buffer
      - .offset:         56
        .size:           4
        .value_kind:     by_value
      - .actual_access:  write_only
        .address_space:  global
        .offset:         64
        .size:           8
        .value_kind:     global_buffer
      - .actual_access:  read_only
        .address_space:  global
        .offset:         72
        .size:           8
        .value_kind:     global_buffer
      - .actual_access:  write_only
        .address_space:  global
        .offset:         80
        .size:           8
        .value_kind:     global_buffer
    .group_segment_fixed_size: 4100
    .kernarg_segment_align: 8
    .kernarg_segment_size: 88
    .language:       OpenCL C
    .language_version:
      - 2
      - 0
    .max_flat_workgroup_size: 256
    .name:           _ZN9rocsparseL40csr2gebsr_block_per_row_multipass_kernelILj256ELj32ELj32EfEEv20rocsparse_direction_iiiiii21rocsparse_index_base_PKT2_PKiS7_S2_PS3_PiS9_
    .private_segment_fixed_size: 0
    .sgpr_count:     38
    .sgpr_spill_count: 0
    .symbol:         _ZN9rocsparseL40csr2gebsr_block_per_row_multipass_kernelILj256ELj32ELj32EfEEv20rocsparse_direction_iiiiii21rocsparse_index_base_PKT2_PKiS7_S2_PS3_PiS9_.kd
    .uniform_work_group_size: 1
    .uses_dynamic_stack: false
    .vgpr_count:     33
    .vgpr_spill_count: 0
    .wavefront_size: 32
  - .args:
      - .offset:         0
        .size:           4
        .value_kind:     by_value
      - .offset:         4
        .size:           4
        .value_kind:     by_value
      - .offset:         8
        .size:           4
        .value_kind:     by_value
      - .offset:         12
        .size:           4
        .value_kind:     by_value
      - .offset:         16
        .size:           4
        .value_kind:     by_value
      - .offset:         20
        .size:           4
        .value_kind:     by_value
      - .offset:         24
        .size:           4
        .value_kind:     by_value
      - .offset:         28
        .size:           4
        .value_kind:     by_value
      - .actual_access:  read_only
        .address_space:  global
        .offset:         32
        .size:           8
        .value_kind:     global_buffer
      - .actual_access:  read_only
        .address_space:  global
        .offset:         40
        .size:           8
        .value_kind:     global_buffer
      - .actual_access:  read_only
        .address_space:  global
        .offset:         48
        .size:           8
        .value_kind:     global_buffer
      - .offset:         56
        .size:           4
        .value_kind:     by_value
      - .actual_access:  write_only
        .address_space:  global
        .offset:         64
        .size:           8
        .value_kind:     global_buffer
      - .actual_access:  read_only
        .address_space:  global
        .offset:         72
        .size:           8
        .value_kind:     global_buffer
      - .actual_access:  write_only
        .address_space:  global
        .offset:         80
        .size:           8
        .value_kind:     global_buffer
    .group_segment_fixed_size: 8196
    .kernarg_segment_align: 8
    .kernarg_segment_size: 88
    .language:       OpenCL C
    .language_version:
      - 2
      - 0
    .max_flat_workgroup_size: 256
    .name:           _ZN9rocsparseL40csr2gebsr_block_per_row_multipass_kernelILj256ELj32ELj64EfEEv20rocsparse_direction_iiiiii21rocsparse_index_base_PKT2_PKiS7_S2_PS3_PiS9_
    .private_segment_fixed_size: 0
    .sgpr_count:     42
    .sgpr_spill_count: 0
    .symbol:         _ZN9rocsparseL40csr2gebsr_block_per_row_multipass_kernelILj256ELj32ELj64EfEEv20rocsparse_direction_iiiiii21rocsparse_index_base_PKT2_PKiS7_S2_PS3_PiS9_.kd
    .uniform_work_group_size: 1
    .uses_dynamic_stack: false
    .vgpr_count:     41
    .vgpr_spill_count: 0
    .wavefront_size: 32
  - .args:
      - .offset:         0
        .size:           4
        .value_kind:     by_value
      - .offset:         4
        .size:           4
        .value_kind:     by_value
      - .offset:         8
        .size:           4
        .value_kind:     by_value
      - .offset:         12
        .size:           4
        .value_kind:     by_value
      - .offset:         16
        .size:           4
        .value_kind:     by_value
      - .offset:         20
        .size:           4
        .value_kind:     by_value
      - .offset:         24
        .size:           4
        .value_kind:     by_value
      - .offset:         28
        .size:           4
        .value_kind:     by_value
      - .actual_access:  read_only
        .address_space:  global
        .offset:         32
        .size:           8
        .value_kind:     global_buffer
      - .actual_access:  read_only
        .address_space:  global
        .offset:         40
        .size:           8
        .value_kind:     global_buffer
      - .actual_access:  read_only
        .address_space:  global
        .offset:         48
        .size:           8
        .value_kind:     global_buffer
      - .offset:         56
        .size:           4
        .value_kind:     by_value
      - .actual_access:  write_only
        .address_space:  global
        .offset:         64
        .size:           8
        .value_kind:     global_buffer
      - .actual_access:  read_only
        .address_space:  global
        .offset:         72
        .size:           8
        .value_kind:     global_buffer
      - .actual_access:  write_only
        .address_space:  global
        .offset:         80
        .size:           8
        .value_kind:     global_buffer
    .group_segment_fixed_size: 516
    .kernarg_segment_align: 8
    .kernarg_segment_size: 88
    .language:       OpenCL C
    .language_version:
      - 2
      - 0
    .max_flat_workgroup_size: 128
    .name:           _ZN9rocsparseL40csr2gebsr_block_per_row_multipass_kernelILj128ELj64ELj2EfEEv20rocsparse_direction_iiiiii21rocsparse_index_base_PKT2_PKiS7_S2_PS3_PiS9_
    .private_segment_fixed_size: 0
    .sgpr_count:     33
    .sgpr_spill_count: 0
    .symbol:         _ZN9rocsparseL40csr2gebsr_block_per_row_multipass_kernelILj128ELj64ELj2EfEEv20rocsparse_direction_iiiiii21rocsparse_index_base_PKT2_PKiS7_S2_PS3_PiS9_.kd
    .uniform_work_group_size: 1
    .uses_dynamic_stack: false
    .vgpr_count:     22
    .vgpr_spill_count: 0
    .wavefront_size: 32
  - .args:
      - .offset:         0
        .size:           4
        .value_kind:     by_value
      - .offset:         4
        .size:           4
        .value_kind:     by_value
      - .offset:         8
        .size:           4
        .value_kind:     by_value
      - .offset:         12
        .size:           4
        .value_kind:     by_value
      - .offset:         16
        .size:           4
        .value_kind:     by_value
      - .offset:         20
        .size:           4
        .value_kind:     by_value
      - .offset:         24
        .size:           4
        .value_kind:     by_value
      - .offset:         28
        .size:           4
        .value_kind:     by_value
      - .actual_access:  read_only
        .address_space:  global
        .offset:         32
        .size:           8
        .value_kind:     global_buffer
      - .actual_access:  read_only
        .address_space:  global
        .offset:         40
        .size:           8
        .value_kind:     global_buffer
      - .actual_access:  read_only
        .address_space:  global
        .offset:         48
        .size:           8
        .value_kind:     global_buffer
      - .offset:         56
        .size:           4
        .value_kind:     by_value
      - .actual_access:  write_only
        .address_space:  global
        .offset:         64
        .size:           8
        .value_kind:     global_buffer
      - .actual_access:  read_only
        .address_space:  global
        .offset:         72
        .size:           8
        .value_kind:     global_buffer
      - .actual_access:  write_only
        .address_space:  global
        .offset:         80
        .size:           8
        .value_kind:     global_buffer
    .group_segment_fixed_size: 1028
    .kernarg_segment_align: 8
    .kernarg_segment_size: 88
    .language:       OpenCL C
    .language_version:
      - 2
      - 0
    .max_flat_workgroup_size: 256
    .name:           _ZN9rocsparseL40csr2gebsr_block_per_row_multipass_kernelILj256ELj64ELj4EfEEv20rocsparse_direction_iiiiii21rocsparse_index_base_PKT2_PKiS7_S2_PS3_PiS9_
    .private_segment_fixed_size: 0
    .sgpr_count:     33
    .sgpr_spill_count: 0
    .symbol:         _ZN9rocsparseL40csr2gebsr_block_per_row_multipass_kernelILj256ELj64ELj4EfEEv20rocsparse_direction_iiiiii21rocsparse_index_base_PKT2_PKiS7_S2_PS3_PiS9_.kd
    .uniform_work_group_size: 1
    .uses_dynamic_stack: false
    .vgpr_count:     23
    .vgpr_spill_count: 0
    .wavefront_size: 32
  - .args:
      - .offset:         0
        .size:           4
        .value_kind:     by_value
      - .offset:         4
        .size:           4
        .value_kind:     by_value
      - .offset:         8
        .size:           4
        .value_kind:     by_value
      - .offset:         12
        .size:           4
        .value_kind:     by_value
      - .offset:         16
        .size:           4
        .value_kind:     by_value
      - .offset:         20
        .size:           4
        .value_kind:     by_value
      - .offset:         24
        .size:           4
        .value_kind:     by_value
      - .offset:         28
        .size:           4
        .value_kind:     by_value
      - .actual_access:  read_only
        .address_space:  global
        .offset:         32
        .size:           8
        .value_kind:     global_buffer
      - .actual_access:  read_only
        .address_space:  global
        .offset:         40
        .size:           8
        .value_kind:     global_buffer
      - .actual_access:  read_only
        .address_space:  global
        .offset:         48
        .size:           8
        .value_kind:     global_buffer
      - .offset:         56
        .size:           4
        .value_kind:     by_value
      - .actual_access:  write_only
        .address_space:  global
        .offset:         64
        .size:           8
        .value_kind:     global_buffer
      - .actual_access:  read_only
        .address_space:  global
        .offset:         72
        .size:           8
        .value_kind:     global_buffer
      - .actual_access:  write_only
        .address_space:  global
        .offset:         80
        .size:           8
        .value_kind:     global_buffer
    .group_segment_fixed_size: 2052
    .kernarg_segment_align: 8
    .kernarg_segment_size: 88
    .language:       OpenCL C
    .language_version:
      - 2
      - 0
    .max_flat_workgroup_size: 256
    .name:           _ZN9rocsparseL40csr2gebsr_block_per_row_multipass_kernelILj256ELj64ELj8EfEEv20rocsparse_direction_iiiiii21rocsparse_index_base_PKT2_PKiS7_S2_PS3_PiS9_
    .private_segment_fixed_size: 0
    .sgpr_count:     38
    .sgpr_spill_count: 0
    .symbol:         _ZN9rocsparseL40csr2gebsr_block_per_row_multipass_kernelILj256ELj64ELj8EfEEv20rocsparse_direction_iiiiii21rocsparse_index_base_PKT2_PKiS7_S2_PS3_PiS9_.kd
    .uniform_work_group_size: 1
    .uses_dynamic_stack: false
    .vgpr_count:     28
    .vgpr_spill_count: 0
    .wavefront_size: 32
  - .args:
      - .offset:         0
        .size:           4
        .value_kind:     by_value
      - .offset:         4
        .size:           4
        .value_kind:     by_value
      - .offset:         8
        .size:           4
        .value_kind:     by_value
      - .offset:         12
        .size:           4
        .value_kind:     by_value
      - .offset:         16
        .size:           4
        .value_kind:     by_value
      - .offset:         20
        .size:           4
        .value_kind:     by_value
      - .offset:         24
        .size:           4
        .value_kind:     by_value
      - .offset:         28
        .size:           4
        .value_kind:     by_value
      - .actual_access:  read_only
        .address_space:  global
        .offset:         32
        .size:           8
        .value_kind:     global_buffer
      - .actual_access:  read_only
        .address_space:  global
        .offset:         40
        .size:           8
        .value_kind:     global_buffer
      - .actual_access:  read_only
        .address_space:  global
        .offset:         48
        .size:           8
        .value_kind:     global_buffer
      - .offset:         56
        .size:           4
        .value_kind:     by_value
      - .actual_access:  write_only
        .address_space:  global
        .offset:         64
        .size:           8
        .value_kind:     global_buffer
      - .actual_access:  read_only
        .address_space:  global
        .offset:         72
        .size:           8
        .value_kind:     global_buffer
      - .actual_access:  write_only
        .address_space:  global
        .offset:         80
        .size:           8
        .value_kind:     global_buffer
    .group_segment_fixed_size: 4100
    .kernarg_segment_align: 8
    .kernarg_segment_size: 88
    .language:       OpenCL C
    .language_version:
      - 2
      - 0
    .max_flat_workgroup_size: 256
    .name:           _ZN9rocsparseL40csr2gebsr_block_per_row_multipass_kernelILj256ELj64ELj16EfEEv20rocsparse_direction_iiiiii21rocsparse_index_base_PKT2_PKiS7_S2_PS3_PiS9_
    .private_segment_fixed_size: 0
    .sgpr_count:     38
    .sgpr_spill_count: 0
    .symbol:         _ZN9rocsparseL40csr2gebsr_block_per_row_multipass_kernelILj256ELj64ELj16EfEEv20rocsparse_direction_iiiiii21rocsparse_index_base_PKT2_PKiS7_S2_PS3_PiS9_.kd
    .uniform_work_group_size: 1
    .uses_dynamic_stack: false
    .vgpr_count:     32
    .vgpr_spill_count: 0
    .wavefront_size: 32
  - .args:
      - .offset:         0
        .size:           4
        .value_kind:     by_value
      - .offset:         4
        .size:           4
        .value_kind:     by_value
      - .offset:         8
        .size:           4
        .value_kind:     by_value
      - .offset:         12
        .size:           4
        .value_kind:     by_value
      - .offset:         16
        .size:           4
        .value_kind:     by_value
      - .offset:         20
        .size:           4
        .value_kind:     by_value
      - .offset:         24
        .size:           4
        .value_kind:     by_value
      - .offset:         28
        .size:           4
        .value_kind:     by_value
      - .actual_access:  read_only
        .address_space:  global
        .offset:         32
        .size:           8
        .value_kind:     global_buffer
      - .actual_access:  read_only
        .address_space:  global
        .offset:         40
        .size:           8
        .value_kind:     global_buffer
      - .actual_access:  read_only
        .address_space:  global
        .offset:         48
        .size:           8
        .value_kind:     global_buffer
      - .offset:         56
        .size:           4
        .value_kind:     by_value
      - .actual_access:  write_only
        .address_space:  global
        .offset:         64
        .size:           8
        .value_kind:     global_buffer
      - .actual_access:  read_only
        .address_space:  global
        .offset:         72
        .size:           8
        .value_kind:     global_buffer
      - .actual_access:  write_only
        .address_space:  global
        .offset:         80
        .size:           8
        .value_kind:     global_buffer
    .group_segment_fixed_size: 8196
    .kernarg_segment_align: 8
    .kernarg_segment_size: 88
    .language:       OpenCL C
    .language_version:
      - 2
      - 0
    .max_flat_workgroup_size: 256
    .name:           _ZN9rocsparseL40csr2gebsr_block_per_row_multipass_kernelILj256ELj64ELj32EfEEv20rocsparse_direction_iiiiii21rocsparse_index_base_PKT2_PKiS7_S2_PS3_PiS9_
    .private_segment_fixed_size: 0
    .sgpr_count:     42
    .sgpr_spill_count: 0
    .symbol:         _ZN9rocsparseL40csr2gebsr_block_per_row_multipass_kernelILj256ELj64ELj32EfEEv20rocsparse_direction_iiiiii21rocsparse_index_base_PKT2_PKiS7_S2_PS3_PiS9_.kd
    .uniform_work_group_size: 1
    .uses_dynamic_stack: false
    .vgpr_count:     40
    .vgpr_spill_count: 0
    .wavefront_size: 32
  - .args:
      - .offset:         0
        .size:           4
        .value_kind:     by_value
      - .offset:         4
        .size:           4
        .value_kind:     by_value
      - .offset:         8
        .size:           4
        .value_kind:     by_value
      - .offset:         12
        .size:           4
        .value_kind:     by_value
      - .offset:         16
        .size:           4
        .value_kind:     by_value
      - .offset:         20
        .size:           4
        .value_kind:     by_value
      - .offset:         24
        .size:           4
        .value_kind:     by_value
      - .offset:         28
        .size:           4
        .value_kind:     by_value
      - .actual_access:  read_only
        .address_space:  global
        .offset:         32
        .size:           8
        .value_kind:     global_buffer
      - .actual_access:  read_only
        .address_space:  global
        .offset:         40
        .size:           8
        .value_kind:     global_buffer
      - .actual_access:  read_only
        .address_space:  global
        .offset:         48
        .size:           8
        .value_kind:     global_buffer
      - .offset:         56
        .size:           4
        .value_kind:     by_value
      - .actual_access:  write_only
        .address_space:  global
        .offset:         64
        .size:           8
        .value_kind:     global_buffer
      - .actual_access:  read_only
        .address_space:  global
        .offset:         72
        .size:           8
        .value_kind:     global_buffer
      - .actual_access:  write_only
        .address_space:  global
        .offset:         80
        .size:           8
        .value_kind:     global_buffer
    .group_segment_fixed_size: 16388
    .kernarg_segment_align: 8
    .kernarg_segment_size: 88
    .language:       OpenCL C
    .language_version:
      - 2
      - 0
    .max_flat_workgroup_size: 256
    .name:           _ZN9rocsparseL40csr2gebsr_block_per_row_multipass_kernelILj256ELj64ELj64EfEEv20rocsparse_direction_iiiiii21rocsparse_index_base_PKT2_PKiS7_S2_PS3_PiS9_
    .private_segment_fixed_size: 0
    .sgpr_count:     50
    .sgpr_spill_count: 0
    .symbol:         _ZN9rocsparseL40csr2gebsr_block_per_row_multipass_kernelILj256ELj64ELj64EfEEv20rocsparse_direction_iiiiii21rocsparse_index_base_PKT2_PKiS7_S2_PS3_PiS9_.kd
    .uniform_work_group_size: 1
    .uses_dynamic_stack: false
    .vgpr_count:     56
    .vgpr_spill_count: 0
    .wavefront_size: 32
  - .args:
      - .offset:         0
        .size:           4
        .value_kind:     by_value
      - .offset:         4
        .size:           4
        .value_kind:     by_value
      - .offset:         8
        .size:           4
        .value_kind:     by_value
      - .offset:         12
        .size:           4
        .value_kind:     by_value
      - .offset:         16
        .size:           4
        .value_kind:     by_value
      - .offset:         20
        .size:           4
        .value_kind:     by_value
      - .offset:         24
        .size:           4
        .value_kind:     by_value
      - .offset:         28
        .size:           4
        .value_kind:     by_value
      - .offset:         32
        .size:           4
        .value_kind:     by_value
      - .actual_access:  read_only
        .address_space:  global
        .offset:         40
        .size:           8
        .value_kind:     global_buffer
      - .actual_access:  read_only
        .address_space:  global
        .offset:         48
        .size:           8
        .value_kind:     global_buffer
      - .actual_access:  read_only
        .address_space:  global
        .offset:         56
        .size:           8
        .value_kind:     global_buffer
      - .offset:         64
        .size:           4
        .value_kind:     by_value
      - .actual_access:  write_only
        .address_space:  global
        .offset:         72
        .size:           8
        .value_kind:     global_buffer
      - .actual_access:  read_only
        .address_space:  global
        .offset:         80
        .size:           8
        .value_kind:     global_buffer
      - .actual_access:  write_only
        .address_space:  global
        .offset:         88
        .size:           8
        .value_kind:     global_buffer
      - .address_space:  global
        .offset:         96
        .size:           8
        .value_kind:     global_buffer
      - .address_space:  global
        .offset:         104
        .size:           8
        .value_kind:     global_buffer
    .group_segment_fixed_size: 0
    .kernarg_segment_align: 8
    .kernarg_segment_size: 112
    .language:       OpenCL C
    .language_version:
      - 2
      - 0
    .max_flat_workgroup_size: 32
    .name:           _ZN9rocsparseL23csr2gebsr_65_inf_kernelILi32EfEEv20rocsparse_direction_iiiiiii21rocsparse_index_base_PKT0_PKiS7_S2_PS3_PiS9_S9_S8_
    .private_segment_fixed_size: 0
    .sgpr_count:     39
    .sgpr_spill_count: 0
    .symbol:         _ZN9rocsparseL23csr2gebsr_65_inf_kernelILi32EfEEv20rocsparse_direction_iiiiiii21rocsparse_index_base_PKT0_PKiS7_S2_PS3_PiS9_S9_S8_.kd
    .uniform_work_group_size: 1
    .uses_dynamic_stack: false
    .vgpr_count:     36
    .vgpr_spill_count: 0
    .wavefront_size: 32
  - .args:
      - .offset:         0
        .size:           4
        .value_kind:     by_value
      - .offset:         4
        .size:           4
        .value_kind:     by_value
      - .offset:         8
        .size:           4
        .value_kind:     by_value
      - .offset:         12
        .size:           4
        .value_kind:     by_value
      - .offset:         16
        .size:           4
        .value_kind:     by_value
      - .address_space:  global
        .offset:         24
        .size:           8
        .value_kind:     global_buffer
      - .address_space:  global
        .offset:         32
        .size:           8
        .value_kind:     global_buffer
      - .address_space:  global
        .offset:         40
        .size:           8
        .value_kind:     global_buffer
      - .offset:         48
        .size:           4
        .value_kind:     by_value
      - .offset:         52
        .size:           4
        .value_kind:     by_value
      - .address_space:  global
        .offset:         56
        .size:           8
        .value_kind:     global_buffer
      - .address_space:  global
        .offset:         64
        .size:           8
        .value_kind:     global_buffer
      - .address_space:  global
        .offset:         72
        .size:           8
        .value_kind:     global_buffer
      - .offset:         80
        .size:           4
        .value_kind:     by_value
      - .offset:         84
        .size:           4
        .value_kind:     by_value
    .group_segment_fixed_size: 0
    .kernarg_segment_align: 8
    .kernarg_segment_size: 88
    .language:       OpenCL C
    .language_version:
      - 2
      - 0
    .max_flat_workgroup_size: 256
    .name:           _ZN9rocsparseL20csr2gebsr_kernel_bm1ILi256EdEEviiii21rocsparse_index_base_PKT0_PKiS6_20rocsparse_direction_S1_PS2_S6_Piii
    .private_segment_fixed_size: 0
    .sgpr_count:     22
    .sgpr_spill_count: 0
    .symbol:         _ZN9rocsparseL20csr2gebsr_kernel_bm1ILi256EdEEviiii21rocsparse_index_base_PKT0_PKiS6_20rocsparse_direction_S1_PS2_S6_Piii.kd
    .uniform_work_group_size: 1
    .uses_dynamic_stack: false
    .vgpr_count:     22
    .vgpr_spill_count: 0
    .wavefront_size: 32
  - .args:
      - .offset:         0
        .size:           4
        .value_kind:     by_value
      - .offset:         4
        .size:           4
        .value_kind:     by_value
      - .offset:         8
        .size:           4
        .value_kind:     by_value
      - .offset:         12
        .size:           4
        .value_kind:     by_value
      - .offset:         16
        .size:           4
        .value_kind:     by_value
      - .offset:         20
        .size:           4
        .value_kind:     by_value
      - .offset:         24
        .size:           4
        .value_kind:     by_value
      - .offset:         28
        .size:           4
        .value_kind:     by_value
      - .actual_access:  read_only
        .address_space:  global
        .offset:         32
        .size:           8
        .value_kind:     global_buffer
      - .actual_access:  read_only
        .address_space:  global
        .offset:         40
        .size:           8
        .value_kind:     global_buffer
      - .actual_access:  read_only
        .address_space:  global
        .offset:         48
        .size:           8
        .value_kind:     global_buffer
      - .offset:         56
        .size:           4
        .value_kind:     by_value
      - .actual_access:  write_only
        .address_space:  global
        .offset:         64
        .size:           8
        .value_kind:     global_buffer
      - .actual_access:  read_only
        .address_space:  global
        .offset:         72
        .size:           8
        .value_kind:     global_buffer
      - .actual_access:  write_only
        .address_space:  global
        .offset:         80
        .size:           8
        .value_kind:     global_buffer
    .group_segment_fixed_size: 2112
    .kernarg_segment_align: 8
    .kernarg_segment_size: 88
    .language:       OpenCL C
    .language_version:
      - 2
      - 0
    .max_flat_workgroup_size: 256
    .name:           _ZN9rocsparseL44csr2gebsr_wavefront_per_row_multipass_kernelILi256ELi2ELi2ELi4EdEEv20rocsparse_direction_iiiiii21rocsparse_index_base_PKT3_PKiS7_S2_PS3_PiS9_
    .private_segment_fixed_size: 0
    .sgpr_count:     25
    .sgpr_spill_count: 0
    .symbol:         _ZN9rocsparseL44csr2gebsr_wavefront_per_row_multipass_kernelILi256ELi2ELi2ELi4EdEEv20rocsparse_direction_iiiiii21rocsparse_index_base_PKT3_PKiS7_S2_PS3_PiS9_.kd
    .uniform_work_group_size: 1
    .uses_dynamic_stack: false
    .vgpr_count:     33
    .vgpr_spill_count: 0
    .wavefront_size: 32
  - .args:
      - .offset:         0
        .size:           4
        .value_kind:     by_value
      - .offset:         4
        .size:           4
        .value_kind:     by_value
      - .offset:         8
        .size:           4
        .value_kind:     by_value
      - .offset:         12
        .size:           4
        .value_kind:     by_value
      - .offset:         16
        .size:           4
        .value_kind:     by_value
      - .offset:         20
        .size:           4
        .value_kind:     by_value
      - .offset:         24
        .size:           4
        .value_kind:     by_value
      - .offset:         28
        .size:           4
        .value_kind:     by_value
      - .actual_access:  read_only
        .address_space:  global
        .offset:         32
        .size:           8
        .value_kind:     global_buffer
      - .actual_access:  read_only
        .address_space:  global
        .offset:         40
        .size:           8
        .value_kind:     global_buffer
      - .actual_access:  read_only
        .address_space:  global
        .offset:         48
        .size:           8
        .value_kind:     global_buffer
      - .offset:         56
        .size:           4
        .value_kind:     by_value
      - .actual_access:  write_only
        .address_space:  global
        .offset:         64
        .size:           8
        .value_kind:     global_buffer
      - .actual_access:  read_only
        .address_space:  global
        .offset:         72
        .size:           8
        .value_kind:     global_buffer
      - .actual_access:  write_only
        .address_space:  global
        .offset:         80
        .size:           8
        .value_kind:     global_buffer
    .group_segment_fixed_size: 2080
    .kernarg_segment_align: 8
    .kernarg_segment_size: 88
    .language:       OpenCL C
    .language_version:
      - 2
      - 0
    .max_flat_workgroup_size: 256
    .name:           _ZN9rocsparseL44csr2gebsr_wavefront_per_row_multipass_kernelILi256ELi2ELi4ELi8EdEEv20rocsparse_direction_iiiiii21rocsparse_index_base_PKT3_PKiS7_S2_PS3_PiS9_
    .private_segment_fixed_size: 0
    .sgpr_count:     25
    .sgpr_spill_count: 0
    .symbol:         _ZN9rocsparseL44csr2gebsr_wavefront_per_row_multipass_kernelILi256ELi2ELi4ELi8EdEEv20rocsparse_direction_iiiiii21rocsparse_index_base_PKT3_PKiS7_S2_PS3_PiS9_.kd
    .uniform_work_group_size: 1
    .uses_dynamic_stack: false
    .vgpr_count:     34
    .vgpr_spill_count: 0
    .wavefront_size: 32
  - .args:
      - .offset:         0
        .size:           4
        .value_kind:     by_value
      - .offset:         4
        .size:           4
        .value_kind:     by_value
      - .offset:         8
        .size:           4
        .value_kind:     by_value
      - .offset:         12
        .size:           4
        .value_kind:     by_value
      - .offset:         16
        .size:           4
        .value_kind:     by_value
      - .offset:         20
        .size:           4
        .value_kind:     by_value
      - .offset:         24
        .size:           4
        .value_kind:     by_value
      - .offset:         28
        .size:           4
        .value_kind:     by_value
      - .actual_access:  read_only
        .address_space:  global
        .offset:         32
        .size:           8
        .value_kind:     global_buffer
      - .actual_access:  read_only
        .address_space:  global
        .offset:         40
        .size:           8
        .value_kind:     global_buffer
      - .actual_access:  read_only
        .address_space:  global
        .offset:         48
        .size:           8
        .value_kind:     global_buffer
      - .offset:         56
        .size:           4
        .value_kind:     by_value
      - .actual_access:  write_only
        .address_space:  global
        .offset:         64
        .size:           8
        .value_kind:     global_buffer
      - .actual_access:  read_only
        .address_space:  global
        .offset:         72
        .size:           8
        .value_kind:     global_buffer
      - .actual_access:  write_only
        .address_space:  global
        .offset:         80
        .size:           8
        .value_kind:     global_buffer
    .group_segment_fixed_size: 2064
    .kernarg_segment_align: 8
    .kernarg_segment_size: 88
    .language:       OpenCL C
    .language_version:
      - 2
      - 0
    .max_flat_workgroup_size: 256
    .name:           _ZN9rocsparseL44csr2gebsr_wavefront_per_row_multipass_kernelILi256ELi2ELi8ELi16EdEEv20rocsparse_direction_iiiiii21rocsparse_index_base_PKT3_PKiS7_S2_PS3_PiS9_
    .private_segment_fixed_size: 0
    .sgpr_count:     25
    .sgpr_spill_count: 0
    .symbol:         _ZN9rocsparseL44csr2gebsr_wavefront_per_row_multipass_kernelILi256ELi2ELi8ELi16EdEEv20rocsparse_direction_iiiiii21rocsparse_index_base_PKT3_PKiS7_S2_PS3_PiS9_.kd
    .uniform_work_group_size: 1
    .uses_dynamic_stack: false
    .vgpr_count:     35
    .vgpr_spill_count: 0
    .wavefront_size: 32
  - .args:
      - .offset:         0
        .size:           4
        .value_kind:     by_value
      - .offset:         4
        .size:           4
        .value_kind:     by_value
      - .offset:         8
        .size:           4
        .value_kind:     by_value
      - .offset:         12
        .size:           4
        .value_kind:     by_value
      - .offset:         16
        .size:           4
        .value_kind:     by_value
      - .offset:         20
        .size:           4
        .value_kind:     by_value
      - .offset:         24
        .size:           4
        .value_kind:     by_value
      - .offset:         28
        .size:           4
        .value_kind:     by_value
      - .actual_access:  read_only
        .address_space:  global
        .offset:         32
        .size:           8
        .value_kind:     global_buffer
      - .actual_access:  read_only
        .address_space:  global
        .offset:         40
        .size:           8
        .value_kind:     global_buffer
      - .actual_access:  read_only
        .address_space:  global
        .offset:         48
        .size:           8
        .value_kind:     global_buffer
      - .offset:         56
        .size:           4
        .value_kind:     by_value
      - .actual_access:  write_only
        .address_space:  global
        .offset:         64
        .size:           8
        .value_kind:     global_buffer
      - .actual_access:  read_only
        .address_space:  global
        .offset:         72
        .size:           8
        .value_kind:     global_buffer
      - .actual_access:  write_only
        .address_space:  global
        .offset:         80
        .size:           8
        .value_kind:     global_buffer
    .group_segment_fixed_size: 2056
    .kernarg_segment_align: 8
    .kernarg_segment_size: 88
    .language:       OpenCL C
    .language_version:
      - 2
      - 0
    .max_flat_workgroup_size: 256
    .name:           _ZN9rocsparseL44csr2gebsr_wavefront_per_row_multipass_kernelILi256ELi2ELi16ELi32EdEEv20rocsparse_direction_iiiiii21rocsparse_index_base_PKT3_PKiS7_S2_PS3_PiS9_
    .private_segment_fixed_size: 0
    .sgpr_count:     25
    .sgpr_spill_count: 0
    .symbol:         _ZN9rocsparseL44csr2gebsr_wavefront_per_row_multipass_kernelILi256ELi2ELi16ELi32EdEEv20rocsparse_direction_iiiiii21rocsparse_index_base_PKT3_PKiS7_S2_PS3_PiS9_.kd
    .uniform_work_group_size: 1
    .uses_dynamic_stack: false
    .vgpr_count:     36
    .vgpr_spill_count: 0
    .wavefront_size: 32
  - .args:
      - .offset:         0
        .size:           4
        .value_kind:     by_value
      - .offset:         4
        .size:           4
        .value_kind:     by_value
      - .offset:         8
        .size:           4
        .value_kind:     by_value
      - .offset:         12
        .size:           4
        .value_kind:     by_value
      - .offset:         16
        .size:           4
        .value_kind:     by_value
      - .offset:         20
        .size:           4
        .value_kind:     by_value
      - .offset:         24
        .size:           4
        .value_kind:     by_value
      - .offset:         28
        .size:           4
        .value_kind:     by_value
      - .actual_access:  read_only
        .address_space:  global
        .offset:         32
        .size:           8
        .value_kind:     global_buffer
      - .actual_access:  read_only
        .address_space:  global
        .offset:         40
        .size:           8
        .value_kind:     global_buffer
      - .actual_access:  read_only
        .address_space:  global
        .offset:         48
        .size:           8
        .value_kind:     global_buffer
      - .offset:         56
        .size:           4
        .value_kind:     by_value
      - .actual_access:  write_only
        .address_space:  global
        .offset:         64
        .size:           8
        .value_kind:     global_buffer
      - .actual_access:  read_only
        .address_space:  global
        .offset:         72
        .size:           8
        .value_kind:     global_buffer
      - .actual_access:  write_only
        .address_space:  global
        .offset:         80
        .size:           8
        .value_kind:     global_buffer
    .group_segment_fixed_size: 2056
    .kernarg_segment_align: 8
    .kernarg_segment_size: 88
    .language:       OpenCL C
    .language_version:
      - 2
      - 0
    .max_flat_workgroup_size: 256
    .name:           _ZN9rocsparseL44csr2gebsr_wavefront_per_row_multipass_kernelILi256ELi2ELi32ELi64EdEEv20rocsparse_direction_iiiiii21rocsparse_index_base_PKT3_PKiS7_S2_PS3_PiS9_
    .private_segment_fixed_size: 0
    .sgpr_count:     25
    .sgpr_spill_count: 0
    .symbol:         _ZN9rocsparseL44csr2gebsr_wavefront_per_row_multipass_kernelILi256ELi2ELi32ELi64EdEEv20rocsparse_direction_iiiiii21rocsparse_index_base_PKT3_PKiS7_S2_PS3_PiS9_.kd
    .uniform_work_group_size: 1
    .uses_dynamic_stack: false
    .vgpr_count:     37
    .vgpr_spill_count: 0
    .wavefront_size: 32
  - .args:
      - .offset:         0
        .size:           4
        .value_kind:     by_value
      - .offset:         4
        .size:           4
        .value_kind:     by_value
      - .offset:         8
        .size:           4
        .value_kind:     by_value
      - .offset:         12
        .size:           4
        .value_kind:     by_value
      - .offset:         16
        .size:           4
        .value_kind:     by_value
      - .offset:         20
        .size:           4
        .value_kind:     by_value
      - .offset:         24
        .size:           4
        .value_kind:     by_value
      - .offset:         28
        .size:           4
        .value_kind:     by_value
      - .actual_access:  read_only
        .address_space:  global
        .offset:         32
        .size:           8
        .value_kind:     global_buffer
      - .actual_access:  read_only
        .address_space:  global
        .offset:         40
        .size:           8
        .value_kind:     global_buffer
      - .actual_access:  read_only
        .address_space:  global
        .offset:         48
        .size:           8
        .value_kind:     global_buffer
      - .offset:         56
        .size:           4
        .value_kind:     by_value
      - .actual_access:  write_only
        .address_space:  global
        .offset:         64
        .size:           8
        .value_kind:     global_buffer
      - .actual_access:  read_only
        .address_space:  global
        .offset:         72
        .size:           8
        .value_kind:     global_buffer
      - .actual_access:  write_only
        .address_space:  global
        .offset:         80
        .size:           8
        .value_kind:     global_buffer
    .group_segment_fixed_size: 4104
    .kernarg_segment_align: 8
    .kernarg_segment_size: 88
    .language:       OpenCL C
    .language_version:
      - 2
      - 0
    .max_flat_workgroup_size: 256
    .name:           _ZN9rocsparseL44csr2gebsr_wavefront_per_row_multipass_kernelILi256ELi2ELi32ELi32EdEEv20rocsparse_direction_iiiiii21rocsparse_index_base_PKT3_PKiS7_S2_PS3_PiS9_
    .private_segment_fixed_size: 0
    .sgpr_count:     26
    .sgpr_spill_count: 0
    .symbol:         _ZN9rocsparseL44csr2gebsr_wavefront_per_row_multipass_kernelILi256ELi2ELi32ELi32EdEEv20rocsparse_direction_iiiiii21rocsparse_index_base_PKT3_PKiS7_S2_PS3_PiS9_.kd
    .uniform_work_group_size: 1
    .uses_dynamic_stack: false
    .vgpr_count:     40
    .vgpr_spill_count: 0
    .wavefront_size: 32
  - .args:
      - .offset:         0
        .size:           4
        .value_kind:     by_value
      - .offset:         4
        .size:           4
        .value_kind:     by_value
      - .offset:         8
        .size:           4
        .value_kind:     by_value
      - .offset:         12
        .size:           4
        .value_kind:     by_value
      - .offset:         16
        .size:           4
        .value_kind:     by_value
      - .offset:         20
        .size:           4
        .value_kind:     by_value
      - .offset:         24
        .size:           4
        .value_kind:     by_value
      - .offset:         28
        .size:           4
        .value_kind:     by_value
      - .actual_access:  read_only
        .address_space:  global
        .offset:         32
        .size:           8
        .value_kind:     global_buffer
      - .actual_access:  read_only
        .address_space:  global
        .offset:         40
        .size:           8
        .value_kind:     global_buffer
      - .actual_access:  read_only
        .address_space:  global
        .offset:         48
        .size:           8
        .value_kind:     global_buffer
      - .offset:         56
        .size:           4
        .value_kind:     by_value
      - .actual_access:  write_only
        .address_space:  global
        .offset:         64
        .size:           8
        .value_kind:     global_buffer
      - .actual_access:  read_only
        .address_space:  global
        .offset:         72
        .size:           8
        .value_kind:     global_buffer
      - .actual_access:  write_only
        .address_space:  global
        .offset:         80
        .size:           8
        .value_kind:     global_buffer
    .group_segment_fixed_size: 4104
    .kernarg_segment_align: 8
    .kernarg_segment_size: 88
    .language:       OpenCL C
    .language_version:
      - 2
      - 0
    .max_flat_workgroup_size: 256
    .name:           _ZN9rocsparseL44csr2gebsr_wavefront_per_row_multipass_kernelILi256ELi2ELi64ELi64EdEEv20rocsparse_direction_iiiiii21rocsparse_index_base_PKT3_PKiS7_S2_PS3_PiS9_
    .private_segment_fixed_size: 0
    .sgpr_count:     26
    .sgpr_spill_count: 0
    .symbol:         _ZN9rocsparseL44csr2gebsr_wavefront_per_row_multipass_kernelILi256ELi2ELi64ELi64EdEEv20rocsparse_direction_iiiiii21rocsparse_index_base_PKT3_PKiS7_S2_PS3_PiS9_.kd
    .uniform_work_group_size: 1
    .uses_dynamic_stack: false
    .vgpr_count:     41
    .vgpr_spill_count: 0
    .wavefront_size: 32
  - .args:
      - .offset:         0
        .size:           4
        .value_kind:     by_value
      - .offset:         4
        .size:           4
        .value_kind:     by_value
      - .offset:         8
        .size:           4
        .value_kind:     by_value
      - .offset:         12
        .size:           4
        .value_kind:     by_value
      - .offset:         16
        .size:           4
        .value_kind:     by_value
      - .offset:         20
        .size:           4
        .value_kind:     by_value
      - .offset:         24
        .size:           4
        .value_kind:     by_value
      - .offset:         28
        .size:           4
        .value_kind:     by_value
      - .actual_access:  read_only
        .address_space:  global
        .offset:         32
        .size:           8
        .value_kind:     global_buffer
      - .actual_access:  read_only
        .address_space:  global
        .offset:         40
        .size:           8
        .value_kind:     global_buffer
      - .actual_access:  read_only
        .address_space:  global
        .offset:         48
        .size:           8
        .value_kind:     global_buffer
      - .offset:         56
        .size:           4
        .value_kind:     by_value
      - .actual_access:  write_only
        .address_space:  global
        .offset:         64
        .size:           8
        .value_kind:     global_buffer
      - .actual_access:  read_only
        .address_space:  global
        .offset:         72
        .size:           8
        .value_kind:     global_buffer
      - .actual_access:  write_only
        .address_space:  global
        .offset:         80
        .size:           8
        .value_kind:     global_buffer
    .group_segment_fixed_size: 8200
    .kernarg_segment_align: 8
    .kernarg_segment_size: 88
    .language:       OpenCL C
    .language_version:
      - 2
      - 0
    .max_flat_workgroup_size: 256
    .name:           _ZN9rocsparseL44csr2gebsr_wavefront_per_row_multipass_kernelILi256ELi2ELi64ELi32EdEEv20rocsparse_direction_iiiiii21rocsparse_index_base_PKT3_PKiS7_S2_PS3_PiS9_
    .private_segment_fixed_size: 0
    .sgpr_count:     28
    .sgpr_spill_count: 0
    .symbol:         _ZN9rocsparseL44csr2gebsr_wavefront_per_row_multipass_kernelILi256ELi2ELi64ELi32EdEEv20rocsparse_direction_iiiiii21rocsparse_index_base_PKT3_PKiS7_S2_PS3_PiS9_.kd
    .uniform_work_group_size: 1
    .uses_dynamic_stack: false
    .vgpr_count:     44
    .vgpr_spill_count: 0
    .wavefront_size: 32
  - .args:
      - .offset:         0
        .size:           4
        .value_kind:     by_value
      - .offset:         4
        .size:           4
        .value_kind:     by_value
      - .offset:         8
        .size:           4
        .value_kind:     by_value
      - .offset:         12
        .size:           4
        .value_kind:     by_value
      - .offset:         16
        .size:           4
        .value_kind:     by_value
      - .offset:         20
        .size:           4
        .value_kind:     by_value
      - .offset:         24
        .size:           4
        .value_kind:     by_value
      - .offset:         28
        .size:           4
        .value_kind:     by_value
      - .actual_access:  read_only
        .address_space:  global
        .offset:         32
        .size:           8
        .value_kind:     global_buffer
      - .actual_access:  read_only
        .address_space:  global
        .offset:         40
        .size:           8
        .value_kind:     global_buffer
      - .actual_access:  read_only
        .address_space:  global
        .offset:         48
        .size:           8
        .value_kind:     global_buffer
      - .offset:         56
        .size:           4
        .value_kind:     by_value
      - .actual_access:  write_only
        .address_space:  global
        .offset:         64
        .size:           8
        .value_kind:     global_buffer
      - .actual_access:  read_only
        .address_space:  global
        .offset:         72
        .size:           8
        .value_kind:     global_buffer
      - .actual_access:  write_only
        .address_space:  global
        .offset:         80
        .size:           8
        .value_kind:     global_buffer
    .group_segment_fixed_size: 2080
    .kernarg_segment_align: 8
    .kernarg_segment_size: 88
    .language:       OpenCL C
    .language_version:
      - 2
      - 0
    .max_flat_workgroup_size: 256
    .name:           _ZN9rocsparseL44csr2gebsr_wavefront_per_row_multipass_kernelILi256ELi4ELi2ELi8EdEEv20rocsparse_direction_iiiiii21rocsparse_index_base_PKT3_PKiS7_S2_PS3_PiS9_
    .private_segment_fixed_size: 0
    .sgpr_count:     25
    .sgpr_spill_count: 0
    .symbol:         _ZN9rocsparseL44csr2gebsr_wavefront_per_row_multipass_kernelILi256ELi4ELi2ELi8EdEEv20rocsparse_direction_iiiiii21rocsparse_index_base_PKT3_PKiS7_S2_PS3_PiS9_.kd
    .uniform_work_group_size: 1
    .uses_dynamic_stack: false
    .vgpr_count:     34
    .vgpr_spill_count: 0
    .wavefront_size: 32
  - .args:
      - .offset:         0
        .size:           4
        .value_kind:     by_value
      - .offset:         4
        .size:           4
        .value_kind:     by_value
      - .offset:         8
        .size:           4
        .value_kind:     by_value
      - .offset:         12
        .size:           4
        .value_kind:     by_value
      - .offset:         16
        .size:           4
        .value_kind:     by_value
      - .offset:         20
        .size:           4
        .value_kind:     by_value
      - .offset:         24
        .size:           4
        .value_kind:     by_value
      - .offset:         28
        .size:           4
        .value_kind:     by_value
      - .actual_access:  read_only
        .address_space:  global
        .offset:         32
        .size:           8
        .value_kind:     global_buffer
      - .actual_access:  read_only
        .address_space:  global
        .offset:         40
        .size:           8
        .value_kind:     global_buffer
      - .actual_access:  read_only
        .address_space:  global
        .offset:         48
        .size:           8
        .value_kind:     global_buffer
      - .offset:         56
        .size:           4
        .value_kind:     by_value
      - .actual_access:  write_only
        .address_space:  global
        .offset:         64
        .size:           8
        .value_kind:     global_buffer
      - .actual_access:  read_only
        .address_space:  global
        .offset:         72
        .size:           8
        .value_kind:     global_buffer
      - .actual_access:  write_only
        .address_space:  global
        .offset:         80
        .size:           8
        .value_kind:     global_buffer
    .group_segment_fixed_size: 2064
    .kernarg_segment_align: 8
    .kernarg_segment_size: 88
    .language:       OpenCL C
    .language_version:
      - 2
      - 0
    .max_flat_workgroup_size: 256
    .name:           _ZN9rocsparseL44csr2gebsr_wavefront_per_row_multipass_kernelILi256ELi4ELi4ELi16EdEEv20rocsparse_direction_iiiiii21rocsparse_index_base_PKT3_PKiS7_S2_PS3_PiS9_
    .private_segment_fixed_size: 0
    .sgpr_count:     25
    .sgpr_spill_count: 0
    .symbol:         _ZN9rocsparseL44csr2gebsr_wavefront_per_row_multipass_kernelILi256ELi4ELi4ELi16EdEEv20rocsparse_direction_iiiiii21rocsparse_index_base_PKT3_PKiS7_S2_PS3_PiS9_.kd
    .uniform_work_group_size: 1
    .uses_dynamic_stack: false
    .vgpr_count:     35
    .vgpr_spill_count: 0
    .wavefront_size: 32
  - .args:
      - .offset:         0
        .size:           4
        .value_kind:     by_value
      - .offset:         4
        .size:           4
        .value_kind:     by_value
      - .offset:         8
        .size:           4
        .value_kind:     by_value
      - .offset:         12
        .size:           4
        .value_kind:     by_value
      - .offset:         16
        .size:           4
        .value_kind:     by_value
      - .offset:         20
        .size:           4
        .value_kind:     by_value
      - .offset:         24
        .size:           4
        .value_kind:     by_value
      - .offset:         28
        .size:           4
        .value_kind:     by_value
      - .actual_access:  read_only
        .address_space:  global
        .offset:         32
        .size:           8
        .value_kind:     global_buffer
      - .actual_access:  read_only
        .address_space:  global
        .offset:         40
        .size:           8
        .value_kind:     global_buffer
      - .actual_access:  read_only
        .address_space:  global
        .offset:         48
        .size:           8
        .value_kind:     global_buffer
      - .offset:         56
        .size:           4
        .value_kind:     by_value
      - .actual_access:  write_only
        .address_space:  global
        .offset:         64
        .size:           8
        .value_kind:     global_buffer
      - .actual_access:  read_only
        .address_space:  global
        .offset:         72
        .size:           8
        .value_kind:     global_buffer
      - .actual_access:  write_only
        .address_space:  global
        .offset:         80
        .size:           8
        .value_kind:     global_buffer
    .group_segment_fixed_size: 2056
    .kernarg_segment_align: 8
    .kernarg_segment_size: 88
    .language:       OpenCL C
    .language_version:
      - 2
      - 0
    .max_flat_workgroup_size: 256
    .name:           _ZN9rocsparseL44csr2gebsr_wavefront_per_row_multipass_kernelILi256ELi4ELi8ELi32EdEEv20rocsparse_direction_iiiiii21rocsparse_index_base_PKT3_PKiS7_S2_PS3_PiS9_
    .private_segment_fixed_size: 0
    .sgpr_count:     25
    .sgpr_spill_count: 0
    .symbol:         _ZN9rocsparseL44csr2gebsr_wavefront_per_row_multipass_kernelILi256ELi4ELi8ELi32EdEEv20rocsparse_direction_iiiiii21rocsparse_index_base_PKT3_PKiS7_S2_PS3_PiS9_.kd
    .uniform_work_group_size: 1
    .uses_dynamic_stack: false
    .vgpr_count:     36
    .vgpr_spill_count: 0
    .wavefront_size: 32
  - .args:
      - .offset:         0
        .size:           4
        .value_kind:     by_value
      - .offset:         4
        .size:           4
        .value_kind:     by_value
      - .offset:         8
        .size:           4
        .value_kind:     by_value
      - .offset:         12
        .size:           4
        .value_kind:     by_value
      - .offset:         16
        .size:           4
        .value_kind:     by_value
      - .offset:         20
        .size:           4
        .value_kind:     by_value
      - .offset:         24
        .size:           4
        .value_kind:     by_value
      - .offset:         28
        .size:           4
        .value_kind:     by_value
      - .actual_access:  read_only
        .address_space:  global
        .offset:         32
        .size:           8
        .value_kind:     global_buffer
      - .actual_access:  read_only
        .address_space:  global
        .offset:         40
        .size:           8
        .value_kind:     global_buffer
      - .actual_access:  read_only
        .address_space:  global
        .offset:         48
        .size:           8
        .value_kind:     global_buffer
      - .offset:         56
        .size:           4
        .value_kind:     by_value
      - .actual_access:  write_only
        .address_space:  global
        .offset:         64
        .size:           8
        .value_kind:     global_buffer
      - .actual_access:  read_only
        .address_space:  global
        .offset:         72
        .size:           8
        .value_kind:     global_buffer
      - .actual_access:  write_only
        .address_space:  global
        .offset:         80
        .size:           8
        .value_kind:     global_buffer
    .group_segment_fixed_size: 2056
    .kernarg_segment_align: 8
    .kernarg_segment_size: 88
    .language:       OpenCL C
    .language_version:
      - 2
      - 0
    .max_flat_workgroup_size: 256
    .name:           _ZN9rocsparseL44csr2gebsr_wavefront_per_row_multipass_kernelILi256ELi4ELi16ELi64EdEEv20rocsparse_direction_iiiiii21rocsparse_index_base_PKT3_PKiS7_S2_PS3_PiS9_
    .private_segment_fixed_size: 0
    .sgpr_count:     25
    .sgpr_spill_count: 0
    .symbol:         _ZN9rocsparseL44csr2gebsr_wavefront_per_row_multipass_kernelILi256ELi4ELi16ELi64EdEEv20rocsparse_direction_iiiiii21rocsparse_index_base_PKT3_PKiS7_S2_PS3_PiS9_.kd
    .uniform_work_group_size: 1
    .uses_dynamic_stack: false
    .vgpr_count:     37
    .vgpr_spill_count: 0
    .wavefront_size: 32
  - .args:
      - .offset:         0
        .size:           4
        .value_kind:     by_value
      - .offset:         4
        .size:           4
        .value_kind:     by_value
      - .offset:         8
        .size:           4
        .value_kind:     by_value
      - .offset:         12
        .size:           4
        .value_kind:     by_value
      - .offset:         16
        .size:           4
        .value_kind:     by_value
      - .offset:         20
        .size:           4
        .value_kind:     by_value
      - .offset:         24
        .size:           4
        .value_kind:     by_value
      - .offset:         28
        .size:           4
        .value_kind:     by_value
      - .actual_access:  read_only
        .address_space:  global
        .offset:         32
        .size:           8
        .value_kind:     global_buffer
      - .actual_access:  read_only
        .address_space:  global
        .offset:         40
        .size:           8
        .value_kind:     global_buffer
      - .actual_access:  read_only
        .address_space:  global
        .offset:         48
        .size:           8
        .value_kind:     global_buffer
      - .offset:         56
        .size:           4
        .value_kind:     by_value
      - .actual_access:  write_only
        .address_space:  global
        .offset:         64
        .size:           8
        .value_kind:     global_buffer
      - .actual_access:  read_only
        .address_space:  global
        .offset:         72
        .size:           8
        .value_kind:     global_buffer
      - .actual_access:  write_only
        .address_space:  global
        .offset:         80
        .size:           8
        .value_kind:     global_buffer
    .group_segment_fixed_size: 4104
    .kernarg_segment_align: 8
    .kernarg_segment_size: 88
    .language:       OpenCL C
    .language_version:
      - 2
      - 0
    .max_flat_workgroup_size: 256
    .name:           _ZN9rocsparseL44csr2gebsr_wavefront_per_row_multipass_kernelILi256ELi4ELi16ELi32EdEEv20rocsparse_direction_iiiiii21rocsparse_index_base_PKT3_PKiS7_S2_PS3_PiS9_
    .private_segment_fixed_size: 0
    .sgpr_count:     26
    .sgpr_spill_count: 0
    .symbol:         _ZN9rocsparseL44csr2gebsr_wavefront_per_row_multipass_kernelILi256ELi4ELi16ELi32EdEEv20rocsparse_direction_iiiiii21rocsparse_index_base_PKT3_PKiS7_S2_PS3_PiS9_.kd
    .uniform_work_group_size: 1
    .uses_dynamic_stack: false
    .vgpr_count:     40
    .vgpr_spill_count: 0
    .wavefront_size: 32
  - .args:
      - .offset:         0
        .size:           4
        .value_kind:     by_value
      - .offset:         4
        .size:           4
        .value_kind:     by_value
      - .offset:         8
        .size:           4
        .value_kind:     by_value
      - .offset:         12
        .size:           4
        .value_kind:     by_value
      - .offset:         16
        .size:           4
        .value_kind:     by_value
      - .offset:         20
        .size:           4
        .value_kind:     by_value
      - .offset:         24
        .size:           4
        .value_kind:     by_value
      - .offset:         28
        .size:           4
        .value_kind:     by_value
      - .actual_access:  read_only
        .address_space:  global
        .offset:         32
        .size:           8
        .value_kind:     global_buffer
      - .actual_access:  read_only
        .address_space:  global
        .offset:         40
        .size:           8
        .value_kind:     global_buffer
      - .actual_access:  read_only
        .address_space:  global
        .offset:         48
        .size:           8
        .value_kind:     global_buffer
      - .offset:         56
        .size:           4
        .value_kind:     by_value
      - .actual_access:  write_only
        .address_space:  global
        .offset:         64
        .size:           8
        .value_kind:     global_buffer
      - .actual_access:  read_only
        .address_space:  global
        .offset:         72
        .size:           8
        .value_kind:     global_buffer
      - .actual_access:  write_only
        .address_space:  global
        .offset:         80
        .size:           8
        .value_kind:     global_buffer
    .group_segment_fixed_size: 4104
    .kernarg_segment_align: 8
    .kernarg_segment_size: 88
    .language:       OpenCL C
    .language_version:
      - 2
      - 0
    .max_flat_workgroup_size: 256
    .name:           _ZN9rocsparseL44csr2gebsr_wavefront_per_row_multipass_kernelILi256ELi4ELi32ELi64EdEEv20rocsparse_direction_iiiiii21rocsparse_index_base_PKT3_PKiS7_S2_PS3_PiS9_
    .private_segment_fixed_size: 0
    .sgpr_count:     26
    .sgpr_spill_count: 0
    .symbol:         _ZN9rocsparseL44csr2gebsr_wavefront_per_row_multipass_kernelILi256ELi4ELi32ELi64EdEEv20rocsparse_direction_iiiiii21rocsparse_index_base_PKT3_PKiS7_S2_PS3_PiS9_.kd
    .uniform_work_group_size: 1
    .uses_dynamic_stack: false
    .vgpr_count:     41
    .vgpr_spill_count: 0
    .wavefront_size: 32
  - .args:
      - .offset:         0
        .size:           4
        .value_kind:     by_value
      - .offset:         4
        .size:           4
        .value_kind:     by_value
      - .offset:         8
        .size:           4
        .value_kind:     by_value
      - .offset:         12
        .size:           4
        .value_kind:     by_value
      - .offset:         16
        .size:           4
        .value_kind:     by_value
      - .offset:         20
        .size:           4
        .value_kind:     by_value
      - .offset:         24
        .size:           4
        .value_kind:     by_value
      - .offset:         28
        .size:           4
        .value_kind:     by_value
      - .actual_access:  read_only
        .address_space:  global
        .offset:         32
        .size:           8
        .value_kind:     global_buffer
      - .actual_access:  read_only
        .address_space:  global
        .offset:         40
        .size:           8
        .value_kind:     global_buffer
      - .actual_access:  read_only
        .address_space:  global
        .offset:         48
        .size:           8
        .value_kind:     global_buffer
      - .offset:         56
        .size:           4
        .value_kind:     by_value
      - .actual_access:  write_only
        .address_space:  global
        .offset:         64
        .size:           8
        .value_kind:     global_buffer
      - .actual_access:  read_only
        .address_space:  global
        .offset:         72
        .size:           8
        .value_kind:     global_buffer
      - .actual_access:  write_only
        .address_space:  global
        .offset:         80
        .size:           8
        .value_kind:     global_buffer
    .group_segment_fixed_size: 8200
    .kernarg_segment_align: 8
    .kernarg_segment_size: 88
    .language:       OpenCL C
    .language_version:
      - 2
      - 0
    .max_flat_workgroup_size: 256
    .name:           _ZN9rocsparseL44csr2gebsr_wavefront_per_row_multipass_kernelILi256ELi4ELi32ELi32EdEEv20rocsparse_direction_iiiiii21rocsparse_index_base_PKT3_PKiS7_S2_PS3_PiS9_
    .private_segment_fixed_size: 0
    .sgpr_count:     28
    .sgpr_spill_count: 0
    .symbol:         _ZN9rocsparseL44csr2gebsr_wavefront_per_row_multipass_kernelILi256ELi4ELi32ELi32EdEEv20rocsparse_direction_iiiiii21rocsparse_index_base_PKT3_PKiS7_S2_PS3_PiS9_.kd
    .uniform_work_group_size: 1
    .uses_dynamic_stack: false
    .vgpr_count:     44
    .vgpr_spill_count: 0
    .wavefront_size: 32
  - .args:
      - .offset:         0
        .size:           4
        .value_kind:     by_value
      - .offset:         4
        .size:           4
        .value_kind:     by_value
      - .offset:         8
        .size:           4
        .value_kind:     by_value
      - .offset:         12
        .size:           4
        .value_kind:     by_value
      - .offset:         16
        .size:           4
        .value_kind:     by_value
      - .offset:         20
        .size:           4
        .value_kind:     by_value
      - .offset:         24
        .size:           4
        .value_kind:     by_value
      - .offset:         28
        .size:           4
        .value_kind:     by_value
      - .actual_access:  read_only
        .address_space:  global
        .offset:         32
        .size:           8
        .value_kind:     global_buffer
      - .actual_access:  read_only
        .address_space:  global
        .offset:         40
        .size:           8
        .value_kind:     global_buffer
      - .actual_access:  read_only
        .address_space:  global
        .offset:         48
        .size:           8
        .value_kind:     global_buffer
      - .offset:         56
        .size:           4
        .value_kind:     by_value
      - .actual_access:  write_only
        .address_space:  global
        .offset:         64
        .size:           8
        .value_kind:     global_buffer
      - .actual_access:  read_only
        .address_space:  global
        .offset:         72
        .size:           8
        .value_kind:     global_buffer
      - .actual_access:  write_only
        .address_space:  global
        .offset:         80
        .size:           8
        .value_kind:     global_buffer
    .group_segment_fixed_size: 8200
    .kernarg_segment_align: 8
    .kernarg_segment_size: 88
    .language:       OpenCL C
    .language_version:
      - 2
      - 0
    .max_flat_workgroup_size: 256
    .name:           _ZN9rocsparseL44csr2gebsr_wavefront_per_row_multipass_kernelILi256ELi4ELi64ELi64EdEEv20rocsparse_direction_iiiiii21rocsparse_index_base_PKT3_PKiS7_S2_PS3_PiS9_
    .private_segment_fixed_size: 0
    .sgpr_count:     28
    .sgpr_spill_count: 0
    .symbol:         _ZN9rocsparseL44csr2gebsr_wavefront_per_row_multipass_kernelILi256ELi4ELi64ELi64EdEEv20rocsparse_direction_iiiiii21rocsparse_index_base_PKT3_PKiS7_S2_PS3_PiS9_.kd
    .uniform_work_group_size: 1
    .uses_dynamic_stack: false
    .vgpr_count:     45
    .vgpr_spill_count: 0
    .wavefront_size: 32
  - .args:
      - .offset:         0
        .size:           4
        .value_kind:     by_value
      - .offset:         4
        .size:           4
        .value_kind:     by_value
      - .offset:         8
        .size:           4
        .value_kind:     by_value
      - .offset:         12
        .size:           4
        .value_kind:     by_value
      - .offset:         16
        .size:           4
        .value_kind:     by_value
      - .offset:         20
        .size:           4
        .value_kind:     by_value
      - .offset:         24
        .size:           4
        .value_kind:     by_value
      - .offset:         28
        .size:           4
        .value_kind:     by_value
      - .actual_access:  read_only
        .address_space:  global
        .offset:         32
        .size:           8
        .value_kind:     global_buffer
      - .actual_access:  read_only
        .address_space:  global
        .offset:         40
        .size:           8
        .value_kind:     global_buffer
      - .actual_access:  read_only
        .address_space:  global
        .offset:         48
        .size:           8
        .value_kind:     global_buffer
      - .offset:         56
        .size:           4
        .value_kind:     by_value
      - .actual_access:  write_only
        .address_space:  global
        .offset:         64
        .size:           8
        .value_kind:     global_buffer
      - .actual_access:  read_only
        .address_space:  global
        .offset:         72
        .size:           8
        .value_kind:     global_buffer
      - .actual_access:  write_only
        .address_space:  global
        .offset:         80
        .size:           8
        .value_kind:     global_buffer
    .group_segment_fixed_size: 16392
    .kernarg_segment_align: 8
    .kernarg_segment_size: 88
    .language:       OpenCL C
    .language_version:
      - 2
      - 0
    .max_flat_workgroup_size: 256
    .name:           _ZN9rocsparseL44csr2gebsr_wavefront_per_row_multipass_kernelILi256ELi4ELi64ELi32EdEEv20rocsparse_direction_iiiiii21rocsparse_index_base_PKT3_PKiS7_S2_PS3_PiS9_
    .private_segment_fixed_size: 0
    .sgpr_count:     32
    .sgpr_spill_count: 0
    .symbol:         _ZN9rocsparseL44csr2gebsr_wavefront_per_row_multipass_kernelILi256ELi4ELi64ELi32EdEEv20rocsparse_direction_iiiiii21rocsparse_index_base_PKT3_PKiS7_S2_PS3_PiS9_.kd
    .uniform_work_group_size: 1
    .uses_dynamic_stack: false
    .vgpr_count:     52
    .vgpr_spill_count: 0
    .wavefront_size: 32
  - .args:
      - .offset:         0
        .size:           4
        .value_kind:     by_value
      - .offset:         4
        .size:           4
        .value_kind:     by_value
      - .offset:         8
        .size:           4
        .value_kind:     by_value
      - .offset:         12
        .size:           4
        .value_kind:     by_value
      - .offset:         16
        .size:           4
        .value_kind:     by_value
      - .offset:         20
        .size:           4
        .value_kind:     by_value
      - .offset:         24
        .size:           4
        .value_kind:     by_value
      - .offset:         28
        .size:           4
        .value_kind:     by_value
      - .actual_access:  read_only
        .address_space:  global
        .offset:         32
        .size:           8
        .value_kind:     global_buffer
      - .actual_access:  read_only
        .address_space:  global
        .offset:         40
        .size:           8
        .value_kind:     global_buffer
      - .actual_access:  read_only
        .address_space:  global
        .offset:         48
        .size:           8
        .value_kind:     global_buffer
      - .offset:         56
        .size:           4
        .value_kind:     by_value
      - .actual_access:  write_only
        .address_space:  global
        .offset:         64
        .size:           8
        .value_kind:     global_buffer
      - .actual_access:  read_only
        .address_space:  global
        .offset:         72
        .size:           8
        .value_kind:     global_buffer
      - .actual_access:  write_only
        .address_space:  global
        .offset:         80
        .size:           8
        .value_kind:     global_buffer
    .group_segment_fixed_size: 2064
    .kernarg_segment_align: 8
    .kernarg_segment_size: 88
    .language:       OpenCL C
    .language_version:
      - 2
      - 0
    .max_flat_workgroup_size: 256
    .name:           _ZN9rocsparseL44csr2gebsr_wavefront_per_row_multipass_kernelILi256ELi8ELi2ELi16EdEEv20rocsparse_direction_iiiiii21rocsparse_index_base_PKT3_PKiS7_S2_PS3_PiS9_
    .private_segment_fixed_size: 0
    .sgpr_count:     25
    .sgpr_spill_count: 0
    .symbol:         _ZN9rocsparseL44csr2gebsr_wavefront_per_row_multipass_kernelILi256ELi8ELi2ELi16EdEEv20rocsparse_direction_iiiiii21rocsparse_index_base_PKT3_PKiS7_S2_PS3_PiS9_.kd
    .uniform_work_group_size: 1
    .uses_dynamic_stack: false
    .vgpr_count:     35
    .vgpr_spill_count: 0
    .wavefront_size: 32
  - .args:
      - .offset:         0
        .size:           4
        .value_kind:     by_value
      - .offset:         4
        .size:           4
        .value_kind:     by_value
      - .offset:         8
        .size:           4
        .value_kind:     by_value
      - .offset:         12
        .size:           4
        .value_kind:     by_value
      - .offset:         16
        .size:           4
        .value_kind:     by_value
      - .offset:         20
        .size:           4
        .value_kind:     by_value
      - .offset:         24
        .size:           4
        .value_kind:     by_value
      - .offset:         28
        .size:           4
        .value_kind:     by_value
      - .actual_access:  read_only
        .address_space:  global
        .offset:         32
        .size:           8
        .value_kind:     global_buffer
      - .actual_access:  read_only
        .address_space:  global
        .offset:         40
        .size:           8
        .value_kind:     global_buffer
      - .actual_access:  read_only
        .address_space:  global
        .offset:         48
        .size:           8
        .value_kind:     global_buffer
      - .offset:         56
        .size:           4
        .value_kind:     by_value
      - .actual_access:  write_only
        .address_space:  global
        .offset:         64
        .size:           8
        .value_kind:     global_buffer
      - .actual_access:  read_only
        .address_space:  global
        .offset:         72
        .size:           8
        .value_kind:     global_buffer
      - .actual_access:  write_only
        .address_space:  global
        .offset:         80
        .size:           8
        .value_kind:     global_buffer
    .group_segment_fixed_size: 2056
    .kernarg_segment_align: 8
    .kernarg_segment_size: 88
    .language:       OpenCL C
    .language_version:
      - 2
      - 0
    .max_flat_workgroup_size: 256
    .name:           _ZN9rocsparseL44csr2gebsr_wavefront_per_row_multipass_kernelILi256ELi8ELi4ELi32EdEEv20rocsparse_direction_iiiiii21rocsparse_index_base_PKT3_PKiS7_S2_PS3_PiS9_
    .private_segment_fixed_size: 0
    .sgpr_count:     25
    .sgpr_spill_count: 0
    .symbol:         _ZN9rocsparseL44csr2gebsr_wavefront_per_row_multipass_kernelILi256ELi8ELi4ELi32EdEEv20rocsparse_direction_iiiiii21rocsparse_index_base_PKT3_PKiS7_S2_PS3_PiS9_.kd
    .uniform_work_group_size: 1
    .uses_dynamic_stack: false
    .vgpr_count:     36
    .vgpr_spill_count: 0
    .wavefront_size: 32
  - .args:
      - .offset:         0
        .size:           4
        .value_kind:     by_value
      - .offset:         4
        .size:           4
        .value_kind:     by_value
      - .offset:         8
        .size:           4
        .value_kind:     by_value
      - .offset:         12
        .size:           4
        .value_kind:     by_value
      - .offset:         16
        .size:           4
        .value_kind:     by_value
      - .offset:         20
        .size:           4
        .value_kind:     by_value
      - .offset:         24
        .size:           4
        .value_kind:     by_value
      - .offset:         28
        .size:           4
        .value_kind:     by_value
      - .actual_access:  read_only
        .address_space:  global
        .offset:         32
        .size:           8
        .value_kind:     global_buffer
      - .actual_access:  read_only
        .address_space:  global
        .offset:         40
        .size:           8
        .value_kind:     global_buffer
      - .actual_access:  read_only
        .address_space:  global
        .offset:         48
        .size:           8
        .value_kind:     global_buffer
      - .offset:         56
        .size:           4
        .value_kind:     by_value
      - .actual_access:  write_only
        .address_space:  global
        .offset:         64
        .size:           8
        .value_kind:     global_buffer
      - .actual_access:  read_only
        .address_space:  global
        .offset:         72
        .size:           8
        .value_kind:     global_buffer
      - .actual_access:  write_only
        .address_space:  global
        .offset:         80
        .size:           8
        .value_kind:     global_buffer
    .group_segment_fixed_size: 2056
    .kernarg_segment_align: 8
    .kernarg_segment_size: 88
    .language:       OpenCL C
    .language_version:
      - 2
      - 0
    .max_flat_workgroup_size: 256
    .name:           _ZN9rocsparseL44csr2gebsr_wavefront_per_row_multipass_kernelILi256ELi8ELi8ELi64EdEEv20rocsparse_direction_iiiiii21rocsparse_index_base_PKT3_PKiS7_S2_PS3_PiS9_
    .private_segment_fixed_size: 0
    .sgpr_count:     25
    .sgpr_spill_count: 0
    .symbol:         _ZN9rocsparseL44csr2gebsr_wavefront_per_row_multipass_kernelILi256ELi8ELi8ELi64EdEEv20rocsparse_direction_iiiiii21rocsparse_index_base_PKT3_PKiS7_S2_PS3_PiS9_.kd
    .uniform_work_group_size: 1
    .uses_dynamic_stack: false
    .vgpr_count:     37
    .vgpr_spill_count: 0
    .wavefront_size: 32
  - .args:
      - .offset:         0
        .size:           4
        .value_kind:     by_value
      - .offset:         4
        .size:           4
        .value_kind:     by_value
      - .offset:         8
        .size:           4
        .value_kind:     by_value
      - .offset:         12
        .size:           4
        .value_kind:     by_value
      - .offset:         16
        .size:           4
        .value_kind:     by_value
      - .offset:         20
        .size:           4
        .value_kind:     by_value
      - .offset:         24
        .size:           4
        .value_kind:     by_value
      - .offset:         28
        .size:           4
        .value_kind:     by_value
      - .actual_access:  read_only
        .address_space:  global
        .offset:         32
        .size:           8
        .value_kind:     global_buffer
      - .actual_access:  read_only
        .address_space:  global
        .offset:         40
        .size:           8
        .value_kind:     global_buffer
      - .actual_access:  read_only
        .address_space:  global
        .offset:         48
        .size:           8
        .value_kind:     global_buffer
      - .offset:         56
        .size:           4
        .value_kind:     by_value
      - .actual_access:  write_only
        .address_space:  global
        .offset:         64
        .size:           8
        .value_kind:     global_buffer
      - .actual_access:  read_only
        .address_space:  global
        .offset:         72
        .size:           8
        .value_kind:     global_buffer
      - .actual_access:  write_only
        .address_space:  global
        .offset:         80
        .size:           8
        .value_kind:     global_buffer
    .group_segment_fixed_size: 4104
    .kernarg_segment_align: 8
    .kernarg_segment_size: 88
    .language:       OpenCL C
    .language_version:
      - 2
      - 0
    .max_flat_workgroup_size: 256
    .name:           _ZN9rocsparseL44csr2gebsr_wavefront_per_row_multipass_kernelILi256ELi8ELi8ELi32EdEEv20rocsparse_direction_iiiiii21rocsparse_index_base_PKT3_PKiS7_S2_PS3_PiS9_
    .private_segment_fixed_size: 0
    .sgpr_count:     26
    .sgpr_spill_count: 0
    .symbol:         _ZN9rocsparseL44csr2gebsr_wavefront_per_row_multipass_kernelILi256ELi8ELi8ELi32EdEEv20rocsparse_direction_iiiiii21rocsparse_index_base_PKT3_PKiS7_S2_PS3_PiS9_.kd
    .uniform_work_group_size: 1
    .uses_dynamic_stack: false
    .vgpr_count:     40
    .vgpr_spill_count: 0
    .wavefront_size: 32
  - .args:
      - .offset:         0
        .size:           4
        .value_kind:     by_value
      - .offset:         4
        .size:           4
        .value_kind:     by_value
      - .offset:         8
        .size:           4
        .value_kind:     by_value
      - .offset:         12
        .size:           4
        .value_kind:     by_value
      - .offset:         16
        .size:           4
        .value_kind:     by_value
      - .offset:         20
        .size:           4
        .value_kind:     by_value
      - .offset:         24
        .size:           4
        .value_kind:     by_value
      - .offset:         28
        .size:           4
        .value_kind:     by_value
      - .actual_access:  read_only
        .address_space:  global
        .offset:         32
        .size:           8
        .value_kind:     global_buffer
      - .actual_access:  read_only
        .address_space:  global
        .offset:         40
        .size:           8
        .value_kind:     global_buffer
      - .actual_access:  read_only
        .address_space:  global
        .offset:         48
        .size:           8
        .value_kind:     global_buffer
      - .offset:         56
        .size:           4
        .value_kind:     by_value
      - .actual_access:  write_only
        .address_space:  global
        .offset:         64
        .size:           8
        .value_kind:     global_buffer
      - .actual_access:  read_only
        .address_space:  global
        .offset:         72
        .size:           8
        .value_kind:     global_buffer
      - .actual_access:  write_only
        .address_space:  global
        .offset:         80
        .size:           8
        .value_kind:     global_buffer
    .group_segment_fixed_size: 4104
    .kernarg_segment_align: 8
    .kernarg_segment_size: 88
    .language:       OpenCL C
    .language_version:
      - 2
      - 0
    .max_flat_workgroup_size: 256
    .name:           _ZN9rocsparseL44csr2gebsr_wavefront_per_row_multipass_kernelILi256ELi8ELi16ELi64EdEEv20rocsparse_direction_iiiiii21rocsparse_index_base_PKT3_PKiS7_S2_PS3_PiS9_
    .private_segment_fixed_size: 0
    .sgpr_count:     26
    .sgpr_spill_count: 0
    .symbol:         _ZN9rocsparseL44csr2gebsr_wavefront_per_row_multipass_kernelILi256ELi8ELi16ELi64EdEEv20rocsparse_direction_iiiiii21rocsparse_index_base_PKT3_PKiS7_S2_PS3_PiS9_.kd
    .uniform_work_group_size: 1
    .uses_dynamic_stack: false
    .vgpr_count:     41
    .vgpr_spill_count: 0
    .wavefront_size: 32
  - .args:
      - .offset:         0
        .size:           4
        .value_kind:     by_value
      - .offset:         4
        .size:           4
        .value_kind:     by_value
      - .offset:         8
        .size:           4
        .value_kind:     by_value
      - .offset:         12
        .size:           4
        .value_kind:     by_value
      - .offset:         16
        .size:           4
        .value_kind:     by_value
      - .offset:         20
        .size:           4
        .value_kind:     by_value
      - .offset:         24
        .size:           4
        .value_kind:     by_value
      - .offset:         28
        .size:           4
        .value_kind:     by_value
      - .actual_access:  read_only
        .address_space:  global
        .offset:         32
        .size:           8
        .value_kind:     global_buffer
      - .actual_access:  read_only
        .address_space:  global
        .offset:         40
        .size:           8
        .value_kind:     global_buffer
      - .actual_access:  read_only
        .address_space:  global
        .offset:         48
        .size:           8
        .value_kind:     global_buffer
      - .offset:         56
        .size:           4
        .value_kind:     by_value
      - .actual_access:  write_only
        .address_space:  global
        .offset:         64
        .size:           8
        .value_kind:     global_buffer
      - .actual_access:  read_only
        .address_space:  global
        .offset:         72
        .size:           8
        .value_kind:     global_buffer
      - .actual_access:  write_only
        .address_space:  global
        .offset:         80
        .size:           8
        .value_kind:     global_buffer
    .group_segment_fixed_size: 8200
    .kernarg_segment_align: 8
    .kernarg_segment_size: 88
    .language:       OpenCL C
    .language_version:
      - 2
      - 0
    .max_flat_workgroup_size: 256
    .name:           _ZN9rocsparseL44csr2gebsr_wavefront_per_row_multipass_kernelILi256ELi8ELi16ELi32EdEEv20rocsparse_direction_iiiiii21rocsparse_index_base_PKT3_PKiS7_S2_PS3_PiS9_
    .private_segment_fixed_size: 0
    .sgpr_count:     28
    .sgpr_spill_count: 0
    .symbol:         _ZN9rocsparseL44csr2gebsr_wavefront_per_row_multipass_kernelILi256ELi8ELi16ELi32EdEEv20rocsparse_direction_iiiiii21rocsparse_index_base_PKT3_PKiS7_S2_PS3_PiS9_.kd
    .uniform_work_group_size: 1
    .uses_dynamic_stack: false
    .vgpr_count:     44
    .vgpr_spill_count: 0
    .wavefront_size: 32
  - .args:
      - .offset:         0
        .size:           4
        .value_kind:     by_value
      - .offset:         4
        .size:           4
        .value_kind:     by_value
      - .offset:         8
        .size:           4
        .value_kind:     by_value
      - .offset:         12
        .size:           4
        .value_kind:     by_value
      - .offset:         16
        .size:           4
        .value_kind:     by_value
      - .offset:         20
        .size:           4
        .value_kind:     by_value
      - .offset:         24
        .size:           4
        .value_kind:     by_value
      - .offset:         28
        .size:           4
        .value_kind:     by_value
      - .actual_access:  read_only
        .address_space:  global
        .offset:         32
        .size:           8
        .value_kind:     global_buffer
      - .actual_access:  read_only
        .address_space:  global
        .offset:         40
        .size:           8
        .value_kind:     global_buffer
      - .actual_access:  read_only
        .address_space:  global
        .offset:         48
        .size:           8
        .value_kind:     global_buffer
      - .offset:         56
        .size:           4
        .value_kind:     by_value
      - .actual_access:  write_only
        .address_space:  global
        .offset:         64
        .size:           8
        .value_kind:     global_buffer
      - .actual_access:  read_only
        .address_space:  global
        .offset:         72
        .size:           8
        .value_kind:     global_buffer
      - .actual_access:  write_only
        .address_space:  global
        .offset:         80
        .size:           8
        .value_kind:     global_buffer
    .group_segment_fixed_size: 8200
    .kernarg_segment_align: 8
    .kernarg_segment_size: 88
    .language:       OpenCL C
    .language_version:
      - 2
      - 0
    .max_flat_workgroup_size: 256
    .name:           _ZN9rocsparseL44csr2gebsr_wavefront_per_row_multipass_kernelILi256ELi8ELi32ELi64EdEEv20rocsparse_direction_iiiiii21rocsparse_index_base_PKT3_PKiS7_S2_PS3_PiS9_
    .private_segment_fixed_size: 0
    .sgpr_count:     28
    .sgpr_spill_count: 0
    .symbol:         _ZN9rocsparseL44csr2gebsr_wavefront_per_row_multipass_kernelILi256ELi8ELi32ELi64EdEEv20rocsparse_direction_iiiiii21rocsparse_index_base_PKT3_PKiS7_S2_PS3_PiS9_.kd
    .uniform_work_group_size: 1
    .uses_dynamic_stack: false
    .vgpr_count:     45
    .vgpr_spill_count: 0
    .wavefront_size: 32
  - .args:
      - .offset:         0
        .size:           4
        .value_kind:     by_value
      - .offset:         4
        .size:           4
        .value_kind:     by_value
      - .offset:         8
        .size:           4
        .value_kind:     by_value
      - .offset:         12
        .size:           4
        .value_kind:     by_value
      - .offset:         16
        .size:           4
        .value_kind:     by_value
      - .offset:         20
        .size:           4
        .value_kind:     by_value
      - .offset:         24
        .size:           4
        .value_kind:     by_value
      - .offset:         28
        .size:           4
        .value_kind:     by_value
      - .actual_access:  read_only
        .address_space:  global
        .offset:         32
        .size:           8
        .value_kind:     global_buffer
      - .actual_access:  read_only
        .address_space:  global
        .offset:         40
        .size:           8
        .value_kind:     global_buffer
      - .actual_access:  read_only
        .address_space:  global
        .offset:         48
        .size:           8
        .value_kind:     global_buffer
      - .offset:         56
        .size:           4
        .value_kind:     by_value
      - .actual_access:  write_only
        .address_space:  global
        .offset:         64
        .size:           8
        .value_kind:     global_buffer
      - .actual_access:  read_only
        .address_space:  global
        .offset:         72
        .size:           8
        .value_kind:     global_buffer
      - .actual_access:  write_only
        .address_space:  global
        .offset:         80
        .size:           8
        .value_kind:     global_buffer
    .group_segment_fixed_size: 16392
    .kernarg_segment_align: 8
    .kernarg_segment_size: 88
    .language:       OpenCL C
    .language_version:
      - 2
      - 0
    .max_flat_workgroup_size: 256
    .name:           _ZN9rocsparseL44csr2gebsr_wavefront_per_row_multipass_kernelILi256ELi8ELi32ELi32EdEEv20rocsparse_direction_iiiiii21rocsparse_index_base_PKT3_PKiS7_S2_PS3_PiS9_
    .private_segment_fixed_size: 0
    .sgpr_count:     32
    .sgpr_spill_count: 0
    .symbol:         _ZN9rocsparseL44csr2gebsr_wavefront_per_row_multipass_kernelILi256ELi8ELi32ELi32EdEEv20rocsparse_direction_iiiiii21rocsparse_index_base_PKT3_PKiS7_S2_PS3_PiS9_.kd
    .uniform_work_group_size: 1
    .uses_dynamic_stack: false
    .vgpr_count:     52
    .vgpr_spill_count: 0
    .wavefront_size: 32
  - .args:
      - .offset:         0
        .size:           4
        .value_kind:     by_value
      - .offset:         4
        .size:           4
        .value_kind:     by_value
      - .offset:         8
        .size:           4
        .value_kind:     by_value
      - .offset:         12
        .size:           4
        .value_kind:     by_value
      - .offset:         16
        .size:           4
        .value_kind:     by_value
      - .offset:         20
        .size:           4
        .value_kind:     by_value
      - .offset:         24
        .size:           4
        .value_kind:     by_value
      - .offset:         28
        .size:           4
        .value_kind:     by_value
      - .actual_access:  read_only
        .address_space:  global
        .offset:         32
        .size:           8
        .value_kind:     global_buffer
      - .actual_access:  read_only
        .address_space:  global
        .offset:         40
        .size:           8
        .value_kind:     global_buffer
      - .actual_access:  read_only
        .address_space:  global
        .offset:         48
        .size:           8
        .value_kind:     global_buffer
      - .offset:         56
        .size:           4
        .value_kind:     by_value
      - .actual_access:  write_only
        .address_space:  global
        .offset:         64
        .size:           8
        .value_kind:     global_buffer
      - .actual_access:  read_only
        .address_space:  global
        .offset:         72
        .size:           8
        .value_kind:     global_buffer
      - .actual_access:  write_only
        .address_space:  global
        .offset:         80
        .size:           8
        .value_kind:     global_buffer
    .group_segment_fixed_size: 16392
    .kernarg_segment_align: 8
    .kernarg_segment_size: 88
    .language:       OpenCL C
    .language_version:
      - 2
      - 0
    .max_flat_workgroup_size: 256
    .name:           _ZN9rocsparseL44csr2gebsr_wavefront_per_row_multipass_kernelILi256ELi8ELi64ELi64EdEEv20rocsparse_direction_iiiiii21rocsparse_index_base_PKT3_PKiS7_S2_PS3_PiS9_
    .private_segment_fixed_size: 0
    .sgpr_count:     32
    .sgpr_spill_count: 0
    .symbol:         _ZN9rocsparseL44csr2gebsr_wavefront_per_row_multipass_kernelILi256ELi8ELi64ELi64EdEEv20rocsparse_direction_iiiiii21rocsparse_index_base_PKT3_PKiS7_S2_PS3_PiS9_.kd
    .uniform_work_group_size: 1
    .uses_dynamic_stack: false
    .vgpr_count:     53
    .vgpr_spill_count: 0
    .wavefront_size: 32
  - .args:
      - .offset:         0
        .size:           4
        .value_kind:     by_value
      - .offset:         4
        .size:           4
        .value_kind:     by_value
      - .offset:         8
        .size:           4
        .value_kind:     by_value
      - .offset:         12
        .size:           4
        .value_kind:     by_value
      - .offset:         16
        .size:           4
        .value_kind:     by_value
      - .offset:         20
        .size:           4
        .value_kind:     by_value
      - .offset:         24
        .size:           4
        .value_kind:     by_value
      - .offset:         28
        .size:           4
        .value_kind:     by_value
      - .actual_access:  read_only
        .address_space:  global
        .offset:         32
        .size:           8
        .value_kind:     global_buffer
      - .actual_access:  read_only
        .address_space:  global
        .offset:         40
        .size:           8
        .value_kind:     global_buffer
      - .actual_access:  read_only
        .address_space:  global
        .offset:         48
        .size:           8
        .value_kind:     global_buffer
      - .offset:         56
        .size:           4
        .value_kind:     by_value
      - .actual_access:  write_only
        .address_space:  global
        .offset:         64
        .size:           8
        .value_kind:     global_buffer
      - .actual_access:  read_only
        .address_space:  global
        .offset:         72
        .size:           8
        .value_kind:     global_buffer
      - .actual_access:  write_only
        .address_space:  global
        .offset:         80
        .size:           8
        .value_kind:     global_buffer
    .group_segment_fixed_size: 16392
    .kernarg_segment_align: 8
    .kernarg_segment_size: 88
    .language:       OpenCL C
    .language_version:
      - 2
      - 0
    .max_flat_workgroup_size: 128
    .name:           _ZN9rocsparseL44csr2gebsr_wavefront_per_row_multipass_kernelILi128ELi8ELi64ELi32EdEEv20rocsparse_direction_iiiiii21rocsparse_index_base_PKT3_PKiS7_S2_PS3_PiS9_
    .private_segment_fixed_size: 0
    .sgpr_count:     41
    .sgpr_spill_count: 0
    .symbol:         _ZN9rocsparseL44csr2gebsr_wavefront_per_row_multipass_kernelILi128ELi8ELi64ELi32EdEEv20rocsparse_direction_iiiiii21rocsparse_index_base_PKT3_PKiS7_S2_PS3_PiS9_.kd
    .uniform_work_group_size: 1
    .uses_dynamic_stack: false
    .vgpr_count:     62
    .vgpr_spill_count: 0
    .wavefront_size: 32
  - .args:
      - .offset:         0
        .size:           4
        .value_kind:     by_value
      - .offset:         4
        .size:           4
        .value_kind:     by_value
      - .offset:         8
        .size:           4
        .value_kind:     by_value
      - .offset:         12
        .size:           4
        .value_kind:     by_value
      - .offset:         16
        .size:           4
        .value_kind:     by_value
      - .offset:         20
        .size:           4
        .value_kind:     by_value
      - .offset:         24
        .size:           4
        .value_kind:     by_value
      - .offset:         28
        .size:           4
        .value_kind:     by_value
      - .actual_access:  read_only
        .address_space:  global
        .offset:         32
        .size:           8
        .value_kind:     global_buffer
      - .actual_access:  read_only
        .address_space:  global
        .offset:         40
        .size:           8
        .value_kind:     global_buffer
      - .actual_access:  read_only
        .address_space:  global
        .offset:         48
        .size:           8
        .value_kind:     global_buffer
      - .offset:         56
        .size:           4
        .value_kind:     by_value
      - .actual_access:  write_only
        .address_space:  global
        .offset:         64
        .size:           8
        .value_kind:     global_buffer
      - .actual_access:  read_only
        .address_space:  global
        .offset:         72
        .size:           8
        .value_kind:     global_buffer
      - .actual_access:  write_only
        .address_space:  global
        .offset:         80
        .size:           8
        .value_kind:     global_buffer
    .group_segment_fixed_size: 2056
    .kernarg_segment_align: 8
    .kernarg_segment_size: 88
    .language:       OpenCL C
    .language_version:
      - 2
      - 0
    .max_flat_workgroup_size: 256
    .name:           _ZN9rocsparseL44csr2gebsr_wavefront_per_row_multipass_kernelILi256ELi16ELi2ELi32EdEEv20rocsparse_direction_iiiiii21rocsparse_index_base_PKT3_PKiS7_S2_PS3_PiS9_
    .private_segment_fixed_size: 0
    .sgpr_count:     25
    .sgpr_spill_count: 0
    .symbol:         _ZN9rocsparseL44csr2gebsr_wavefront_per_row_multipass_kernelILi256ELi16ELi2ELi32EdEEv20rocsparse_direction_iiiiii21rocsparse_index_base_PKT3_PKiS7_S2_PS3_PiS9_.kd
    .uniform_work_group_size: 1
    .uses_dynamic_stack: false
    .vgpr_count:     36
    .vgpr_spill_count: 0
    .wavefront_size: 32
  - .args:
      - .offset:         0
        .size:           4
        .value_kind:     by_value
      - .offset:         4
        .size:           4
        .value_kind:     by_value
      - .offset:         8
        .size:           4
        .value_kind:     by_value
      - .offset:         12
        .size:           4
        .value_kind:     by_value
      - .offset:         16
        .size:           4
        .value_kind:     by_value
      - .offset:         20
        .size:           4
        .value_kind:     by_value
      - .offset:         24
        .size:           4
        .value_kind:     by_value
      - .offset:         28
        .size:           4
        .value_kind:     by_value
      - .actual_access:  read_only
        .address_space:  global
        .offset:         32
        .size:           8
        .value_kind:     global_buffer
      - .actual_access:  read_only
        .address_space:  global
        .offset:         40
        .size:           8
        .value_kind:     global_buffer
      - .actual_access:  read_only
        .address_space:  global
        .offset:         48
        .size:           8
        .value_kind:     global_buffer
      - .offset:         56
        .size:           4
        .value_kind:     by_value
      - .actual_access:  write_only
        .address_space:  global
        .offset:         64
        .size:           8
        .value_kind:     global_buffer
      - .actual_access:  read_only
        .address_space:  global
        .offset:         72
        .size:           8
        .value_kind:     global_buffer
      - .actual_access:  write_only
        .address_space:  global
        .offset:         80
        .size:           8
        .value_kind:     global_buffer
    .group_segment_fixed_size: 2056
    .kernarg_segment_align: 8
    .kernarg_segment_size: 88
    .language:       OpenCL C
    .language_version:
      - 2
      - 0
    .max_flat_workgroup_size: 256
    .name:           _ZN9rocsparseL44csr2gebsr_wavefront_per_row_multipass_kernelILi256ELi16ELi4ELi64EdEEv20rocsparse_direction_iiiiii21rocsparse_index_base_PKT3_PKiS7_S2_PS3_PiS9_
    .private_segment_fixed_size: 0
    .sgpr_count:     25
    .sgpr_spill_count: 0
    .symbol:         _ZN9rocsparseL44csr2gebsr_wavefront_per_row_multipass_kernelILi256ELi16ELi4ELi64EdEEv20rocsparse_direction_iiiiii21rocsparse_index_base_PKT3_PKiS7_S2_PS3_PiS9_.kd
    .uniform_work_group_size: 1
    .uses_dynamic_stack: false
    .vgpr_count:     37
    .vgpr_spill_count: 0
    .wavefront_size: 32
  - .args:
      - .offset:         0
        .size:           4
        .value_kind:     by_value
      - .offset:         4
        .size:           4
        .value_kind:     by_value
      - .offset:         8
        .size:           4
        .value_kind:     by_value
      - .offset:         12
        .size:           4
        .value_kind:     by_value
      - .offset:         16
        .size:           4
        .value_kind:     by_value
      - .offset:         20
        .size:           4
        .value_kind:     by_value
      - .offset:         24
        .size:           4
        .value_kind:     by_value
      - .offset:         28
        .size:           4
        .value_kind:     by_value
      - .actual_access:  read_only
        .address_space:  global
        .offset:         32
        .size:           8
        .value_kind:     global_buffer
      - .actual_access:  read_only
        .address_space:  global
        .offset:         40
        .size:           8
        .value_kind:     global_buffer
      - .actual_access:  read_only
        .address_space:  global
        .offset:         48
        .size:           8
        .value_kind:     global_buffer
      - .offset:         56
        .size:           4
        .value_kind:     by_value
      - .actual_access:  write_only
        .address_space:  global
        .offset:         64
        .size:           8
        .value_kind:     global_buffer
      - .actual_access:  read_only
        .address_space:  global
        .offset:         72
        .size:           8
        .value_kind:     global_buffer
      - .actual_access:  write_only
        .address_space:  global
        .offset:         80
        .size:           8
        .value_kind:     global_buffer
    .group_segment_fixed_size: 4104
    .kernarg_segment_align: 8
    .kernarg_segment_size: 88
    .language:       OpenCL C
    .language_version:
      - 2
      - 0
    .max_flat_workgroup_size: 256
    .name:           _ZN9rocsparseL44csr2gebsr_wavefront_per_row_multipass_kernelILi256ELi16ELi4ELi32EdEEv20rocsparse_direction_iiiiii21rocsparse_index_base_PKT3_PKiS7_S2_PS3_PiS9_
    .private_segment_fixed_size: 0
    .sgpr_count:     26
    .sgpr_spill_count: 0
    .symbol:         _ZN9rocsparseL44csr2gebsr_wavefront_per_row_multipass_kernelILi256ELi16ELi4ELi32EdEEv20rocsparse_direction_iiiiii21rocsparse_index_base_PKT3_PKiS7_S2_PS3_PiS9_.kd
    .uniform_work_group_size: 1
    .uses_dynamic_stack: false
    .vgpr_count:     40
    .vgpr_spill_count: 0
    .wavefront_size: 32
  - .args:
      - .offset:         0
        .size:           4
        .value_kind:     by_value
      - .offset:         4
        .size:           4
        .value_kind:     by_value
      - .offset:         8
        .size:           4
        .value_kind:     by_value
      - .offset:         12
        .size:           4
        .value_kind:     by_value
      - .offset:         16
        .size:           4
        .value_kind:     by_value
      - .offset:         20
        .size:           4
        .value_kind:     by_value
      - .offset:         24
        .size:           4
        .value_kind:     by_value
      - .offset:         28
        .size:           4
        .value_kind:     by_value
      - .actual_access:  read_only
        .address_space:  global
        .offset:         32
        .size:           8
        .value_kind:     global_buffer
      - .actual_access:  read_only
        .address_space:  global
        .offset:         40
        .size:           8
        .value_kind:     global_buffer
      - .actual_access:  read_only
        .address_space:  global
        .offset:         48
        .size:           8
        .value_kind:     global_buffer
      - .offset:         56
        .size:           4
        .value_kind:     by_value
      - .actual_access:  write_only
        .address_space:  global
        .offset:         64
        .size:           8
        .value_kind:     global_buffer
      - .actual_access:  read_only
        .address_space:  global
        .offset:         72
        .size:           8
        .value_kind:     global_buffer
      - .actual_access:  write_only
        .address_space:  global
        .offset:         80
        .size:           8
        .value_kind:     global_buffer
    .group_segment_fixed_size: 4104
    .kernarg_segment_align: 8
    .kernarg_segment_size: 88
    .language:       OpenCL C
    .language_version:
      - 2
      - 0
    .max_flat_workgroup_size: 256
    .name:           _ZN9rocsparseL44csr2gebsr_wavefront_per_row_multipass_kernelILi256ELi16ELi8ELi64EdEEv20rocsparse_direction_iiiiii21rocsparse_index_base_PKT3_PKiS7_S2_PS3_PiS9_
    .private_segment_fixed_size: 0
    .sgpr_count:     26
    .sgpr_spill_count: 0
    .symbol:         _ZN9rocsparseL44csr2gebsr_wavefront_per_row_multipass_kernelILi256ELi16ELi8ELi64EdEEv20rocsparse_direction_iiiiii21rocsparse_index_base_PKT3_PKiS7_S2_PS3_PiS9_.kd
    .uniform_work_group_size: 1
    .uses_dynamic_stack: false
    .vgpr_count:     41
    .vgpr_spill_count: 0
    .wavefront_size: 32
  - .args:
      - .offset:         0
        .size:           4
        .value_kind:     by_value
      - .offset:         4
        .size:           4
        .value_kind:     by_value
      - .offset:         8
        .size:           4
        .value_kind:     by_value
      - .offset:         12
        .size:           4
        .value_kind:     by_value
      - .offset:         16
        .size:           4
        .value_kind:     by_value
      - .offset:         20
        .size:           4
        .value_kind:     by_value
      - .offset:         24
        .size:           4
        .value_kind:     by_value
      - .offset:         28
        .size:           4
        .value_kind:     by_value
      - .actual_access:  read_only
        .address_space:  global
        .offset:         32
        .size:           8
        .value_kind:     global_buffer
      - .actual_access:  read_only
        .address_space:  global
        .offset:         40
        .size:           8
        .value_kind:     global_buffer
      - .actual_access:  read_only
        .address_space:  global
        .offset:         48
        .size:           8
        .value_kind:     global_buffer
      - .offset:         56
        .size:           4
        .value_kind:     by_value
      - .actual_access:  write_only
        .address_space:  global
        .offset:         64
        .size:           8
        .value_kind:     global_buffer
      - .actual_access:  read_only
        .address_space:  global
        .offset:         72
        .size:           8
        .value_kind:     global_buffer
      - .actual_access:  write_only
        .address_space:  global
        .offset:         80
        .size:           8
        .value_kind:     global_buffer
    .group_segment_fixed_size: 8200
    .kernarg_segment_align: 8
    .kernarg_segment_size: 88
    .language:       OpenCL C
    .language_version:
      - 2
      - 0
    .max_flat_workgroup_size: 256
    .name:           _ZN9rocsparseL44csr2gebsr_wavefront_per_row_multipass_kernelILi256ELi16ELi8ELi32EdEEv20rocsparse_direction_iiiiii21rocsparse_index_base_PKT3_PKiS7_S2_PS3_PiS9_
    .private_segment_fixed_size: 0
    .sgpr_count:     28
    .sgpr_spill_count: 0
    .symbol:         _ZN9rocsparseL44csr2gebsr_wavefront_per_row_multipass_kernelILi256ELi16ELi8ELi32EdEEv20rocsparse_direction_iiiiii21rocsparse_index_base_PKT3_PKiS7_S2_PS3_PiS9_.kd
    .uniform_work_group_size: 1
    .uses_dynamic_stack: false
    .vgpr_count:     44
    .vgpr_spill_count: 0
    .wavefront_size: 32
  - .args:
      - .offset:         0
        .size:           4
        .value_kind:     by_value
      - .offset:         4
        .size:           4
        .value_kind:     by_value
      - .offset:         8
        .size:           4
        .value_kind:     by_value
      - .offset:         12
        .size:           4
        .value_kind:     by_value
      - .offset:         16
        .size:           4
        .value_kind:     by_value
      - .offset:         20
        .size:           4
        .value_kind:     by_value
      - .offset:         24
        .size:           4
        .value_kind:     by_value
      - .offset:         28
        .size:           4
        .value_kind:     by_value
      - .actual_access:  read_only
        .address_space:  global
        .offset:         32
        .size:           8
        .value_kind:     global_buffer
      - .actual_access:  read_only
        .address_space:  global
        .offset:         40
        .size:           8
        .value_kind:     global_buffer
      - .actual_access:  read_only
        .address_space:  global
        .offset:         48
        .size:           8
        .value_kind:     global_buffer
      - .offset:         56
        .size:           4
        .value_kind:     by_value
      - .actual_access:  write_only
        .address_space:  global
        .offset:         64
        .size:           8
        .value_kind:     global_buffer
      - .actual_access:  read_only
        .address_space:  global
        .offset:         72
        .size:           8
        .value_kind:     global_buffer
      - .actual_access:  write_only
        .address_space:  global
        .offset:         80
        .size:           8
        .value_kind:     global_buffer
    .group_segment_fixed_size: 8200
    .kernarg_segment_align: 8
    .kernarg_segment_size: 88
    .language:       OpenCL C
    .language_version:
      - 2
      - 0
    .max_flat_workgroup_size: 256
    .name:           _ZN9rocsparseL44csr2gebsr_wavefront_per_row_multipass_kernelILi256ELi16ELi16ELi64EdEEv20rocsparse_direction_iiiiii21rocsparse_index_base_PKT3_PKiS7_S2_PS3_PiS9_
    .private_segment_fixed_size: 0
    .sgpr_count:     28
    .sgpr_spill_count: 0
    .symbol:         _ZN9rocsparseL44csr2gebsr_wavefront_per_row_multipass_kernelILi256ELi16ELi16ELi64EdEEv20rocsparse_direction_iiiiii21rocsparse_index_base_PKT3_PKiS7_S2_PS3_PiS9_.kd
    .uniform_work_group_size: 1
    .uses_dynamic_stack: false
    .vgpr_count:     45
    .vgpr_spill_count: 0
    .wavefront_size: 32
  - .args:
      - .offset:         0
        .size:           4
        .value_kind:     by_value
      - .offset:         4
        .size:           4
        .value_kind:     by_value
      - .offset:         8
        .size:           4
        .value_kind:     by_value
      - .offset:         12
        .size:           4
        .value_kind:     by_value
      - .offset:         16
        .size:           4
        .value_kind:     by_value
      - .offset:         20
        .size:           4
        .value_kind:     by_value
      - .offset:         24
        .size:           4
        .value_kind:     by_value
      - .offset:         28
        .size:           4
        .value_kind:     by_value
      - .actual_access:  read_only
        .address_space:  global
        .offset:         32
        .size:           8
        .value_kind:     global_buffer
      - .actual_access:  read_only
        .address_space:  global
        .offset:         40
        .size:           8
        .value_kind:     global_buffer
      - .actual_access:  read_only
        .address_space:  global
        .offset:         48
        .size:           8
        .value_kind:     global_buffer
      - .offset:         56
        .size:           4
        .value_kind:     by_value
      - .actual_access:  write_only
        .address_space:  global
        .offset:         64
        .size:           8
        .value_kind:     global_buffer
      - .actual_access:  read_only
        .address_space:  global
        .offset:         72
        .size:           8
        .value_kind:     global_buffer
      - .actual_access:  write_only
        .address_space:  global
        .offset:         80
        .size:           8
        .value_kind:     global_buffer
    .group_segment_fixed_size: 16392
    .kernarg_segment_align: 8
    .kernarg_segment_size: 88
    .language:       OpenCL C
    .language_version:
      - 2
      - 0
    .max_flat_workgroup_size: 256
    .name:           _ZN9rocsparseL44csr2gebsr_wavefront_per_row_multipass_kernelILi256ELi16ELi16ELi32EdEEv20rocsparse_direction_iiiiii21rocsparse_index_base_PKT3_PKiS7_S2_PS3_PiS9_
    .private_segment_fixed_size: 0
    .sgpr_count:     32
    .sgpr_spill_count: 0
    .symbol:         _ZN9rocsparseL44csr2gebsr_wavefront_per_row_multipass_kernelILi256ELi16ELi16ELi32EdEEv20rocsparse_direction_iiiiii21rocsparse_index_base_PKT3_PKiS7_S2_PS3_PiS9_.kd
    .uniform_work_group_size: 1
    .uses_dynamic_stack: false
    .vgpr_count:     52
    .vgpr_spill_count: 0
    .wavefront_size: 32
  - .args:
      - .offset:         0
        .size:           4
        .value_kind:     by_value
      - .offset:         4
        .size:           4
        .value_kind:     by_value
      - .offset:         8
        .size:           4
        .value_kind:     by_value
      - .offset:         12
        .size:           4
        .value_kind:     by_value
      - .offset:         16
        .size:           4
        .value_kind:     by_value
      - .offset:         20
        .size:           4
        .value_kind:     by_value
      - .offset:         24
        .size:           4
        .value_kind:     by_value
      - .offset:         28
        .size:           4
        .value_kind:     by_value
      - .actual_access:  read_only
        .address_space:  global
        .offset:         32
        .size:           8
        .value_kind:     global_buffer
      - .actual_access:  read_only
        .address_space:  global
        .offset:         40
        .size:           8
        .value_kind:     global_buffer
      - .actual_access:  read_only
        .address_space:  global
        .offset:         48
        .size:           8
        .value_kind:     global_buffer
      - .offset:         56
        .size:           4
        .value_kind:     by_value
      - .actual_access:  write_only
        .address_space:  global
        .offset:         64
        .size:           8
        .value_kind:     global_buffer
      - .actual_access:  read_only
        .address_space:  global
        .offset:         72
        .size:           8
        .value_kind:     global_buffer
      - .actual_access:  write_only
        .address_space:  global
        .offset:         80
        .size:           8
        .value_kind:     global_buffer
    .group_segment_fixed_size: 4104
    .kernarg_segment_align: 8
    .kernarg_segment_size: 88
    .language:       OpenCL C
    .language_version:
      - 2
      - 0
    .max_flat_workgroup_size: 128
    .name:           _ZN9rocsparseL40csr2gebsr_block_per_row_multipass_kernelILj128ELj16ELj32EdEEv20rocsparse_direction_iiiiii21rocsparse_index_base_PKT2_PKiS7_S2_PS3_PiS9_
    .private_segment_fixed_size: 0
    .sgpr_count:     38
    .sgpr_spill_count: 0
    .symbol:         _ZN9rocsparseL40csr2gebsr_block_per_row_multipass_kernelILj128ELj16ELj32EdEEv20rocsparse_direction_iiiiii21rocsparse_index_base_PKT2_PKiS7_S2_PS3_PiS9_.kd
    .uniform_work_group_size: 1
    .uses_dynamic_stack: false
    .vgpr_count:     36
    .vgpr_spill_count: 0
    .wavefront_size: 32
  - .args:
      - .offset:         0
        .size:           4
        .value_kind:     by_value
      - .offset:         4
        .size:           4
        .value_kind:     by_value
      - .offset:         8
        .size:           4
        .value_kind:     by_value
      - .offset:         12
        .size:           4
        .value_kind:     by_value
      - .offset:         16
        .size:           4
        .value_kind:     by_value
      - .offset:         20
        .size:           4
        .value_kind:     by_value
      - .offset:         24
        .size:           4
        .value_kind:     by_value
      - .offset:         28
        .size:           4
        .value_kind:     by_value
      - .actual_access:  read_only
        .address_space:  global
        .offset:         32
        .size:           8
        .value_kind:     global_buffer
      - .actual_access:  read_only
        .address_space:  global
        .offset:         40
        .size:           8
        .value_kind:     global_buffer
      - .actual_access:  read_only
        .address_space:  global
        .offset:         48
        .size:           8
        .value_kind:     global_buffer
      - .offset:         56
        .size:           4
        .value_kind:     by_value
      - .actual_access:  write_only
        .address_space:  global
        .offset:         64
        .size:           8
        .value_kind:     global_buffer
      - .actual_access:  read_only
        .address_space:  global
        .offset:         72
        .size:           8
        .value_kind:     global_buffer
      - .actual_access:  write_only
        .address_space:  global
        .offset:         80
        .size:           8
        .value_kind:     global_buffer
    .group_segment_fixed_size: 8200
    .kernarg_segment_align: 8
    .kernarg_segment_size: 88
    .language:       OpenCL C
    .language_version:
      - 2
      - 0
    .max_flat_workgroup_size: 128
    .name:           _ZN9rocsparseL40csr2gebsr_block_per_row_multipass_kernelILj128ELj16ELj64EdEEv20rocsparse_direction_iiiiii21rocsparse_index_base_PKT2_PKiS7_S2_PS3_PiS9_
    .private_segment_fixed_size: 0
    .sgpr_count:     40
    .sgpr_spill_count: 0
    .symbol:         _ZN9rocsparseL40csr2gebsr_block_per_row_multipass_kernelILj128ELj16ELj64EdEEv20rocsparse_direction_iiiiii21rocsparse_index_base_PKT2_PKiS7_S2_PS3_PiS9_.kd
    .uniform_work_group_size: 1
    .uses_dynamic_stack: false
    .vgpr_count:     44
    .vgpr_spill_count: 0
    .wavefront_size: 32
  - .args:
      - .offset:         0
        .size:           4
        .value_kind:     by_value
      - .offset:         4
        .size:           4
        .value_kind:     by_value
      - .offset:         8
        .size:           4
        .value_kind:     by_value
      - .offset:         12
        .size:           4
        .value_kind:     by_value
      - .offset:         16
        .size:           4
        .value_kind:     by_value
      - .offset:         20
        .size:           4
        .value_kind:     by_value
      - .offset:         24
        .size:           4
        .value_kind:     by_value
      - .offset:         28
        .size:           4
        .value_kind:     by_value
      - .actual_access:  read_only
        .address_space:  global
        .offset:         32
        .size:           8
        .value_kind:     global_buffer
      - .actual_access:  read_only
        .address_space:  global
        .offset:         40
        .size:           8
        .value_kind:     global_buffer
      - .actual_access:  read_only
        .address_space:  global
        .offset:         48
        .size:           8
        .value_kind:     global_buffer
      - .offset:         56
        .size:           4
        .value_kind:     by_value
      - .actual_access:  write_only
        .address_space:  global
        .offset:         64
        .size:           8
        .value_kind:     global_buffer
      - .actual_access:  read_only
        .address_space:  global
        .offset:         72
        .size:           8
        .value_kind:     global_buffer
      - .actual_access:  write_only
        .address_space:  global
        .offset:         80
        .size:           8
        .value_kind:     global_buffer
    .group_segment_fixed_size: 2056
    .kernarg_segment_align: 8
    .kernarg_segment_size: 88
    .language:       OpenCL C
    .language_version:
      - 2
      - 0
    .max_flat_workgroup_size: 256
    .name:           _ZN9rocsparseL44csr2gebsr_wavefront_per_row_multipass_kernelILi256ELi32ELi2ELi64EdEEv20rocsparse_direction_iiiiii21rocsparse_index_base_PKT3_PKiS7_S2_PS3_PiS9_
    .private_segment_fixed_size: 0
    .sgpr_count:     25
    .sgpr_spill_count: 0
    .symbol:         _ZN9rocsparseL44csr2gebsr_wavefront_per_row_multipass_kernelILi256ELi32ELi2ELi64EdEEv20rocsparse_direction_iiiiii21rocsparse_index_base_PKT3_PKiS7_S2_PS3_PiS9_.kd
    .uniform_work_group_size: 1
    .uses_dynamic_stack: false
    .vgpr_count:     37
    .vgpr_spill_count: 0
    .wavefront_size: 32
  - .args:
      - .offset:         0
        .size:           4
        .value_kind:     by_value
      - .offset:         4
        .size:           4
        .value_kind:     by_value
      - .offset:         8
        .size:           4
        .value_kind:     by_value
      - .offset:         12
        .size:           4
        .value_kind:     by_value
      - .offset:         16
        .size:           4
        .value_kind:     by_value
      - .offset:         20
        .size:           4
        .value_kind:     by_value
      - .offset:         24
        .size:           4
        .value_kind:     by_value
      - .offset:         28
        .size:           4
        .value_kind:     by_value
      - .actual_access:  read_only
        .address_space:  global
        .offset:         32
        .size:           8
        .value_kind:     global_buffer
      - .actual_access:  read_only
        .address_space:  global
        .offset:         40
        .size:           8
        .value_kind:     global_buffer
      - .actual_access:  read_only
        .address_space:  global
        .offset:         48
        .size:           8
        .value_kind:     global_buffer
      - .offset:         56
        .size:           4
        .value_kind:     by_value
      - .actual_access:  write_only
        .address_space:  global
        .offset:         64
        .size:           8
        .value_kind:     global_buffer
      - .actual_access:  read_only
        .address_space:  global
        .offset:         72
        .size:           8
        .value_kind:     global_buffer
      - .actual_access:  write_only
        .address_space:  global
        .offset:         80
        .size:           8
        .value_kind:     global_buffer
    .group_segment_fixed_size: 4104
    .kernarg_segment_align: 8
    .kernarg_segment_size: 88
    .language:       OpenCL C
    .language_version:
      - 2
      - 0
    .max_flat_workgroup_size: 256
    .name:           _ZN9rocsparseL44csr2gebsr_wavefront_per_row_multipass_kernelILi256ELi32ELi2ELi32EdEEv20rocsparse_direction_iiiiii21rocsparse_index_base_PKT3_PKiS7_S2_PS3_PiS9_
    .private_segment_fixed_size: 0
    .sgpr_count:     28
    .sgpr_spill_count: 0
    .symbol:         _ZN9rocsparseL44csr2gebsr_wavefront_per_row_multipass_kernelILi256ELi32ELi2ELi32EdEEv20rocsparse_direction_iiiiii21rocsparse_index_base_PKT3_PKiS7_S2_PS3_PiS9_.kd
    .uniform_work_group_size: 1
    .uses_dynamic_stack: false
    .vgpr_count:     35
    .vgpr_spill_count: 0
    .wavefront_size: 32
  - .args:
      - .offset:         0
        .size:           4
        .value_kind:     by_value
      - .offset:         4
        .size:           4
        .value_kind:     by_value
      - .offset:         8
        .size:           4
        .value_kind:     by_value
      - .offset:         12
        .size:           4
        .value_kind:     by_value
      - .offset:         16
        .size:           4
        .value_kind:     by_value
      - .offset:         20
        .size:           4
        .value_kind:     by_value
      - .offset:         24
        .size:           4
        .value_kind:     by_value
      - .offset:         28
        .size:           4
        .value_kind:     by_value
      - .actual_access:  read_only
        .address_space:  global
        .offset:         32
        .size:           8
        .value_kind:     global_buffer
      - .actual_access:  read_only
        .address_space:  global
        .offset:         40
        .size:           8
        .value_kind:     global_buffer
      - .actual_access:  read_only
        .address_space:  global
        .offset:         48
        .size:           8
        .value_kind:     global_buffer
      - .offset:         56
        .size:           4
        .value_kind:     by_value
      - .actual_access:  write_only
        .address_space:  global
        .offset:         64
        .size:           8
        .value_kind:     global_buffer
      - .actual_access:  read_only
        .address_space:  global
        .offset:         72
        .size:           8
        .value_kind:     global_buffer
      - .actual_access:  write_only
        .address_space:  global
        .offset:         80
        .size:           8
        .value_kind:     global_buffer
    .group_segment_fixed_size: 4104
    .kernarg_segment_align: 8
    .kernarg_segment_size: 88
    .language:       OpenCL C
    .language_version:
      - 2
      - 0
    .max_flat_workgroup_size: 256
    .name:           _ZN9rocsparseL44csr2gebsr_wavefront_per_row_multipass_kernelILi256ELi32ELi4ELi64EdEEv20rocsparse_direction_iiiiii21rocsparse_index_base_PKT3_PKiS7_S2_PS3_PiS9_
    .private_segment_fixed_size: 0
    .sgpr_count:     26
    .sgpr_spill_count: 0
    .symbol:         _ZN9rocsparseL44csr2gebsr_wavefront_per_row_multipass_kernelILi256ELi32ELi4ELi64EdEEv20rocsparse_direction_iiiiii21rocsparse_index_base_PKT3_PKiS7_S2_PS3_PiS9_.kd
    .uniform_work_group_size: 1
    .uses_dynamic_stack: false
    .vgpr_count:     41
    .vgpr_spill_count: 0
    .wavefront_size: 32
  - .args:
      - .offset:         0
        .size:           4
        .value_kind:     by_value
      - .offset:         4
        .size:           4
        .value_kind:     by_value
      - .offset:         8
        .size:           4
        .value_kind:     by_value
      - .offset:         12
        .size:           4
        .value_kind:     by_value
      - .offset:         16
        .size:           4
        .value_kind:     by_value
      - .offset:         20
        .size:           4
        .value_kind:     by_value
      - .offset:         24
        .size:           4
        .value_kind:     by_value
      - .offset:         28
        .size:           4
        .value_kind:     by_value
      - .actual_access:  read_only
        .address_space:  global
        .offset:         32
        .size:           8
        .value_kind:     global_buffer
      - .actual_access:  read_only
        .address_space:  global
        .offset:         40
        .size:           8
        .value_kind:     global_buffer
      - .actual_access:  read_only
        .address_space:  global
        .offset:         48
        .size:           8
        .value_kind:     global_buffer
      - .offset:         56
        .size:           4
        .value_kind:     by_value
      - .actual_access:  write_only
        .address_space:  global
        .offset:         64
        .size:           8
        .value_kind:     global_buffer
      - .actual_access:  read_only
        .address_space:  global
        .offset:         72
        .size:           8
        .value_kind:     global_buffer
      - .actual_access:  write_only
        .address_space:  global
        .offset:         80
        .size:           8
        .value_kind:     global_buffer
    .group_segment_fixed_size: 8200
    .kernarg_segment_align: 8
    .kernarg_segment_size: 88
    .language:       OpenCL C
    .language_version:
      - 2
      - 0
    .max_flat_workgroup_size: 256
    .name:           _ZN9rocsparseL44csr2gebsr_wavefront_per_row_multipass_kernelILi256ELi32ELi4ELi32EdEEv20rocsparse_direction_iiiiii21rocsparse_index_base_PKT3_PKiS7_S2_PS3_PiS9_
    .private_segment_fixed_size: 0
    .sgpr_count:     42
    .sgpr_spill_count: 0
    .symbol:         _ZN9rocsparseL44csr2gebsr_wavefront_per_row_multipass_kernelILi256ELi32ELi4ELi32EdEEv20rocsparse_direction_iiiiii21rocsparse_index_base_PKT3_PKiS7_S2_PS3_PiS9_.kd
    .uniform_work_group_size: 1
    .uses_dynamic_stack: false
    .vgpr_count:     35
    .vgpr_spill_count: 0
    .wavefront_size: 32
  - .args:
      - .offset:         0
        .size:           4
        .value_kind:     by_value
      - .offset:         4
        .size:           4
        .value_kind:     by_value
      - .offset:         8
        .size:           4
        .value_kind:     by_value
      - .offset:         12
        .size:           4
        .value_kind:     by_value
      - .offset:         16
        .size:           4
        .value_kind:     by_value
      - .offset:         20
        .size:           4
        .value_kind:     by_value
      - .offset:         24
        .size:           4
        .value_kind:     by_value
      - .offset:         28
        .size:           4
        .value_kind:     by_value
      - .actual_access:  read_only
        .address_space:  global
        .offset:         32
        .size:           8
        .value_kind:     global_buffer
      - .actual_access:  read_only
        .address_space:  global
        .offset:         40
        .size:           8
        .value_kind:     global_buffer
      - .actual_access:  read_only
        .address_space:  global
        .offset:         48
        .size:           8
        .value_kind:     global_buffer
      - .offset:         56
        .size:           4
        .value_kind:     by_value
      - .actual_access:  write_only
        .address_space:  global
        .offset:         64
        .size:           8
        .value_kind:     global_buffer
      - .actual_access:  read_only
        .address_space:  global
        .offset:         72
        .size:           8
        .value_kind:     global_buffer
      - .actual_access:  write_only
        .address_space:  global
        .offset:         80
        .size:           8
        .value_kind:     global_buffer
    .group_segment_fixed_size: 8200
    .kernarg_segment_align: 8
    .kernarg_segment_size: 88
    .language:       OpenCL C
    .language_version:
      - 2
      - 0
    .max_flat_workgroup_size: 256
    .name:           _ZN9rocsparseL44csr2gebsr_wavefront_per_row_multipass_kernelILi256ELi32ELi8ELi64EdEEv20rocsparse_direction_iiiiii21rocsparse_index_base_PKT3_PKiS7_S2_PS3_PiS9_
    .private_segment_fixed_size: 0
    .sgpr_count:     28
    .sgpr_spill_count: 0
    .symbol:         _ZN9rocsparseL44csr2gebsr_wavefront_per_row_multipass_kernelILi256ELi32ELi8ELi64EdEEv20rocsparse_direction_iiiiii21rocsparse_index_base_PKT3_PKiS7_S2_PS3_PiS9_.kd
    .uniform_work_group_size: 1
    .uses_dynamic_stack: false
    .vgpr_count:     45
    .vgpr_spill_count: 0
    .wavefront_size: 32
  - .args:
      - .offset:         0
        .size:           4
        .value_kind:     by_value
      - .offset:         4
        .size:           4
        .value_kind:     by_value
      - .offset:         8
        .size:           4
        .value_kind:     by_value
      - .offset:         12
        .size:           4
        .value_kind:     by_value
      - .offset:         16
        .size:           4
        .value_kind:     by_value
      - .offset:         20
        .size:           4
        .value_kind:     by_value
      - .offset:         24
        .size:           4
        .value_kind:     by_value
      - .offset:         28
        .size:           4
        .value_kind:     by_value
      - .actual_access:  read_only
        .address_space:  global
        .offset:         32
        .size:           8
        .value_kind:     global_buffer
      - .actual_access:  read_only
        .address_space:  global
        .offset:         40
        .size:           8
        .value_kind:     global_buffer
      - .actual_access:  read_only
        .address_space:  global
        .offset:         48
        .size:           8
        .value_kind:     global_buffer
      - .offset:         56
        .size:           4
        .value_kind:     by_value
      - .actual_access:  write_only
        .address_space:  global
        .offset:         64
        .size:           8
        .value_kind:     global_buffer
      - .actual_access:  read_only
        .address_space:  global
        .offset:         72
        .size:           8
        .value_kind:     global_buffer
      - .actual_access:  write_only
        .address_space:  global
        .offset:         80
        .size:           8
        .value_kind:     global_buffer
    .group_segment_fixed_size: 16392
    .kernarg_segment_align: 8
    .kernarg_segment_size: 88
    .language:       OpenCL C
    .language_version:
      - 2
      - 0
    .max_flat_workgroup_size: 256
    .name:           _ZN9rocsparseL44csr2gebsr_wavefront_per_row_multipass_kernelILi256ELi32ELi8ELi32EdEEv20rocsparse_direction_iiiiii21rocsparse_index_base_PKT3_PKiS7_S2_PS3_PiS9_
    .private_segment_fixed_size: 0
    .sgpr_count:     50
    .sgpr_spill_count: 0
    .symbol:         _ZN9rocsparseL44csr2gebsr_wavefront_per_row_multipass_kernelILi256ELi32ELi8ELi32EdEEv20rocsparse_direction_iiiiii21rocsparse_index_base_PKT3_PKiS7_S2_PS3_PiS9_.kd
    .uniform_work_group_size: 1
    .uses_dynamic_stack: false
    .vgpr_count:     35
    .vgpr_spill_count: 0
    .wavefront_size: 32
  - .args:
      - .offset:         0
        .size:           4
        .value_kind:     by_value
      - .offset:         4
        .size:           4
        .value_kind:     by_value
      - .offset:         8
        .size:           4
        .value_kind:     by_value
      - .offset:         12
        .size:           4
        .value_kind:     by_value
      - .offset:         16
        .size:           4
        .value_kind:     by_value
      - .offset:         20
        .size:           4
        .value_kind:     by_value
      - .offset:         24
        .size:           4
        .value_kind:     by_value
      - .offset:         28
        .size:           4
        .value_kind:     by_value
      - .actual_access:  read_only
        .address_space:  global
        .offset:         32
        .size:           8
        .value_kind:     global_buffer
      - .actual_access:  read_only
        .address_space:  global
        .offset:         40
        .size:           8
        .value_kind:     global_buffer
      - .actual_access:  read_only
        .address_space:  global
        .offset:         48
        .size:           8
        .value_kind:     global_buffer
      - .offset:         56
        .size:           4
        .value_kind:     by_value
      - .actual_access:  write_only
        .address_space:  global
        .offset:         64
        .size:           8
        .value_kind:     global_buffer
      - .actual_access:  read_only
        .address_space:  global
        .offset:         72
        .size:           8
        .value_kind:     global_buffer
      - .actual_access:  write_only
        .address_space:  global
        .offset:         80
        .size:           8
        .value_kind:     global_buffer
    .group_segment_fixed_size: 4104
    .kernarg_segment_align: 8
    .kernarg_segment_size: 88
    .language:       OpenCL C
    .language_version:
      - 2
      - 0
    .max_flat_workgroup_size: 256
    .name:           _ZN9rocsparseL40csr2gebsr_block_per_row_multipass_kernelILj256ELj32ELj16EdEEv20rocsparse_direction_iiiiii21rocsparse_index_base_PKT2_PKiS7_S2_PS3_PiS9_
    .private_segment_fixed_size: 0
    .sgpr_count:     38
    .sgpr_spill_count: 0
    .symbol:         _ZN9rocsparseL40csr2gebsr_block_per_row_multipass_kernelILj256ELj32ELj16EdEEv20rocsparse_direction_iiiiii21rocsparse_index_base_PKT2_PKiS7_S2_PS3_PiS9_.kd
    .uniform_work_group_size: 1
    .uses_dynamic_stack: false
    .vgpr_count:     32
    .vgpr_spill_count: 0
    .wavefront_size: 32
  - .args:
      - .offset:         0
        .size:           4
        .value_kind:     by_value
      - .offset:         4
        .size:           4
        .value_kind:     by_value
      - .offset:         8
        .size:           4
        .value_kind:     by_value
      - .offset:         12
        .size:           4
        .value_kind:     by_value
      - .offset:         16
        .size:           4
        .value_kind:     by_value
      - .offset:         20
        .size:           4
        .value_kind:     by_value
      - .offset:         24
        .size:           4
        .value_kind:     by_value
      - .offset:         28
        .size:           4
        .value_kind:     by_value
      - .actual_access:  read_only
        .address_space:  global
        .offset:         32
        .size:           8
        .value_kind:     global_buffer
      - .actual_access:  read_only
        .address_space:  global
        .offset:         40
        .size:           8
        .value_kind:     global_buffer
      - .actual_access:  read_only
        .address_space:  global
        .offset:         48
        .size:           8
        .value_kind:     global_buffer
      - .offset:         56
        .size:           4
        .value_kind:     by_value
      - .actual_access:  write_only
        .address_space:  global
        .offset:         64
        .size:           8
        .value_kind:     global_buffer
      - .actual_access:  read_only
        .address_space:  global
        .offset:         72
        .size:           8
        .value_kind:     global_buffer
      - .actual_access:  write_only
        .address_space:  global
        .offset:         80
        .size:           8
        .value_kind:     global_buffer
    .group_segment_fixed_size: 8200
    .kernarg_segment_align: 8
    .kernarg_segment_size: 88
    .language:       OpenCL C
    .language_version:
      - 2
      - 0
    .max_flat_workgroup_size: 256
    .name:           _ZN9rocsparseL40csr2gebsr_block_per_row_multipass_kernelILj256ELj32ELj32EdEEv20rocsparse_direction_iiiiii21rocsparse_index_base_PKT2_PKiS7_S2_PS3_PiS9_
    .private_segment_fixed_size: 0
    .sgpr_count:     38
    .sgpr_spill_count: 0
    .symbol:         _ZN9rocsparseL40csr2gebsr_block_per_row_multipass_kernelILj256ELj32ELj32EdEEv20rocsparse_direction_iiiiii21rocsparse_index_base_PKT2_PKiS7_S2_PS3_PiS9_.kd
    .uniform_work_group_size: 1
    .uses_dynamic_stack: false
    .vgpr_count:     36
    .vgpr_spill_count: 0
    .wavefront_size: 32
  - .args:
      - .offset:         0
        .size:           4
        .value_kind:     by_value
      - .offset:         4
        .size:           4
        .value_kind:     by_value
      - .offset:         8
        .size:           4
        .value_kind:     by_value
      - .offset:         12
        .size:           4
        .value_kind:     by_value
      - .offset:         16
        .size:           4
        .value_kind:     by_value
      - .offset:         20
        .size:           4
        .value_kind:     by_value
      - .offset:         24
        .size:           4
        .value_kind:     by_value
      - .offset:         28
        .size:           4
        .value_kind:     by_value
      - .actual_access:  read_only
        .address_space:  global
        .offset:         32
        .size:           8
        .value_kind:     global_buffer
      - .actual_access:  read_only
        .address_space:  global
        .offset:         40
        .size:           8
        .value_kind:     global_buffer
      - .actual_access:  read_only
        .address_space:  global
        .offset:         48
        .size:           8
        .value_kind:     global_buffer
      - .offset:         56
        .size:           4
        .value_kind:     by_value
      - .actual_access:  write_only
        .address_space:  global
        .offset:         64
        .size:           8
        .value_kind:     global_buffer
      - .actual_access:  read_only
        .address_space:  global
        .offset:         72
        .size:           8
        .value_kind:     global_buffer
      - .actual_access:  write_only
        .address_space:  global
        .offset:         80
        .size:           8
        .value_kind:     global_buffer
    .group_segment_fixed_size: 16392
    .kernarg_segment_align: 8
    .kernarg_segment_size: 88
    .language:       OpenCL C
    .language_version:
      - 2
      - 0
    .max_flat_workgroup_size: 256
    .name:           _ZN9rocsparseL40csr2gebsr_block_per_row_multipass_kernelILj256ELj32ELj64EdEEv20rocsparse_direction_iiiiii21rocsparse_index_base_PKT2_PKiS7_S2_PS3_PiS9_
    .private_segment_fixed_size: 0
    .sgpr_count:     42
    .sgpr_spill_count: 0
    .symbol:         _ZN9rocsparseL40csr2gebsr_block_per_row_multipass_kernelILj256ELj32ELj64EdEEv20rocsparse_direction_iiiiii21rocsparse_index_base_PKT2_PKiS7_S2_PS3_PiS9_.kd
    .uniform_work_group_size: 1
    .uses_dynamic_stack: false
    .vgpr_count:     44
    .vgpr_spill_count: 0
    .wavefront_size: 32
  - .args:
      - .offset:         0
        .size:           4
        .value_kind:     by_value
      - .offset:         4
        .size:           4
        .value_kind:     by_value
      - .offset:         8
        .size:           4
        .value_kind:     by_value
      - .offset:         12
        .size:           4
        .value_kind:     by_value
      - .offset:         16
        .size:           4
        .value_kind:     by_value
      - .offset:         20
        .size:           4
        .value_kind:     by_value
      - .offset:         24
        .size:           4
        .value_kind:     by_value
      - .offset:         28
        .size:           4
        .value_kind:     by_value
      - .actual_access:  read_only
        .address_space:  global
        .offset:         32
        .size:           8
        .value_kind:     global_buffer
      - .actual_access:  read_only
        .address_space:  global
        .offset:         40
        .size:           8
        .value_kind:     global_buffer
      - .actual_access:  read_only
        .address_space:  global
        .offset:         48
        .size:           8
        .value_kind:     global_buffer
      - .offset:         56
        .size:           4
        .value_kind:     by_value
      - .actual_access:  write_only
        .address_space:  global
        .offset:         64
        .size:           8
        .value_kind:     global_buffer
      - .actual_access:  read_only
        .address_space:  global
        .offset:         72
        .size:           8
        .value_kind:     global_buffer
      - .actual_access:  write_only
        .address_space:  global
        .offset:         80
        .size:           8
        .value_kind:     global_buffer
    .group_segment_fixed_size: 1032
    .kernarg_segment_align: 8
    .kernarg_segment_size: 88
    .language:       OpenCL C
    .language_version:
      - 2
      - 0
    .max_flat_workgroup_size: 128
    .name:           _ZN9rocsparseL40csr2gebsr_block_per_row_multipass_kernelILj128ELj64ELj2EdEEv20rocsparse_direction_iiiiii21rocsparse_index_base_PKT2_PKiS7_S2_PS3_PiS9_
    .private_segment_fixed_size: 0
    .sgpr_count:     33
    .sgpr_spill_count: 0
    .symbol:         _ZN9rocsparseL40csr2gebsr_block_per_row_multipass_kernelILj128ELj64ELj2EdEEv20rocsparse_direction_iiiiii21rocsparse_index_base_PKT2_PKiS7_S2_PS3_PiS9_.kd
    .uniform_work_group_size: 1
    .uses_dynamic_stack: false
    .vgpr_count:     25
    .vgpr_spill_count: 0
    .wavefront_size: 32
  - .args:
      - .offset:         0
        .size:           4
        .value_kind:     by_value
      - .offset:         4
        .size:           4
        .value_kind:     by_value
      - .offset:         8
        .size:           4
        .value_kind:     by_value
      - .offset:         12
        .size:           4
        .value_kind:     by_value
      - .offset:         16
        .size:           4
        .value_kind:     by_value
      - .offset:         20
        .size:           4
        .value_kind:     by_value
      - .offset:         24
        .size:           4
        .value_kind:     by_value
      - .offset:         28
        .size:           4
        .value_kind:     by_value
      - .actual_access:  read_only
        .address_space:  global
        .offset:         32
        .size:           8
        .value_kind:     global_buffer
      - .actual_access:  read_only
        .address_space:  global
        .offset:         40
        .size:           8
        .value_kind:     global_buffer
      - .actual_access:  read_only
        .address_space:  global
        .offset:         48
        .size:           8
        .value_kind:     global_buffer
      - .offset:         56
        .size:           4
        .value_kind:     by_value
      - .actual_access:  write_only
        .address_space:  global
        .offset:         64
        .size:           8
        .value_kind:     global_buffer
      - .actual_access:  read_only
        .address_space:  global
        .offset:         72
        .size:           8
        .value_kind:     global_buffer
      - .actual_access:  write_only
        .address_space:  global
        .offset:         80
        .size:           8
        .value_kind:     global_buffer
    .group_segment_fixed_size: 2056
    .kernarg_segment_align: 8
    .kernarg_segment_size: 88
    .language:       OpenCL C
    .language_version:
      - 2
      - 0
    .max_flat_workgroup_size: 256
    .name:           _ZN9rocsparseL40csr2gebsr_block_per_row_multipass_kernelILj256ELj64ELj4EdEEv20rocsparse_direction_iiiiii21rocsparse_index_base_PKT2_PKiS7_S2_PS3_PiS9_
    .private_segment_fixed_size: 0
    .sgpr_count:     34
    .sgpr_spill_count: 0
    .symbol:         _ZN9rocsparseL40csr2gebsr_block_per_row_multipass_kernelILj256ELj64ELj4EdEEv20rocsparse_direction_iiiiii21rocsparse_index_base_PKT2_PKiS7_S2_PS3_PiS9_.kd
    .uniform_work_group_size: 1
    .uses_dynamic_stack: false
    .vgpr_count:     26
    .vgpr_spill_count: 0
    .wavefront_size: 32
  - .args:
      - .offset:         0
        .size:           4
        .value_kind:     by_value
      - .offset:         4
        .size:           4
        .value_kind:     by_value
      - .offset:         8
        .size:           4
        .value_kind:     by_value
      - .offset:         12
        .size:           4
        .value_kind:     by_value
      - .offset:         16
        .size:           4
        .value_kind:     by_value
      - .offset:         20
        .size:           4
        .value_kind:     by_value
      - .offset:         24
        .size:           4
        .value_kind:     by_value
      - .offset:         28
        .size:           4
        .value_kind:     by_value
      - .actual_access:  read_only
        .address_space:  global
        .offset:         32
        .size:           8
        .value_kind:     global_buffer
      - .actual_access:  read_only
        .address_space:  global
        .offset:         40
        .size:           8
        .value_kind:     global_buffer
      - .actual_access:  read_only
        .address_space:  global
        .offset:         48
        .size:           8
        .value_kind:     global_buffer
      - .offset:         56
        .size:           4
        .value_kind:     by_value
      - .actual_access:  write_only
        .address_space:  global
        .offset:         64
        .size:           8
        .value_kind:     global_buffer
      - .actual_access:  read_only
        .address_space:  global
        .offset:         72
        .size:           8
        .value_kind:     global_buffer
      - .actual_access:  write_only
        .address_space:  global
        .offset:         80
        .size:           8
        .value_kind:     global_buffer
    .group_segment_fixed_size: 4104
    .kernarg_segment_align: 8
    .kernarg_segment_size: 88
    .language:       OpenCL C
    .language_version:
      - 2
      - 0
    .max_flat_workgroup_size: 256
    .name:           _ZN9rocsparseL40csr2gebsr_block_per_row_multipass_kernelILj256ELj64ELj8EdEEv20rocsparse_direction_iiiiii21rocsparse_index_base_PKT2_PKiS7_S2_PS3_PiS9_
    .private_segment_fixed_size: 0
    .sgpr_count:     38
    .sgpr_spill_count: 0
    .symbol:         _ZN9rocsparseL40csr2gebsr_block_per_row_multipass_kernelILj256ELj64ELj8EdEEv20rocsparse_direction_iiiiii21rocsparse_index_base_PKT2_PKiS7_S2_PS3_PiS9_.kd
    .uniform_work_group_size: 1
    .uses_dynamic_stack: false
    .vgpr_count:     32
    .vgpr_spill_count: 0
    .wavefront_size: 32
  - .args:
      - .offset:         0
        .size:           4
        .value_kind:     by_value
      - .offset:         4
        .size:           4
        .value_kind:     by_value
      - .offset:         8
        .size:           4
        .value_kind:     by_value
      - .offset:         12
        .size:           4
        .value_kind:     by_value
      - .offset:         16
        .size:           4
        .value_kind:     by_value
      - .offset:         20
        .size:           4
        .value_kind:     by_value
      - .offset:         24
        .size:           4
        .value_kind:     by_value
      - .offset:         28
        .size:           4
        .value_kind:     by_value
      - .actual_access:  read_only
        .address_space:  global
        .offset:         32
        .size:           8
        .value_kind:     global_buffer
      - .actual_access:  read_only
        .address_space:  global
        .offset:         40
        .size:           8
        .value_kind:     global_buffer
      - .actual_access:  read_only
        .address_space:  global
        .offset:         48
        .size:           8
        .value_kind:     global_buffer
      - .offset:         56
        .size:           4
        .value_kind:     by_value
      - .actual_access:  write_only
        .address_space:  global
        .offset:         64
        .size:           8
        .value_kind:     global_buffer
      - .actual_access:  read_only
        .address_space:  global
        .offset:         72
        .size:           8
        .value_kind:     global_buffer
      - .actual_access:  write_only
        .address_space:  global
        .offset:         80
        .size:           8
        .value_kind:     global_buffer
    .group_segment_fixed_size: 8200
    .kernarg_segment_align: 8
    .kernarg_segment_size: 88
    .language:       OpenCL C
    .language_version:
      - 2
      - 0
    .max_flat_workgroup_size: 256
    .name:           _ZN9rocsparseL40csr2gebsr_block_per_row_multipass_kernelILj256ELj64ELj16EdEEv20rocsparse_direction_iiiiii21rocsparse_index_base_PKT2_PKiS7_S2_PS3_PiS9_
    .private_segment_fixed_size: 0
    .sgpr_count:     38
    .sgpr_spill_count: 0
    .symbol:         _ZN9rocsparseL40csr2gebsr_block_per_row_multipass_kernelILj256ELj64ELj16EdEEv20rocsparse_direction_iiiiii21rocsparse_index_base_PKT2_PKiS7_S2_PS3_PiS9_.kd
    .uniform_work_group_size: 1
    .uses_dynamic_stack: false
    .vgpr_count:     36
    .vgpr_spill_count: 0
    .wavefront_size: 32
  - .args:
      - .offset:         0
        .size:           4
        .value_kind:     by_value
      - .offset:         4
        .size:           4
        .value_kind:     by_value
      - .offset:         8
        .size:           4
        .value_kind:     by_value
      - .offset:         12
        .size:           4
        .value_kind:     by_value
      - .offset:         16
        .size:           4
        .value_kind:     by_value
      - .offset:         20
        .size:           4
        .value_kind:     by_value
      - .offset:         24
        .size:           4
        .value_kind:     by_value
      - .offset:         28
        .size:           4
        .value_kind:     by_value
      - .actual_access:  read_only
        .address_space:  global
        .offset:         32
        .size:           8
        .value_kind:     global_buffer
      - .actual_access:  read_only
        .address_space:  global
        .offset:         40
        .size:           8
        .value_kind:     global_buffer
      - .actual_access:  read_only
        .address_space:  global
        .offset:         48
        .size:           8
        .value_kind:     global_buffer
      - .offset:         56
        .size:           4
        .value_kind:     by_value
      - .actual_access:  write_only
        .address_space:  global
        .offset:         64
        .size:           8
        .value_kind:     global_buffer
      - .actual_access:  read_only
        .address_space:  global
        .offset:         72
        .size:           8
        .value_kind:     global_buffer
      - .actual_access:  write_only
        .address_space:  global
        .offset:         80
        .size:           8
        .value_kind:     global_buffer
    .group_segment_fixed_size: 16392
    .kernarg_segment_align: 8
    .kernarg_segment_size: 88
    .language:       OpenCL C
    .language_version:
      - 2
      - 0
    .max_flat_workgroup_size: 256
    .name:           _ZN9rocsparseL40csr2gebsr_block_per_row_multipass_kernelILj256ELj64ELj32EdEEv20rocsparse_direction_iiiiii21rocsparse_index_base_PKT2_PKiS7_S2_PS3_PiS9_
    .private_segment_fixed_size: 0
    .sgpr_count:     42
    .sgpr_spill_count: 0
    .symbol:         _ZN9rocsparseL40csr2gebsr_block_per_row_multipass_kernelILj256ELj64ELj32EdEEv20rocsparse_direction_iiiiii21rocsparse_index_base_PKT2_PKiS7_S2_PS3_PiS9_.kd
    .uniform_work_group_size: 1
    .uses_dynamic_stack: false
    .vgpr_count:     44
    .vgpr_spill_count: 0
    .wavefront_size: 32
  - .args:
      - .offset:         0
        .size:           4
        .value_kind:     by_value
      - .offset:         4
        .size:           4
        .value_kind:     by_value
      - .offset:         8
        .size:           4
        .value_kind:     by_value
      - .offset:         12
        .size:           4
        .value_kind:     by_value
      - .offset:         16
        .size:           4
        .value_kind:     by_value
      - .offset:         20
        .size:           4
        .value_kind:     by_value
      - .offset:         24
        .size:           4
        .value_kind:     by_value
      - .offset:         28
        .size:           4
        .value_kind:     by_value
      - .actual_access:  read_only
        .address_space:  global
        .offset:         32
        .size:           8
        .value_kind:     global_buffer
      - .actual_access:  read_only
        .address_space:  global
        .offset:         40
        .size:           8
        .value_kind:     global_buffer
      - .actual_access:  read_only
        .address_space:  global
        .offset:         48
        .size:           8
        .value_kind:     global_buffer
      - .offset:         56
        .size:           4
        .value_kind:     by_value
      - .actual_access:  write_only
        .address_space:  global
        .offset:         64
        .size:           8
        .value_kind:     global_buffer
      - .actual_access:  read_only
        .address_space:  global
        .offset:         72
        .size:           8
        .value_kind:     global_buffer
      - .actual_access:  write_only
        .address_space:  global
        .offset:         80
        .size:           8
        .value_kind:     global_buffer
    .group_segment_fixed_size: 32776
    .kernarg_segment_align: 8
    .kernarg_segment_size: 88
    .language:       OpenCL C
    .language_version:
      - 2
      - 0
    .max_flat_workgroup_size: 256
    .name:           _ZN9rocsparseL40csr2gebsr_block_per_row_multipass_kernelILj256ELj64ELj64EdEEv20rocsparse_direction_iiiiii21rocsparse_index_base_PKT2_PKiS7_S2_PS3_PiS9_
    .private_segment_fixed_size: 0
    .sgpr_count:     50
    .sgpr_spill_count: 0
    .symbol:         _ZN9rocsparseL40csr2gebsr_block_per_row_multipass_kernelILj256ELj64ELj64EdEEv20rocsparse_direction_iiiiii21rocsparse_index_base_PKT2_PKiS7_S2_PS3_PiS9_.kd
    .uniform_work_group_size: 1
    .uses_dynamic_stack: false
    .vgpr_count:     60
    .vgpr_spill_count: 0
    .wavefront_size: 32
  - .args:
      - .offset:         0
        .size:           4
        .value_kind:     by_value
      - .offset:         4
        .size:           4
        .value_kind:     by_value
      - .offset:         8
        .size:           4
        .value_kind:     by_value
      - .offset:         12
        .size:           4
        .value_kind:     by_value
      - .offset:         16
        .size:           4
        .value_kind:     by_value
      - .offset:         20
        .size:           4
        .value_kind:     by_value
      - .offset:         24
        .size:           4
        .value_kind:     by_value
      - .offset:         28
        .size:           4
        .value_kind:     by_value
      - .offset:         32
        .size:           4
        .value_kind:     by_value
      - .actual_access:  read_only
        .address_space:  global
        .offset:         40
        .size:           8
        .value_kind:     global_buffer
      - .actual_access:  read_only
        .address_space:  global
        .offset:         48
        .size:           8
        .value_kind:     global_buffer
      - .actual_access:  read_only
        .address_space:  global
        .offset:         56
        .size:           8
        .value_kind:     global_buffer
      - .offset:         64
        .size:           4
        .value_kind:     by_value
      - .actual_access:  write_only
        .address_space:  global
        .offset:         72
        .size:           8
        .value_kind:     global_buffer
      - .actual_access:  read_only
        .address_space:  global
        .offset:         80
        .size:           8
        .value_kind:     global_buffer
      - .actual_access:  write_only
        .address_space:  global
        .offset:         88
        .size:           8
        .value_kind:     global_buffer
      - .address_space:  global
        .offset:         96
        .size:           8
        .value_kind:     global_buffer
      - .address_space:  global
        .offset:         104
        .size:           8
        .value_kind:     global_buffer
    .group_segment_fixed_size: 0
    .kernarg_segment_align: 8
    .kernarg_segment_size: 112
    .language:       OpenCL C
    .language_version:
      - 2
      - 0
    .max_flat_workgroup_size: 32
    .name:           _ZN9rocsparseL23csr2gebsr_65_inf_kernelILi32EdEEv20rocsparse_direction_iiiiiii21rocsparse_index_base_PKT0_PKiS7_S2_PS3_PiS9_S9_S8_
    .private_segment_fixed_size: 0
    .sgpr_count:     39
    .sgpr_spill_count: 0
    .symbol:         _ZN9rocsparseL23csr2gebsr_65_inf_kernelILi32EdEEv20rocsparse_direction_iiiiiii21rocsparse_index_base_PKT0_PKiS7_S2_PS3_PiS9_S9_S8_.kd
    .uniform_work_group_size: 1
    .uses_dynamic_stack: false
    .vgpr_count:     39
    .vgpr_spill_count: 0
    .wavefront_size: 32
  - .args:
      - .offset:         0
        .size:           4
        .value_kind:     by_value
      - .offset:         4
        .size:           4
        .value_kind:     by_value
      - .offset:         8
        .size:           4
        .value_kind:     by_value
      - .offset:         12
        .size:           4
        .value_kind:     by_value
      - .offset:         16
        .size:           4
        .value_kind:     by_value
      - .address_space:  global
        .offset:         24
        .size:           8
        .value_kind:     global_buffer
      - .address_space:  global
        .offset:         32
        .size:           8
        .value_kind:     global_buffer
      - .address_space:  global
        .offset:         40
        .size:           8
        .value_kind:     global_buffer
      - .offset:         48
        .size:           4
        .value_kind:     by_value
      - .offset:         52
        .size:           4
        .value_kind:     by_value
      - .address_space:  global
        .offset:         56
        .size:           8
        .value_kind:     global_buffer
      - .address_space:  global
        .offset:         64
        .size:           8
        .value_kind:     global_buffer
      - .address_space:  global
        .offset:         72
        .size:           8
        .value_kind:     global_buffer
      - .offset:         80
        .size:           4
        .value_kind:     by_value
      - .offset:         84
        .size:           4
        .value_kind:     by_value
    .group_segment_fixed_size: 0
    .kernarg_segment_align: 8
    .kernarg_segment_size: 88
    .language:       OpenCL C
    .language_version:
      - 2
      - 0
    .max_flat_workgroup_size: 256
    .name:           _ZN9rocsparseL20csr2gebsr_kernel_bm1ILi256E21rocsparse_complex_numIfEEEviiii21rocsparse_index_base_PKT0_PKiS8_20rocsparse_direction_S3_PS4_S8_Piii
    .private_segment_fixed_size: 0
    .sgpr_count:     22
    .sgpr_spill_count: 0
    .symbol:         _ZN9rocsparseL20csr2gebsr_kernel_bm1ILi256E21rocsparse_complex_numIfEEEviiii21rocsparse_index_base_PKT0_PKiS8_20rocsparse_direction_S3_PS4_S8_Piii.kd
    .uniform_work_group_size: 1
    .uses_dynamic_stack: false
    .vgpr_count:     20
    .vgpr_spill_count: 0
    .wavefront_size: 32
  - .args:
      - .offset:         0
        .size:           4
        .value_kind:     by_value
      - .offset:         4
        .size:           4
        .value_kind:     by_value
      - .offset:         8
        .size:           4
        .value_kind:     by_value
      - .offset:         12
        .size:           4
        .value_kind:     by_value
      - .offset:         16
        .size:           4
        .value_kind:     by_value
      - .offset:         20
        .size:           4
        .value_kind:     by_value
      - .offset:         24
        .size:           4
        .value_kind:     by_value
      - .offset:         28
        .size:           4
        .value_kind:     by_value
      - .actual_access:  read_only
        .address_space:  global
        .offset:         32
        .size:           8
        .value_kind:     global_buffer
      - .actual_access:  read_only
        .address_space:  global
        .offset:         40
        .size:           8
        .value_kind:     global_buffer
      - .actual_access:  read_only
        .address_space:  global
        .offset:         48
        .size:           8
        .value_kind:     global_buffer
      - .offset:         56
        .size:           4
        .value_kind:     by_value
      - .actual_access:  write_only
        .address_space:  global
        .offset:         64
        .size:           8
        .value_kind:     global_buffer
      - .actual_access:  read_only
        .address_space:  global
        .offset:         72
        .size:           8
        .value_kind:     global_buffer
      - .actual_access:  write_only
        .address_space:  global
        .offset:         80
        .size:           8
        .value_kind:     global_buffer
    .group_segment_fixed_size: 2112
    .kernarg_segment_align: 8
    .kernarg_segment_size: 88
    .language:       OpenCL C
    .language_version:
      - 2
      - 0
    .max_flat_workgroup_size: 256
    .name:           _ZN9rocsparseL44csr2gebsr_wavefront_per_row_multipass_kernelILi256ELi2ELi2ELi4E21rocsparse_complex_numIfEEEv20rocsparse_direction_iiiiii21rocsparse_index_base_PKT3_PKiS9_S4_PS5_PiSB_
    .private_segment_fixed_size: 0
    .sgpr_count:     25
    .sgpr_spill_count: 0
    .symbol:         _ZN9rocsparseL44csr2gebsr_wavefront_per_row_multipass_kernelILi256ELi2ELi2ELi4E21rocsparse_complex_numIfEEEv20rocsparse_direction_iiiiii21rocsparse_index_base_PKT3_PKiS9_S4_PS5_PiSB_.kd
    .uniform_work_group_size: 1
    .uses_dynamic_stack: false
    .vgpr_count:     33
    .vgpr_spill_count: 0
    .wavefront_size: 32
  - .args:
      - .offset:         0
        .size:           4
        .value_kind:     by_value
      - .offset:         4
        .size:           4
        .value_kind:     by_value
      - .offset:         8
        .size:           4
        .value_kind:     by_value
      - .offset:         12
        .size:           4
        .value_kind:     by_value
      - .offset:         16
        .size:           4
        .value_kind:     by_value
      - .offset:         20
        .size:           4
        .value_kind:     by_value
      - .offset:         24
        .size:           4
        .value_kind:     by_value
      - .offset:         28
        .size:           4
        .value_kind:     by_value
      - .actual_access:  read_only
        .address_space:  global
        .offset:         32
        .size:           8
        .value_kind:     global_buffer
      - .actual_access:  read_only
        .address_space:  global
        .offset:         40
        .size:           8
        .value_kind:     global_buffer
      - .actual_access:  read_only
        .address_space:  global
        .offset:         48
        .size:           8
        .value_kind:     global_buffer
      - .offset:         56
        .size:           4
        .value_kind:     by_value
      - .actual_access:  write_only
        .address_space:  global
        .offset:         64
        .size:           8
        .value_kind:     global_buffer
      - .actual_access:  read_only
        .address_space:  global
        .offset:         72
        .size:           8
        .value_kind:     global_buffer
      - .actual_access:  write_only
        .address_space:  global
        .offset:         80
        .size:           8
        .value_kind:     global_buffer
    .group_segment_fixed_size: 2080
    .kernarg_segment_align: 8
    .kernarg_segment_size: 88
    .language:       OpenCL C
    .language_version:
      - 2
      - 0
    .max_flat_workgroup_size: 256
    .name:           _ZN9rocsparseL44csr2gebsr_wavefront_per_row_multipass_kernelILi256ELi2ELi4ELi8E21rocsparse_complex_numIfEEEv20rocsparse_direction_iiiiii21rocsparse_index_base_PKT3_PKiS9_S4_PS5_PiSB_
    .private_segment_fixed_size: 0
    .sgpr_count:     25
    .sgpr_spill_count: 0
    .symbol:         _ZN9rocsparseL44csr2gebsr_wavefront_per_row_multipass_kernelILi256ELi2ELi4ELi8E21rocsparse_complex_numIfEEEv20rocsparse_direction_iiiiii21rocsparse_index_base_PKT3_PKiS9_S4_PS5_PiSB_.kd
    .uniform_work_group_size: 1
    .uses_dynamic_stack: false
    .vgpr_count:     34
    .vgpr_spill_count: 0
    .wavefront_size: 32
  - .args:
      - .offset:         0
        .size:           4
        .value_kind:     by_value
      - .offset:         4
        .size:           4
        .value_kind:     by_value
      - .offset:         8
        .size:           4
        .value_kind:     by_value
      - .offset:         12
        .size:           4
        .value_kind:     by_value
      - .offset:         16
        .size:           4
        .value_kind:     by_value
      - .offset:         20
        .size:           4
        .value_kind:     by_value
      - .offset:         24
        .size:           4
        .value_kind:     by_value
      - .offset:         28
        .size:           4
        .value_kind:     by_value
      - .actual_access:  read_only
        .address_space:  global
        .offset:         32
        .size:           8
        .value_kind:     global_buffer
      - .actual_access:  read_only
        .address_space:  global
        .offset:         40
        .size:           8
        .value_kind:     global_buffer
      - .actual_access:  read_only
        .address_space:  global
        .offset:         48
        .size:           8
        .value_kind:     global_buffer
      - .offset:         56
        .size:           4
        .value_kind:     by_value
      - .actual_access:  write_only
        .address_space:  global
        .offset:         64
        .size:           8
        .value_kind:     global_buffer
      - .actual_access:  read_only
        .address_space:  global
        .offset:         72
        .size:           8
        .value_kind:     global_buffer
      - .actual_access:  write_only
        .address_space:  global
        .offset:         80
        .size:           8
        .value_kind:     global_buffer
    .group_segment_fixed_size: 2064
    .kernarg_segment_align: 8
    .kernarg_segment_size: 88
    .language:       OpenCL C
    .language_version:
      - 2
      - 0
    .max_flat_workgroup_size: 256
    .name:           _ZN9rocsparseL44csr2gebsr_wavefront_per_row_multipass_kernelILi256ELi2ELi8ELi16E21rocsparse_complex_numIfEEEv20rocsparse_direction_iiiiii21rocsparse_index_base_PKT3_PKiS9_S4_PS5_PiSB_
    .private_segment_fixed_size: 0
    .sgpr_count:     25
    .sgpr_spill_count: 0
    .symbol:         _ZN9rocsparseL44csr2gebsr_wavefront_per_row_multipass_kernelILi256ELi2ELi8ELi16E21rocsparse_complex_numIfEEEv20rocsparse_direction_iiiiii21rocsparse_index_base_PKT3_PKiS9_S4_PS5_PiSB_.kd
    .uniform_work_group_size: 1
    .uses_dynamic_stack: false
    .vgpr_count:     35
    .vgpr_spill_count: 0
    .wavefront_size: 32
  - .args:
      - .offset:         0
        .size:           4
        .value_kind:     by_value
      - .offset:         4
        .size:           4
        .value_kind:     by_value
      - .offset:         8
        .size:           4
        .value_kind:     by_value
      - .offset:         12
        .size:           4
        .value_kind:     by_value
      - .offset:         16
        .size:           4
        .value_kind:     by_value
      - .offset:         20
        .size:           4
        .value_kind:     by_value
      - .offset:         24
        .size:           4
        .value_kind:     by_value
      - .offset:         28
        .size:           4
        .value_kind:     by_value
      - .actual_access:  read_only
        .address_space:  global
        .offset:         32
        .size:           8
        .value_kind:     global_buffer
      - .actual_access:  read_only
        .address_space:  global
        .offset:         40
        .size:           8
        .value_kind:     global_buffer
      - .actual_access:  read_only
        .address_space:  global
        .offset:         48
        .size:           8
        .value_kind:     global_buffer
      - .offset:         56
        .size:           4
        .value_kind:     by_value
      - .actual_access:  write_only
        .address_space:  global
        .offset:         64
        .size:           8
        .value_kind:     global_buffer
      - .actual_access:  read_only
        .address_space:  global
        .offset:         72
        .size:           8
        .value_kind:     global_buffer
      - .actual_access:  write_only
        .address_space:  global
        .offset:         80
        .size:           8
        .value_kind:     global_buffer
    .group_segment_fixed_size: 2056
    .kernarg_segment_align: 8
    .kernarg_segment_size: 88
    .language:       OpenCL C
    .language_version:
      - 2
      - 0
    .max_flat_workgroup_size: 256
    .name:           _ZN9rocsparseL44csr2gebsr_wavefront_per_row_multipass_kernelILi256ELi2ELi16ELi32E21rocsparse_complex_numIfEEEv20rocsparse_direction_iiiiii21rocsparse_index_base_PKT3_PKiS9_S4_PS5_PiSB_
    .private_segment_fixed_size: 0
    .sgpr_count:     25
    .sgpr_spill_count: 0
    .symbol:         _ZN9rocsparseL44csr2gebsr_wavefront_per_row_multipass_kernelILi256ELi2ELi16ELi32E21rocsparse_complex_numIfEEEv20rocsparse_direction_iiiiii21rocsparse_index_base_PKT3_PKiS9_S4_PS5_PiSB_.kd
    .uniform_work_group_size: 1
    .uses_dynamic_stack: false
    .vgpr_count:     36
    .vgpr_spill_count: 0
    .wavefront_size: 32
  - .args:
      - .offset:         0
        .size:           4
        .value_kind:     by_value
      - .offset:         4
        .size:           4
        .value_kind:     by_value
      - .offset:         8
        .size:           4
        .value_kind:     by_value
      - .offset:         12
        .size:           4
        .value_kind:     by_value
      - .offset:         16
        .size:           4
        .value_kind:     by_value
      - .offset:         20
        .size:           4
        .value_kind:     by_value
      - .offset:         24
        .size:           4
        .value_kind:     by_value
      - .offset:         28
        .size:           4
        .value_kind:     by_value
      - .actual_access:  read_only
        .address_space:  global
        .offset:         32
        .size:           8
        .value_kind:     global_buffer
      - .actual_access:  read_only
        .address_space:  global
        .offset:         40
        .size:           8
        .value_kind:     global_buffer
      - .actual_access:  read_only
        .address_space:  global
        .offset:         48
        .size:           8
        .value_kind:     global_buffer
      - .offset:         56
        .size:           4
        .value_kind:     by_value
      - .actual_access:  write_only
        .address_space:  global
        .offset:         64
        .size:           8
        .value_kind:     global_buffer
      - .actual_access:  read_only
        .address_space:  global
        .offset:         72
        .size:           8
        .value_kind:     global_buffer
      - .actual_access:  write_only
        .address_space:  global
        .offset:         80
        .size:           8
        .value_kind:     global_buffer
    .group_segment_fixed_size: 2052
    .kernarg_segment_align: 8
    .kernarg_segment_size: 88
    .language:       OpenCL C
    .language_version:
      - 2
      - 0
    .max_flat_workgroup_size: 256
    .name:           _ZN9rocsparseL44csr2gebsr_wavefront_per_row_multipass_kernelILi256ELi2ELi32ELi64E21rocsparse_complex_numIfEEEv20rocsparse_direction_iiiiii21rocsparse_index_base_PKT3_PKiS9_S4_PS5_PiSB_
    .private_segment_fixed_size: 0
    .sgpr_count:     25
    .sgpr_spill_count: 0
    .symbol:         _ZN9rocsparseL44csr2gebsr_wavefront_per_row_multipass_kernelILi256ELi2ELi32ELi64E21rocsparse_complex_numIfEEEv20rocsparse_direction_iiiiii21rocsparse_index_base_PKT3_PKiS9_S4_PS5_PiSB_.kd
    .uniform_work_group_size: 1
    .uses_dynamic_stack: false
    .vgpr_count:     37
    .vgpr_spill_count: 0
    .wavefront_size: 32
  - .args:
      - .offset:         0
        .size:           4
        .value_kind:     by_value
      - .offset:         4
        .size:           4
        .value_kind:     by_value
      - .offset:         8
        .size:           4
        .value_kind:     by_value
      - .offset:         12
        .size:           4
        .value_kind:     by_value
      - .offset:         16
        .size:           4
        .value_kind:     by_value
      - .offset:         20
        .size:           4
        .value_kind:     by_value
      - .offset:         24
        .size:           4
        .value_kind:     by_value
      - .offset:         28
        .size:           4
        .value_kind:     by_value
      - .actual_access:  read_only
        .address_space:  global
        .offset:         32
        .size:           8
        .value_kind:     global_buffer
      - .actual_access:  read_only
        .address_space:  global
        .offset:         40
        .size:           8
        .value_kind:     global_buffer
      - .actual_access:  read_only
        .address_space:  global
        .offset:         48
        .size:           8
        .value_kind:     global_buffer
      - .offset:         56
        .size:           4
        .value_kind:     by_value
      - .actual_access:  write_only
        .address_space:  global
        .offset:         64
        .size:           8
        .value_kind:     global_buffer
      - .actual_access:  read_only
        .address_space:  global
        .offset:         72
        .size:           8
        .value_kind:     global_buffer
      - .actual_access:  write_only
        .address_space:  global
        .offset:         80
        .size:           8
        .value_kind:     global_buffer
    .group_segment_fixed_size: 4104
    .kernarg_segment_align: 8
    .kernarg_segment_size: 88
    .language:       OpenCL C
    .language_version:
      - 2
      - 0
    .max_flat_workgroup_size: 256
    .name:           _ZN9rocsparseL44csr2gebsr_wavefront_per_row_multipass_kernelILi256ELi2ELi32ELi32E21rocsparse_complex_numIfEEEv20rocsparse_direction_iiiiii21rocsparse_index_base_PKT3_PKiS9_S4_PS5_PiSB_
    .private_segment_fixed_size: 0
    .sgpr_count:     26
    .sgpr_spill_count: 0
    .symbol:         _ZN9rocsparseL44csr2gebsr_wavefront_per_row_multipass_kernelILi256ELi2ELi32ELi32E21rocsparse_complex_numIfEEEv20rocsparse_direction_iiiiii21rocsparse_index_base_PKT3_PKiS9_S4_PS5_PiSB_.kd
    .uniform_work_group_size: 1
    .uses_dynamic_stack: false
    .vgpr_count:     40
    .vgpr_spill_count: 0
    .wavefront_size: 32
  - .args:
      - .offset:         0
        .size:           4
        .value_kind:     by_value
      - .offset:         4
        .size:           4
        .value_kind:     by_value
      - .offset:         8
        .size:           4
        .value_kind:     by_value
      - .offset:         12
        .size:           4
        .value_kind:     by_value
      - .offset:         16
        .size:           4
        .value_kind:     by_value
      - .offset:         20
        .size:           4
        .value_kind:     by_value
      - .offset:         24
        .size:           4
        .value_kind:     by_value
      - .offset:         28
        .size:           4
        .value_kind:     by_value
      - .actual_access:  read_only
        .address_space:  global
        .offset:         32
        .size:           8
        .value_kind:     global_buffer
      - .actual_access:  read_only
        .address_space:  global
        .offset:         40
        .size:           8
        .value_kind:     global_buffer
      - .actual_access:  read_only
        .address_space:  global
        .offset:         48
        .size:           8
        .value_kind:     global_buffer
      - .offset:         56
        .size:           4
        .value_kind:     by_value
      - .actual_access:  write_only
        .address_space:  global
        .offset:         64
        .size:           8
        .value_kind:     global_buffer
      - .actual_access:  read_only
        .address_space:  global
        .offset:         72
        .size:           8
        .value_kind:     global_buffer
      - .actual_access:  write_only
        .address_space:  global
        .offset:         80
        .size:           8
        .value_kind:     global_buffer
    .group_segment_fixed_size: 4100
    .kernarg_segment_align: 8
    .kernarg_segment_size: 88
    .language:       OpenCL C
    .language_version:
      - 2
      - 0
    .max_flat_workgroup_size: 256
    .name:           _ZN9rocsparseL44csr2gebsr_wavefront_per_row_multipass_kernelILi256ELi2ELi64ELi64E21rocsparse_complex_numIfEEEv20rocsparse_direction_iiiiii21rocsparse_index_base_PKT3_PKiS9_S4_PS5_PiSB_
    .private_segment_fixed_size: 0
    .sgpr_count:     26
    .sgpr_spill_count: 0
    .symbol:         _ZN9rocsparseL44csr2gebsr_wavefront_per_row_multipass_kernelILi256ELi2ELi64ELi64E21rocsparse_complex_numIfEEEv20rocsparse_direction_iiiiii21rocsparse_index_base_PKT3_PKiS9_S4_PS5_PiSB_.kd
    .uniform_work_group_size: 1
    .uses_dynamic_stack: false
    .vgpr_count:     41
    .vgpr_spill_count: 0
    .wavefront_size: 32
  - .args:
      - .offset:         0
        .size:           4
        .value_kind:     by_value
      - .offset:         4
        .size:           4
        .value_kind:     by_value
      - .offset:         8
        .size:           4
        .value_kind:     by_value
      - .offset:         12
        .size:           4
        .value_kind:     by_value
      - .offset:         16
        .size:           4
        .value_kind:     by_value
      - .offset:         20
        .size:           4
        .value_kind:     by_value
      - .offset:         24
        .size:           4
        .value_kind:     by_value
      - .offset:         28
        .size:           4
        .value_kind:     by_value
      - .actual_access:  read_only
        .address_space:  global
        .offset:         32
        .size:           8
        .value_kind:     global_buffer
      - .actual_access:  read_only
        .address_space:  global
        .offset:         40
        .size:           8
        .value_kind:     global_buffer
      - .actual_access:  read_only
        .address_space:  global
        .offset:         48
        .size:           8
        .value_kind:     global_buffer
      - .offset:         56
        .size:           4
        .value_kind:     by_value
      - .actual_access:  write_only
        .address_space:  global
        .offset:         64
        .size:           8
        .value_kind:     global_buffer
      - .actual_access:  read_only
        .address_space:  global
        .offset:         72
        .size:           8
        .value_kind:     global_buffer
      - .actual_access:  write_only
        .address_space:  global
        .offset:         80
        .size:           8
        .value_kind:     global_buffer
    .group_segment_fixed_size: 8200
    .kernarg_segment_align: 8
    .kernarg_segment_size: 88
    .language:       OpenCL C
    .language_version:
      - 2
      - 0
    .max_flat_workgroup_size: 256
    .name:           _ZN9rocsparseL44csr2gebsr_wavefront_per_row_multipass_kernelILi256ELi2ELi64ELi32E21rocsparse_complex_numIfEEEv20rocsparse_direction_iiiiii21rocsparse_index_base_PKT3_PKiS9_S4_PS5_PiSB_
    .private_segment_fixed_size: 0
    .sgpr_count:     28
    .sgpr_spill_count: 0
    .symbol:         _ZN9rocsparseL44csr2gebsr_wavefront_per_row_multipass_kernelILi256ELi2ELi64ELi32E21rocsparse_complex_numIfEEEv20rocsparse_direction_iiiiii21rocsparse_index_base_PKT3_PKiS9_S4_PS5_PiSB_.kd
    .uniform_work_group_size: 1
    .uses_dynamic_stack: false
    .vgpr_count:     44
    .vgpr_spill_count: 0
    .wavefront_size: 32
  - .args:
      - .offset:         0
        .size:           4
        .value_kind:     by_value
      - .offset:         4
        .size:           4
        .value_kind:     by_value
      - .offset:         8
        .size:           4
        .value_kind:     by_value
      - .offset:         12
        .size:           4
        .value_kind:     by_value
      - .offset:         16
        .size:           4
        .value_kind:     by_value
      - .offset:         20
        .size:           4
        .value_kind:     by_value
      - .offset:         24
        .size:           4
        .value_kind:     by_value
      - .offset:         28
        .size:           4
        .value_kind:     by_value
      - .actual_access:  read_only
        .address_space:  global
        .offset:         32
        .size:           8
        .value_kind:     global_buffer
      - .actual_access:  read_only
        .address_space:  global
        .offset:         40
        .size:           8
        .value_kind:     global_buffer
      - .actual_access:  read_only
        .address_space:  global
        .offset:         48
        .size:           8
        .value_kind:     global_buffer
      - .offset:         56
        .size:           4
        .value_kind:     by_value
      - .actual_access:  write_only
        .address_space:  global
        .offset:         64
        .size:           8
        .value_kind:     global_buffer
      - .actual_access:  read_only
        .address_space:  global
        .offset:         72
        .size:           8
        .value_kind:     global_buffer
      - .actual_access:  write_only
        .address_space:  global
        .offset:         80
        .size:           8
        .value_kind:     global_buffer
    .group_segment_fixed_size: 2080
    .kernarg_segment_align: 8
    .kernarg_segment_size: 88
    .language:       OpenCL C
    .language_version:
      - 2
      - 0
    .max_flat_workgroup_size: 256
    .name:           _ZN9rocsparseL44csr2gebsr_wavefront_per_row_multipass_kernelILi256ELi4ELi2ELi8E21rocsparse_complex_numIfEEEv20rocsparse_direction_iiiiii21rocsparse_index_base_PKT3_PKiS9_S4_PS5_PiSB_
    .private_segment_fixed_size: 0
    .sgpr_count:     25
    .sgpr_spill_count: 0
    .symbol:         _ZN9rocsparseL44csr2gebsr_wavefront_per_row_multipass_kernelILi256ELi4ELi2ELi8E21rocsparse_complex_numIfEEEv20rocsparse_direction_iiiiii21rocsparse_index_base_PKT3_PKiS9_S4_PS5_PiSB_.kd
    .uniform_work_group_size: 1
    .uses_dynamic_stack: false
    .vgpr_count:     34
    .vgpr_spill_count: 0
    .wavefront_size: 32
  - .args:
      - .offset:         0
        .size:           4
        .value_kind:     by_value
      - .offset:         4
        .size:           4
        .value_kind:     by_value
      - .offset:         8
        .size:           4
        .value_kind:     by_value
      - .offset:         12
        .size:           4
        .value_kind:     by_value
      - .offset:         16
        .size:           4
        .value_kind:     by_value
      - .offset:         20
        .size:           4
        .value_kind:     by_value
      - .offset:         24
        .size:           4
        .value_kind:     by_value
      - .offset:         28
        .size:           4
        .value_kind:     by_value
      - .actual_access:  read_only
        .address_space:  global
        .offset:         32
        .size:           8
        .value_kind:     global_buffer
      - .actual_access:  read_only
        .address_space:  global
        .offset:         40
        .size:           8
        .value_kind:     global_buffer
      - .actual_access:  read_only
        .address_space:  global
        .offset:         48
        .size:           8
        .value_kind:     global_buffer
      - .offset:         56
        .size:           4
        .value_kind:     by_value
      - .actual_access:  write_only
        .address_space:  global
        .offset:         64
        .size:           8
        .value_kind:     global_buffer
      - .actual_access:  read_only
        .address_space:  global
        .offset:         72
        .size:           8
        .value_kind:     global_buffer
      - .actual_access:  write_only
        .address_space:  global
        .offset:         80
        .size:           8
        .value_kind:     global_buffer
    .group_segment_fixed_size: 2064
    .kernarg_segment_align: 8
    .kernarg_segment_size: 88
    .language:       OpenCL C
    .language_version:
      - 2
      - 0
    .max_flat_workgroup_size: 256
    .name:           _ZN9rocsparseL44csr2gebsr_wavefront_per_row_multipass_kernelILi256ELi4ELi4ELi16E21rocsparse_complex_numIfEEEv20rocsparse_direction_iiiiii21rocsparse_index_base_PKT3_PKiS9_S4_PS5_PiSB_
    .private_segment_fixed_size: 0
    .sgpr_count:     25
    .sgpr_spill_count: 0
    .symbol:         _ZN9rocsparseL44csr2gebsr_wavefront_per_row_multipass_kernelILi256ELi4ELi4ELi16E21rocsparse_complex_numIfEEEv20rocsparse_direction_iiiiii21rocsparse_index_base_PKT3_PKiS9_S4_PS5_PiSB_.kd
    .uniform_work_group_size: 1
    .uses_dynamic_stack: false
    .vgpr_count:     35
    .vgpr_spill_count: 0
    .wavefront_size: 32
  - .args:
      - .offset:         0
        .size:           4
        .value_kind:     by_value
      - .offset:         4
        .size:           4
        .value_kind:     by_value
      - .offset:         8
        .size:           4
        .value_kind:     by_value
      - .offset:         12
        .size:           4
        .value_kind:     by_value
      - .offset:         16
        .size:           4
        .value_kind:     by_value
      - .offset:         20
        .size:           4
        .value_kind:     by_value
      - .offset:         24
        .size:           4
        .value_kind:     by_value
      - .offset:         28
        .size:           4
        .value_kind:     by_value
      - .actual_access:  read_only
        .address_space:  global
        .offset:         32
        .size:           8
        .value_kind:     global_buffer
      - .actual_access:  read_only
        .address_space:  global
        .offset:         40
        .size:           8
        .value_kind:     global_buffer
      - .actual_access:  read_only
        .address_space:  global
        .offset:         48
        .size:           8
        .value_kind:     global_buffer
      - .offset:         56
        .size:           4
        .value_kind:     by_value
      - .actual_access:  write_only
        .address_space:  global
        .offset:         64
        .size:           8
        .value_kind:     global_buffer
      - .actual_access:  read_only
        .address_space:  global
        .offset:         72
        .size:           8
        .value_kind:     global_buffer
      - .actual_access:  write_only
        .address_space:  global
        .offset:         80
        .size:           8
        .value_kind:     global_buffer
    .group_segment_fixed_size: 2056
    .kernarg_segment_align: 8
    .kernarg_segment_size: 88
    .language:       OpenCL C
    .language_version:
      - 2
      - 0
    .max_flat_workgroup_size: 256
    .name:           _ZN9rocsparseL44csr2gebsr_wavefront_per_row_multipass_kernelILi256ELi4ELi8ELi32E21rocsparse_complex_numIfEEEv20rocsparse_direction_iiiiii21rocsparse_index_base_PKT3_PKiS9_S4_PS5_PiSB_
    .private_segment_fixed_size: 0
    .sgpr_count:     25
    .sgpr_spill_count: 0
    .symbol:         _ZN9rocsparseL44csr2gebsr_wavefront_per_row_multipass_kernelILi256ELi4ELi8ELi32E21rocsparse_complex_numIfEEEv20rocsparse_direction_iiiiii21rocsparse_index_base_PKT3_PKiS9_S4_PS5_PiSB_.kd
    .uniform_work_group_size: 1
    .uses_dynamic_stack: false
    .vgpr_count:     36
    .vgpr_spill_count: 0
    .wavefront_size: 32
  - .args:
      - .offset:         0
        .size:           4
        .value_kind:     by_value
      - .offset:         4
        .size:           4
        .value_kind:     by_value
      - .offset:         8
        .size:           4
        .value_kind:     by_value
      - .offset:         12
        .size:           4
        .value_kind:     by_value
      - .offset:         16
        .size:           4
        .value_kind:     by_value
      - .offset:         20
        .size:           4
        .value_kind:     by_value
      - .offset:         24
        .size:           4
        .value_kind:     by_value
      - .offset:         28
        .size:           4
        .value_kind:     by_value
      - .actual_access:  read_only
        .address_space:  global
        .offset:         32
        .size:           8
        .value_kind:     global_buffer
      - .actual_access:  read_only
        .address_space:  global
        .offset:         40
        .size:           8
        .value_kind:     global_buffer
      - .actual_access:  read_only
        .address_space:  global
        .offset:         48
        .size:           8
        .value_kind:     global_buffer
      - .offset:         56
        .size:           4
        .value_kind:     by_value
      - .actual_access:  write_only
        .address_space:  global
        .offset:         64
        .size:           8
        .value_kind:     global_buffer
      - .actual_access:  read_only
        .address_space:  global
        .offset:         72
        .size:           8
        .value_kind:     global_buffer
      - .actual_access:  write_only
        .address_space:  global
        .offset:         80
        .size:           8
        .value_kind:     global_buffer
    .group_segment_fixed_size: 2052
    .kernarg_segment_align: 8
    .kernarg_segment_size: 88
    .language:       OpenCL C
    .language_version:
      - 2
      - 0
    .max_flat_workgroup_size: 256
    .name:           _ZN9rocsparseL44csr2gebsr_wavefront_per_row_multipass_kernelILi256ELi4ELi16ELi64E21rocsparse_complex_numIfEEEv20rocsparse_direction_iiiiii21rocsparse_index_base_PKT3_PKiS9_S4_PS5_PiSB_
    .private_segment_fixed_size: 0
    .sgpr_count:     25
    .sgpr_spill_count: 0
    .symbol:         _ZN9rocsparseL44csr2gebsr_wavefront_per_row_multipass_kernelILi256ELi4ELi16ELi64E21rocsparse_complex_numIfEEEv20rocsparse_direction_iiiiii21rocsparse_index_base_PKT3_PKiS9_S4_PS5_PiSB_.kd
    .uniform_work_group_size: 1
    .uses_dynamic_stack: false
    .vgpr_count:     37
    .vgpr_spill_count: 0
    .wavefront_size: 32
  - .args:
      - .offset:         0
        .size:           4
        .value_kind:     by_value
      - .offset:         4
        .size:           4
        .value_kind:     by_value
      - .offset:         8
        .size:           4
        .value_kind:     by_value
      - .offset:         12
        .size:           4
        .value_kind:     by_value
      - .offset:         16
        .size:           4
        .value_kind:     by_value
      - .offset:         20
        .size:           4
        .value_kind:     by_value
      - .offset:         24
        .size:           4
        .value_kind:     by_value
      - .offset:         28
        .size:           4
        .value_kind:     by_value
      - .actual_access:  read_only
        .address_space:  global
        .offset:         32
        .size:           8
        .value_kind:     global_buffer
      - .actual_access:  read_only
        .address_space:  global
        .offset:         40
        .size:           8
        .value_kind:     global_buffer
      - .actual_access:  read_only
        .address_space:  global
        .offset:         48
        .size:           8
        .value_kind:     global_buffer
      - .offset:         56
        .size:           4
        .value_kind:     by_value
      - .actual_access:  write_only
        .address_space:  global
        .offset:         64
        .size:           8
        .value_kind:     global_buffer
      - .actual_access:  read_only
        .address_space:  global
        .offset:         72
        .size:           8
        .value_kind:     global_buffer
      - .actual_access:  write_only
        .address_space:  global
        .offset:         80
        .size:           8
        .value_kind:     global_buffer
    .group_segment_fixed_size: 4104
    .kernarg_segment_align: 8
    .kernarg_segment_size: 88
    .language:       OpenCL C
    .language_version:
      - 2
      - 0
    .max_flat_workgroup_size: 256
    .name:           _ZN9rocsparseL44csr2gebsr_wavefront_per_row_multipass_kernelILi256ELi4ELi16ELi32E21rocsparse_complex_numIfEEEv20rocsparse_direction_iiiiii21rocsparse_index_base_PKT3_PKiS9_S4_PS5_PiSB_
    .private_segment_fixed_size: 0
    .sgpr_count:     26
    .sgpr_spill_count: 0
    .symbol:         _ZN9rocsparseL44csr2gebsr_wavefront_per_row_multipass_kernelILi256ELi4ELi16ELi32E21rocsparse_complex_numIfEEEv20rocsparse_direction_iiiiii21rocsparse_index_base_PKT3_PKiS9_S4_PS5_PiSB_.kd
    .uniform_work_group_size: 1
    .uses_dynamic_stack: false
    .vgpr_count:     40
    .vgpr_spill_count: 0
    .wavefront_size: 32
  - .args:
      - .offset:         0
        .size:           4
        .value_kind:     by_value
      - .offset:         4
        .size:           4
        .value_kind:     by_value
      - .offset:         8
        .size:           4
        .value_kind:     by_value
      - .offset:         12
        .size:           4
        .value_kind:     by_value
      - .offset:         16
        .size:           4
        .value_kind:     by_value
      - .offset:         20
        .size:           4
        .value_kind:     by_value
      - .offset:         24
        .size:           4
        .value_kind:     by_value
      - .offset:         28
        .size:           4
        .value_kind:     by_value
      - .actual_access:  read_only
        .address_space:  global
        .offset:         32
        .size:           8
        .value_kind:     global_buffer
      - .actual_access:  read_only
        .address_space:  global
        .offset:         40
        .size:           8
        .value_kind:     global_buffer
      - .actual_access:  read_only
        .address_space:  global
        .offset:         48
        .size:           8
        .value_kind:     global_buffer
      - .offset:         56
        .size:           4
        .value_kind:     by_value
      - .actual_access:  write_only
        .address_space:  global
        .offset:         64
        .size:           8
        .value_kind:     global_buffer
      - .actual_access:  read_only
        .address_space:  global
        .offset:         72
        .size:           8
        .value_kind:     global_buffer
      - .actual_access:  write_only
        .address_space:  global
        .offset:         80
        .size:           8
        .value_kind:     global_buffer
    .group_segment_fixed_size: 4100
    .kernarg_segment_align: 8
    .kernarg_segment_size: 88
    .language:       OpenCL C
    .language_version:
      - 2
      - 0
    .max_flat_workgroup_size: 256
    .name:           _ZN9rocsparseL44csr2gebsr_wavefront_per_row_multipass_kernelILi256ELi4ELi32ELi64E21rocsparse_complex_numIfEEEv20rocsparse_direction_iiiiii21rocsparse_index_base_PKT3_PKiS9_S4_PS5_PiSB_
    .private_segment_fixed_size: 0
    .sgpr_count:     26
    .sgpr_spill_count: 0
    .symbol:         _ZN9rocsparseL44csr2gebsr_wavefront_per_row_multipass_kernelILi256ELi4ELi32ELi64E21rocsparse_complex_numIfEEEv20rocsparse_direction_iiiiii21rocsparse_index_base_PKT3_PKiS9_S4_PS5_PiSB_.kd
    .uniform_work_group_size: 1
    .uses_dynamic_stack: false
    .vgpr_count:     41
    .vgpr_spill_count: 0
    .wavefront_size: 32
  - .args:
      - .offset:         0
        .size:           4
        .value_kind:     by_value
      - .offset:         4
        .size:           4
        .value_kind:     by_value
      - .offset:         8
        .size:           4
        .value_kind:     by_value
      - .offset:         12
        .size:           4
        .value_kind:     by_value
      - .offset:         16
        .size:           4
        .value_kind:     by_value
      - .offset:         20
        .size:           4
        .value_kind:     by_value
      - .offset:         24
        .size:           4
        .value_kind:     by_value
      - .offset:         28
        .size:           4
        .value_kind:     by_value
      - .actual_access:  read_only
        .address_space:  global
        .offset:         32
        .size:           8
        .value_kind:     global_buffer
      - .actual_access:  read_only
        .address_space:  global
        .offset:         40
        .size:           8
        .value_kind:     global_buffer
      - .actual_access:  read_only
        .address_space:  global
        .offset:         48
        .size:           8
        .value_kind:     global_buffer
      - .offset:         56
        .size:           4
        .value_kind:     by_value
      - .actual_access:  write_only
        .address_space:  global
        .offset:         64
        .size:           8
        .value_kind:     global_buffer
      - .actual_access:  read_only
        .address_space:  global
        .offset:         72
        .size:           8
        .value_kind:     global_buffer
      - .actual_access:  write_only
        .address_space:  global
        .offset:         80
        .size:           8
        .value_kind:     global_buffer
    .group_segment_fixed_size: 8200
    .kernarg_segment_align: 8
    .kernarg_segment_size: 88
    .language:       OpenCL C
    .language_version:
      - 2
      - 0
    .max_flat_workgroup_size: 256
    .name:           _ZN9rocsparseL44csr2gebsr_wavefront_per_row_multipass_kernelILi256ELi4ELi32ELi32E21rocsparse_complex_numIfEEEv20rocsparse_direction_iiiiii21rocsparse_index_base_PKT3_PKiS9_S4_PS5_PiSB_
    .private_segment_fixed_size: 0
    .sgpr_count:     28
    .sgpr_spill_count: 0
    .symbol:         _ZN9rocsparseL44csr2gebsr_wavefront_per_row_multipass_kernelILi256ELi4ELi32ELi32E21rocsparse_complex_numIfEEEv20rocsparse_direction_iiiiii21rocsparse_index_base_PKT3_PKiS9_S4_PS5_PiSB_.kd
    .uniform_work_group_size: 1
    .uses_dynamic_stack: false
    .vgpr_count:     44
    .vgpr_spill_count: 0
    .wavefront_size: 32
  - .args:
      - .offset:         0
        .size:           4
        .value_kind:     by_value
      - .offset:         4
        .size:           4
        .value_kind:     by_value
      - .offset:         8
        .size:           4
        .value_kind:     by_value
      - .offset:         12
        .size:           4
        .value_kind:     by_value
      - .offset:         16
        .size:           4
        .value_kind:     by_value
      - .offset:         20
        .size:           4
        .value_kind:     by_value
      - .offset:         24
        .size:           4
        .value_kind:     by_value
      - .offset:         28
        .size:           4
        .value_kind:     by_value
      - .actual_access:  read_only
        .address_space:  global
        .offset:         32
        .size:           8
        .value_kind:     global_buffer
      - .actual_access:  read_only
        .address_space:  global
        .offset:         40
        .size:           8
        .value_kind:     global_buffer
      - .actual_access:  read_only
        .address_space:  global
        .offset:         48
        .size:           8
        .value_kind:     global_buffer
      - .offset:         56
        .size:           4
        .value_kind:     by_value
      - .actual_access:  write_only
        .address_space:  global
        .offset:         64
        .size:           8
        .value_kind:     global_buffer
      - .actual_access:  read_only
        .address_space:  global
        .offset:         72
        .size:           8
        .value_kind:     global_buffer
      - .actual_access:  write_only
        .address_space:  global
        .offset:         80
        .size:           8
        .value_kind:     global_buffer
    .group_segment_fixed_size: 8196
    .kernarg_segment_align: 8
    .kernarg_segment_size: 88
    .language:       OpenCL C
    .language_version:
      - 2
      - 0
    .max_flat_workgroup_size: 256
    .name:           _ZN9rocsparseL44csr2gebsr_wavefront_per_row_multipass_kernelILi256ELi4ELi64ELi64E21rocsparse_complex_numIfEEEv20rocsparse_direction_iiiiii21rocsparse_index_base_PKT3_PKiS9_S4_PS5_PiSB_
    .private_segment_fixed_size: 0
    .sgpr_count:     28
    .sgpr_spill_count: 0
    .symbol:         _ZN9rocsparseL44csr2gebsr_wavefront_per_row_multipass_kernelILi256ELi4ELi64ELi64E21rocsparse_complex_numIfEEEv20rocsparse_direction_iiiiii21rocsparse_index_base_PKT3_PKiS9_S4_PS5_PiSB_.kd
    .uniform_work_group_size: 1
    .uses_dynamic_stack: false
    .vgpr_count:     45
    .vgpr_spill_count: 0
    .wavefront_size: 32
  - .args:
      - .offset:         0
        .size:           4
        .value_kind:     by_value
      - .offset:         4
        .size:           4
        .value_kind:     by_value
      - .offset:         8
        .size:           4
        .value_kind:     by_value
      - .offset:         12
        .size:           4
        .value_kind:     by_value
      - .offset:         16
        .size:           4
        .value_kind:     by_value
      - .offset:         20
        .size:           4
        .value_kind:     by_value
      - .offset:         24
        .size:           4
        .value_kind:     by_value
      - .offset:         28
        .size:           4
        .value_kind:     by_value
      - .actual_access:  read_only
        .address_space:  global
        .offset:         32
        .size:           8
        .value_kind:     global_buffer
      - .actual_access:  read_only
        .address_space:  global
        .offset:         40
        .size:           8
        .value_kind:     global_buffer
      - .actual_access:  read_only
        .address_space:  global
        .offset:         48
        .size:           8
        .value_kind:     global_buffer
      - .offset:         56
        .size:           4
        .value_kind:     by_value
      - .actual_access:  write_only
        .address_space:  global
        .offset:         64
        .size:           8
        .value_kind:     global_buffer
      - .actual_access:  read_only
        .address_space:  global
        .offset:         72
        .size:           8
        .value_kind:     global_buffer
      - .actual_access:  write_only
        .address_space:  global
        .offset:         80
        .size:           8
        .value_kind:     global_buffer
    .group_segment_fixed_size: 16392
    .kernarg_segment_align: 8
    .kernarg_segment_size: 88
    .language:       OpenCL C
    .language_version:
      - 2
      - 0
    .max_flat_workgroup_size: 256
    .name:           _ZN9rocsparseL44csr2gebsr_wavefront_per_row_multipass_kernelILi256ELi4ELi64ELi32E21rocsparse_complex_numIfEEEv20rocsparse_direction_iiiiii21rocsparse_index_base_PKT3_PKiS9_S4_PS5_PiSB_
    .private_segment_fixed_size: 0
    .sgpr_count:     32
    .sgpr_spill_count: 0
    .symbol:         _ZN9rocsparseL44csr2gebsr_wavefront_per_row_multipass_kernelILi256ELi4ELi64ELi32E21rocsparse_complex_numIfEEEv20rocsparse_direction_iiiiii21rocsparse_index_base_PKT3_PKiS9_S4_PS5_PiSB_.kd
    .uniform_work_group_size: 1
    .uses_dynamic_stack: false
    .vgpr_count:     52
    .vgpr_spill_count: 0
    .wavefront_size: 32
  - .args:
      - .offset:         0
        .size:           4
        .value_kind:     by_value
      - .offset:         4
        .size:           4
        .value_kind:     by_value
      - .offset:         8
        .size:           4
        .value_kind:     by_value
      - .offset:         12
        .size:           4
        .value_kind:     by_value
      - .offset:         16
        .size:           4
        .value_kind:     by_value
      - .offset:         20
        .size:           4
        .value_kind:     by_value
      - .offset:         24
        .size:           4
        .value_kind:     by_value
      - .offset:         28
        .size:           4
        .value_kind:     by_value
      - .actual_access:  read_only
        .address_space:  global
        .offset:         32
        .size:           8
        .value_kind:     global_buffer
      - .actual_access:  read_only
        .address_space:  global
        .offset:         40
        .size:           8
        .value_kind:     global_buffer
      - .actual_access:  read_only
        .address_space:  global
        .offset:         48
        .size:           8
        .value_kind:     global_buffer
      - .offset:         56
        .size:           4
        .value_kind:     by_value
      - .actual_access:  write_only
        .address_space:  global
        .offset:         64
        .size:           8
        .value_kind:     global_buffer
      - .actual_access:  read_only
        .address_space:  global
        .offset:         72
        .size:           8
        .value_kind:     global_buffer
      - .actual_access:  write_only
        .address_space:  global
        .offset:         80
        .size:           8
        .value_kind:     global_buffer
    .group_segment_fixed_size: 2064
    .kernarg_segment_align: 8
    .kernarg_segment_size: 88
    .language:       OpenCL C
    .language_version:
      - 2
      - 0
    .max_flat_workgroup_size: 256
    .name:           _ZN9rocsparseL44csr2gebsr_wavefront_per_row_multipass_kernelILi256ELi8ELi2ELi16E21rocsparse_complex_numIfEEEv20rocsparse_direction_iiiiii21rocsparse_index_base_PKT3_PKiS9_S4_PS5_PiSB_
    .private_segment_fixed_size: 0
    .sgpr_count:     25
    .sgpr_spill_count: 0
    .symbol:         _ZN9rocsparseL44csr2gebsr_wavefront_per_row_multipass_kernelILi256ELi8ELi2ELi16E21rocsparse_complex_numIfEEEv20rocsparse_direction_iiiiii21rocsparse_index_base_PKT3_PKiS9_S4_PS5_PiSB_.kd
    .uniform_work_group_size: 1
    .uses_dynamic_stack: false
    .vgpr_count:     35
    .vgpr_spill_count: 0
    .wavefront_size: 32
  - .args:
      - .offset:         0
        .size:           4
        .value_kind:     by_value
      - .offset:         4
        .size:           4
        .value_kind:     by_value
      - .offset:         8
        .size:           4
        .value_kind:     by_value
      - .offset:         12
        .size:           4
        .value_kind:     by_value
      - .offset:         16
        .size:           4
        .value_kind:     by_value
      - .offset:         20
        .size:           4
        .value_kind:     by_value
      - .offset:         24
        .size:           4
        .value_kind:     by_value
      - .offset:         28
        .size:           4
        .value_kind:     by_value
      - .actual_access:  read_only
        .address_space:  global
        .offset:         32
        .size:           8
        .value_kind:     global_buffer
      - .actual_access:  read_only
        .address_space:  global
        .offset:         40
        .size:           8
        .value_kind:     global_buffer
      - .actual_access:  read_only
        .address_space:  global
        .offset:         48
        .size:           8
        .value_kind:     global_buffer
      - .offset:         56
        .size:           4
        .value_kind:     by_value
      - .actual_access:  write_only
        .address_space:  global
        .offset:         64
        .size:           8
        .value_kind:     global_buffer
      - .actual_access:  read_only
        .address_space:  global
        .offset:         72
        .size:           8
        .value_kind:     global_buffer
      - .actual_access:  write_only
        .address_space:  global
        .offset:         80
        .size:           8
        .value_kind:     global_buffer
    .group_segment_fixed_size: 2056
    .kernarg_segment_align: 8
    .kernarg_segment_size: 88
    .language:       OpenCL C
    .language_version:
      - 2
      - 0
    .max_flat_workgroup_size: 256
    .name:           _ZN9rocsparseL44csr2gebsr_wavefront_per_row_multipass_kernelILi256ELi8ELi4ELi32E21rocsparse_complex_numIfEEEv20rocsparse_direction_iiiiii21rocsparse_index_base_PKT3_PKiS9_S4_PS5_PiSB_
    .private_segment_fixed_size: 0
    .sgpr_count:     25
    .sgpr_spill_count: 0
    .symbol:         _ZN9rocsparseL44csr2gebsr_wavefront_per_row_multipass_kernelILi256ELi8ELi4ELi32E21rocsparse_complex_numIfEEEv20rocsparse_direction_iiiiii21rocsparse_index_base_PKT3_PKiS9_S4_PS5_PiSB_.kd
    .uniform_work_group_size: 1
    .uses_dynamic_stack: false
    .vgpr_count:     36
    .vgpr_spill_count: 0
    .wavefront_size: 32
  - .args:
      - .offset:         0
        .size:           4
        .value_kind:     by_value
      - .offset:         4
        .size:           4
        .value_kind:     by_value
      - .offset:         8
        .size:           4
        .value_kind:     by_value
      - .offset:         12
        .size:           4
        .value_kind:     by_value
      - .offset:         16
        .size:           4
        .value_kind:     by_value
      - .offset:         20
        .size:           4
        .value_kind:     by_value
      - .offset:         24
        .size:           4
        .value_kind:     by_value
      - .offset:         28
        .size:           4
        .value_kind:     by_value
      - .actual_access:  read_only
        .address_space:  global
        .offset:         32
        .size:           8
        .value_kind:     global_buffer
      - .actual_access:  read_only
        .address_space:  global
        .offset:         40
        .size:           8
        .value_kind:     global_buffer
      - .actual_access:  read_only
        .address_space:  global
        .offset:         48
        .size:           8
        .value_kind:     global_buffer
      - .offset:         56
        .size:           4
        .value_kind:     by_value
      - .actual_access:  write_only
        .address_space:  global
        .offset:         64
        .size:           8
        .value_kind:     global_buffer
      - .actual_access:  read_only
        .address_space:  global
        .offset:         72
        .size:           8
        .value_kind:     global_buffer
      - .actual_access:  write_only
        .address_space:  global
        .offset:         80
        .size:           8
        .value_kind:     global_buffer
    .group_segment_fixed_size: 2052
    .kernarg_segment_align: 8
    .kernarg_segment_size: 88
    .language:       OpenCL C
    .language_version:
      - 2
      - 0
    .max_flat_workgroup_size: 256
    .name:           _ZN9rocsparseL44csr2gebsr_wavefront_per_row_multipass_kernelILi256ELi8ELi8ELi64E21rocsparse_complex_numIfEEEv20rocsparse_direction_iiiiii21rocsparse_index_base_PKT3_PKiS9_S4_PS5_PiSB_
    .private_segment_fixed_size: 0
    .sgpr_count:     25
    .sgpr_spill_count: 0
    .symbol:         _ZN9rocsparseL44csr2gebsr_wavefront_per_row_multipass_kernelILi256ELi8ELi8ELi64E21rocsparse_complex_numIfEEEv20rocsparse_direction_iiiiii21rocsparse_index_base_PKT3_PKiS9_S4_PS5_PiSB_.kd
    .uniform_work_group_size: 1
    .uses_dynamic_stack: false
    .vgpr_count:     37
    .vgpr_spill_count: 0
    .wavefront_size: 32
  - .args:
      - .offset:         0
        .size:           4
        .value_kind:     by_value
      - .offset:         4
        .size:           4
        .value_kind:     by_value
      - .offset:         8
        .size:           4
        .value_kind:     by_value
      - .offset:         12
        .size:           4
        .value_kind:     by_value
      - .offset:         16
        .size:           4
        .value_kind:     by_value
      - .offset:         20
        .size:           4
        .value_kind:     by_value
      - .offset:         24
        .size:           4
        .value_kind:     by_value
      - .offset:         28
        .size:           4
        .value_kind:     by_value
      - .actual_access:  read_only
        .address_space:  global
        .offset:         32
        .size:           8
        .value_kind:     global_buffer
      - .actual_access:  read_only
        .address_space:  global
        .offset:         40
        .size:           8
        .value_kind:     global_buffer
      - .actual_access:  read_only
        .address_space:  global
        .offset:         48
        .size:           8
        .value_kind:     global_buffer
      - .offset:         56
        .size:           4
        .value_kind:     by_value
      - .actual_access:  write_only
        .address_space:  global
        .offset:         64
        .size:           8
        .value_kind:     global_buffer
      - .actual_access:  read_only
        .address_space:  global
        .offset:         72
        .size:           8
        .value_kind:     global_buffer
      - .actual_access:  write_only
        .address_space:  global
        .offset:         80
        .size:           8
        .value_kind:     global_buffer
    .group_segment_fixed_size: 4104
    .kernarg_segment_align: 8
    .kernarg_segment_size: 88
    .language:       OpenCL C
    .language_version:
      - 2
      - 0
    .max_flat_workgroup_size: 256
    .name:           _ZN9rocsparseL44csr2gebsr_wavefront_per_row_multipass_kernelILi256ELi8ELi8ELi32E21rocsparse_complex_numIfEEEv20rocsparse_direction_iiiiii21rocsparse_index_base_PKT3_PKiS9_S4_PS5_PiSB_
    .private_segment_fixed_size: 0
    .sgpr_count:     26
    .sgpr_spill_count: 0
    .symbol:         _ZN9rocsparseL44csr2gebsr_wavefront_per_row_multipass_kernelILi256ELi8ELi8ELi32E21rocsparse_complex_numIfEEEv20rocsparse_direction_iiiiii21rocsparse_index_base_PKT3_PKiS9_S4_PS5_PiSB_.kd
    .uniform_work_group_size: 1
    .uses_dynamic_stack: false
    .vgpr_count:     40
    .vgpr_spill_count: 0
    .wavefront_size: 32
  - .args:
      - .offset:         0
        .size:           4
        .value_kind:     by_value
      - .offset:         4
        .size:           4
        .value_kind:     by_value
      - .offset:         8
        .size:           4
        .value_kind:     by_value
      - .offset:         12
        .size:           4
        .value_kind:     by_value
      - .offset:         16
        .size:           4
        .value_kind:     by_value
      - .offset:         20
        .size:           4
        .value_kind:     by_value
      - .offset:         24
        .size:           4
        .value_kind:     by_value
      - .offset:         28
        .size:           4
        .value_kind:     by_value
      - .actual_access:  read_only
        .address_space:  global
        .offset:         32
        .size:           8
        .value_kind:     global_buffer
      - .actual_access:  read_only
        .address_space:  global
        .offset:         40
        .size:           8
        .value_kind:     global_buffer
      - .actual_access:  read_only
        .address_space:  global
        .offset:         48
        .size:           8
        .value_kind:     global_buffer
      - .offset:         56
        .size:           4
        .value_kind:     by_value
      - .actual_access:  write_only
        .address_space:  global
        .offset:         64
        .size:           8
        .value_kind:     global_buffer
      - .actual_access:  read_only
        .address_space:  global
        .offset:         72
        .size:           8
        .value_kind:     global_buffer
      - .actual_access:  write_only
        .address_space:  global
        .offset:         80
        .size:           8
        .value_kind:     global_buffer
    .group_segment_fixed_size: 4100
    .kernarg_segment_align: 8
    .kernarg_segment_size: 88
    .language:       OpenCL C
    .language_version:
      - 2
      - 0
    .max_flat_workgroup_size: 256
    .name:           _ZN9rocsparseL44csr2gebsr_wavefront_per_row_multipass_kernelILi256ELi8ELi16ELi64E21rocsparse_complex_numIfEEEv20rocsparse_direction_iiiiii21rocsparse_index_base_PKT3_PKiS9_S4_PS5_PiSB_
    .private_segment_fixed_size: 0
    .sgpr_count:     26
    .sgpr_spill_count: 0
    .symbol:         _ZN9rocsparseL44csr2gebsr_wavefront_per_row_multipass_kernelILi256ELi8ELi16ELi64E21rocsparse_complex_numIfEEEv20rocsparse_direction_iiiiii21rocsparse_index_base_PKT3_PKiS9_S4_PS5_PiSB_.kd
    .uniform_work_group_size: 1
    .uses_dynamic_stack: false
    .vgpr_count:     41
    .vgpr_spill_count: 0
    .wavefront_size: 32
  - .args:
      - .offset:         0
        .size:           4
        .value_kind:     by_value
      - .offset:         4
        .size:           4
        .value_kind:     by_value
      - .offset:         8
        .size:           4
        .value_kind:     by_value
      - .offset:         12
        .size:           4
        .value_kind:     by_value
      - .offset:         16
        .size:           4
        .value_kind:     by_value
      - .offset:         20
        .size:           4
        .value_kind:     by_value
      - .offset:         24
        .size:           4
        .value_kind:     by_value
      - .offset:         28
        .size:           4
        .value_kind:     by_value
      - .actual_access:  read_only
        .address_space:  global
        .offset:         32
        .size:           8
        .value_kind:     global_buffer
      - .actual_access:  read_only
        .address_space:  global
        .offset:         40
        .size:           8
        .value_kind:     global_buffer
      - .actual_access:  read_only
        .address_space:  global
        .offset:         48
        .size:           8
        .value_kind:     global_buffer
      - .offset:         56
        .size:           4
        .value_kind:     by_value
      - .actual_access:  write_only
        .address_space:  global
        .offset:         64
        .size:           8
        .value_kind:     global_buffer
      - .actual_access:  read_only
        .address_space:  global
        .offset:         72
        .size:           8
        .value_kind:     global_buffer
      - .actual_access:  write_only
        .address_space:  global
        .offset:         80
        .size:           8
        .value_kind:     global_buffer
    .group_segment_fixed_size: 8200
    .kernarg_segment_align: 8
    .kernarg_segment_size: 88
    .language:       OpenCL C
    .language_version:
      - 2
      - 0
    .max_flat_workgroup_size: 256
    .name:           _ZN9rocsparseL44csr2gebsr_wavefront_per_row_multipass_kernelILi256ELi8ELi16ELi32E21rocsparse_complex_numIfEEEv20rocsparse_direction_iiiiii21rocsparse_index_base_PKT3_PKiS9_S4_PS5_PiSB_
    .private_segment_fixed_size: 0
    .sgpr_count:     28
    .sgpr_spill_count: 0
    .symbol:         _ZN9rocsparseL44csr2gebsr_wavefront_per_row_multipass_kernelILi256ELi8ELi16ELi32E21rocsparse_complex_numIfEEEv20rocsparse_direction_iiiiii21rocsparse_index_base_PKT3_PKiS9_S4_PS5_PiSB_.kd
    .uniform_work_group_size: 1
    .uses_dynamic_stack: false
    .vgpr_count:     44
    .vgpr_spill_count: 0
    .wavefront_size: 32
  - .args:
      - .offset:         0
        .size:           4
        .value_kind:     by_value
      - .offset:         4
        .size:           4
        .value_kind:     by_value
      - .offset:         8
        .size:           4
        .value_kind:     by_value
      - .offset:         12
        .size:           4
        .value_kind:     by_value
      - .offset:         16
        .size:           4
        .value_kind:     by_value
      - .offset:         20
        .size:           4
        .value_kind:     by_value
      - .offset:         24
        .size:           4
        .value_kind:     by_value
      - .offset:         28
        .size:           4
        .value_kind:     by_value
      - .actual_access:  read_only
        .address_space:  global
        .offset:         32
        .size:           8
        .value_kind:     global_buffer
      - .actual_access:  read_only
        .address_space:  global
        .offset:         40
        .size:           8
        .value_kind:     global_buffer
      - .actual_access:  read_only
        .address_space:  global
        .offset:         48
        .size:           8
        .value_kind:     global_buffer
      - .offset:         56
        .size:           4
        .value_kind:     by_value
      - .actual_access:  write_only
        .address_space:  global
        .offset:         64
        .size:           8
        .value_kind:     global_buffer
      - .actual_access:  read_only
        .address_space:  global
        .offset:         72
        .size:           8
        .value_kind:     global_buffer
      - .actual_access:  write_only
        .address_space:  global
        .offset:         80
        .size:           8
        .value_kind:     global_buffer
    .group_segment_fixed_size: 8196
    .kernarg_segment_align: 8
    .kernarg_segment_size: 88
    .language:       OpenCL C
    .language_version:
      - 2
      - 0
    .max_flat_workgroup_size: 256
    .name:           _ZN9rocsparseL44csr2gebsr_wavefront_per_row_multipass_kernelILi256ELi8ELi32ELi64E21rocsparse_complex_numIfEEEv20rocsparse_direction_iiiiii21rocsparse_index_base_PKT3_PKiS9_S4_PS5_PiSB_
    .private_segment_fixed_size: 0
    .sgpr_count:     28
    .sgpr_spill_count: 0
    .symbol:         _ZN9rocsparseL44csr2gebsr_wavefront_per_row_multipass_kernelILi256ELi8ELi32ELi64E21rocsparse_complex_numIfEEEv20rocsparse_direction_iiiiii21rocsparse_index_base_PKT3_PKiS9_S4_PS5_PiSB_.kd
    .uniform_work_group_size: 1
    .uses_dynamic_stack: false
    .vgpr_count:     45
    .vgpr_spill_count: 0
    .wavefront_size: 32
  - .args:
      - .offset:         0
        .size:           4
        .value_kind:     by_value
      - .offset:         4
        .size:           4
        .value_kind:     by_value
      - .offset:         8
        .size:           4
        .value_kind:     by_value
      - .offset:         12
        .size:           4
        .value_kind:     by_value
      - .offset:         16
        .size:           4
        .value_kind:     by_value
      - .offset:         20
        .size:           4
        .value_kind:     by_value
      - .offset:         24
        .size:           4
        .value_kind:     by_value
      - .offset:         28
        .size:           4
        .value_kind:     by_value
      - .actual_access:  read_only
        .address_space:  global
        .offset:         32
        .size:           8
        .value_kind:     global_buffer
      - .actual_access:  read_only
        .address_space:  global
        .offset:         40
        .size:           8
        .value_kind:     global_buffer
      - .actual_access:  read_only
        .address_space:  global
        .offset:         48
        .size:           8
        .value_kind:     global_buffer
      - .offset:         56
        .size:           4
        .value_kind:     by_value
      - .actual_access:  write_only
        .address_space:  global
        .offset:         64
        .size:           8
        .value_kind:     global_buffer
      - .actual_access:  read_only
        .address_space:  global
        .offset:         72
        .size:           8
        .value_kind:     global_buffer
      - .actual_access:  write_only
        .address_space:  global
        .offset:         80
        .size:           8
        .value_kind:     global_buffer
    .group_segment_fixed_size: 16392
    .kernarg_segment_align: 8
    .kernarg_segment_size: 88
    .language:       OpenCL C
    .language_version:
      - 2
      - 0
    .max_flat_workgroup_size: 256
    .name:           _ZN9rocsparseL44csr2gebsr_wavefront_per_row_multipass_kernelILi256ELi8ELi32ELi32E21rocsparse_complex_numIfEEEv20rocsparse_direction_iiiiii21rocsparse_index_base_PKT3_PKiS9_S4_PS5_PiSB_
    .private_segment_fixed_size: 0
    .sgpr_count:     32
    .sgpr_spill_count: 0
    .symbol:         _ZN9rocsparseL44csr2gebsr_wavefront_per_row_multipass_kernelILi256ELi8ELi32ELi32E21rocsparse_complex_numIfEEEv20rocsparse_direction_iiiiii21rocsparse_index_base_PKT3_PKiS9_S4_PS5_PiSB_.kd
    .uniform_work_group_size: 1
    .uses_dynamic_stack: false
    .vgpr_count:     52
    .vgpr_spill_count: 0
    .wavefront_size: 32
  - .args:
      - .offset:         0
        .size:           4
        .value_kind:     by_value
      - .offset:         4
        .size:           4
        .value_kind:     by_value
      - .offset:         8
        .size:           4
        .value_kind:     by_value
      - .offset:         12
        .size:           4
        .value_kind:     by_value
      - .offset:         16
        .size:           4
        .value_kind:     by_value
      - .offset:         20
        .size:           4
        .value_kind:     by_value
      - .offset:         24
        .size:           4
        .value_kind:     by_value
      - .offset:         28
        .size:           4
        .value_kind:     by_value
      - .actual_access:  read_only
        .address_space:  global
        .offset:         32
        .size:           8
        .value_kind:     global_buffer
      - .actual_access:  read_only
        .address_space:  global
        .offset:         40
        .size:           8
        .value_kind:     global_buffer
      - .actual_access:  read_only
        .address_space:  global
        .offset:         48
        .size:           8
        .value_kind:     global_buffer
      - .offset:         56
        .size:           4
        .value_kind:     by_value
      - .actual_access:  write_only
        .address_space:  global
        .offset:         64
        .size:           8
        .value_kind:     global_buffer
      - .actual_access:  read_only
        .address_space:  global
        .offset:         72
        .size:           8
        .value_kind:     global_buffer
      - .actual_access:  write_only
        .address_space:  global
        .offset:         80
        .size:           8
        .value_kind:     global_buffer
    .group_segment_fixed_size: 16388
    .kernarg_segment_align: 8
    .kernarg_segment_size: 88
    .language:       OpenCL C
    .language_version:
      - 2
      - 0
    .max_flat_workgroup_size: 256
    .name:           _ZN9rocsparseL44csr2gebsr_wavefront_per_row_multipass_kernelILi256ELi8ELi64ELi64E21rocsparse_complex_numIfEEEv20rocsparse_direction_iiiiii21rocsparse_index_base_PKT3_PKiS9_S4_PS5_PiSB_
    .private_segment_fixed_size: 0
    .sgpr_count:     32
    .sgpr_spill_count: 0
    .symbol:         _ZN9rocsparseL44csr2gebsr_wavefront_per_row_multipass_kernelILi256ELi8ELi64ELi64E21rocsparse_complex_numIfEEEv20rocsparse_direction_iiiiii21rocsparse_index_base_PKT3_PKiS9_S4_PS5_PiSB_.kd
    .uniform_work_group_size: 1
    .uses_dynamic_stack: false
    .vgpr_count:     53
    .vgpr_spill_count: 0
    .wavefront_size: 32
  - .args:
      - .offset:         0
        .size:           4
        .value_kind:     by_value
      - .offset:         4
        .size:           4
        .value_kind:     by_value
      - .offset:         8
        .size:           4
        .value_kind:     by_value
      - .offset:         12
        .size:           4
        .value_kind:     by_value
      - .offset:         16
        .size:           4
        .value_kind:     by_value
      - .offset:         20
        .size:           4
        .value_kind:     by_value
      - .offset:         24
        .size:           4
        .value_kind:     by_value
      - .offset:         28
        .size:           4
        .value_kind:     by_value
      - .actual_access:  read_only
        .address_space:  global
        .offset:         32
        .size:           8
        .value_kind:     global_buffer
      - .actual_access:  read_only
        .address_space:  global
        .offset:         40
        .size:           8
        .value_kind:     global_buffer
      - .actual_access:  read_only
        .address_space:  global
        .offset:         48
        .size:           8
        .value_kind:     global_buffer
      - .offset:         56
        .size:           4
        .value_kind:     by_value
      - .actual_access:  write_only
        .address_space:  global
        .offset:         64
        .size:           8
        .value_kind:     global_buffer
      - .actual_access:  read_only
        .address_space:  global
        .offset:         72
        .size:           8
        .value_kind:     global_buffer
      - .actual_access:  write_only
        .address_space:  global
        .offset:         80
        .size:           8
        .value_kind:     global_buffer
    .group_segment_fixed_size: 16388
    .kernarg_segment_align: 8
    .kernarg_segment_size: 88
    .language:       OpenCL C
    .language_version:
      - 2
      - 0
    .max_flat_workgroup_size: 128
    .name:           _ZN9rocsparseL44csr2gebsr_wavefront_per_row_multipass_kernelILi128ELi8ELi64ELi32E21rocsparse_complex_numIfEEEv20rocsparse_direction_iiiiii21rocsparse_index_base_PKT3_PKiS9_S4_PS5_PiSB_
    .private_segment_fixed_size: 0
    .sgpr_count:     41
    .sgpr_spill_count: 0
    .symbol:         _ZN9rocsparseL44csr2gebsr_wavefront_per_row_multipass_kernelILi128ELi8ELi64ELi32E21rocsparse_complex_numIfEEEv20rocsparse_direction_iiiiii21rocsparse_index_base_PKT3_PKiS9_S4_PS5_PiSB_.kd
    .uniform_work_group_size: 1
    .uses_dynamic_stack: false
    .vgpr_count:     62
    .vgpr_spill_count: 0
    .wavefront_size: 32
  - .args:
      - .offset:         0
        .size:           4
        .value_kind:     by_value
      - .offset:         4
        .size:           4
        .value_kind:     by_value
      - .offset:         8
        .size:           4
        .value_kind:     by_value
      - .offset:         12
        .size:           4
        .value_kind:     by_value
      - .offset:         16
        .size:           4
        .value_kind:     by_value
      - .offset:         20
        .size:           4
        .value_kind:     by_value
      - .offset:         24
        .size:           4
        .value_kind:     by_value
      - .offset:         28
        .size:           4
        .value_kind:     by_value
      - .actual_access:  read_only
        .address_space:  global
        .offset:         32
        .size:           8
        .value_kind:     global_buffer
      - .actual_access:  read_only
        .address_space:  global
        .offset:         40
        .size:           8
        .value_kind:     global_buffer
      - .actual_access:  read_only
        .address_space:  global
        .offset:         48
        .size:           8
        .value_kind:     global_buffer
      - .offset:         56
        .size:           4
        .value_kind:     by_value
      - .actual_access:  write_only
        .address_space:  global
        .offset:         64
        .size:           8
        .value_kind:     global_buffer
      - .actual_access:  read_only
        .address_space:  global
        .offset:         72
        .size:           8
        .value_kind:     global_buffer
      - .actual_access:  write_only
        .address_space:  global
        .offset:         80
        .size:           8
        .value_kind:     global_buffer
    .group_segment_fixed_size: 2056
    .kernarg_segment_align: 8
    .kernarg_segment_size: 88
    .language:       OpenCL C
    .language_version:
      - 2
      - 0
    .max_flat_workgroup_size: 256
    .name:           _ZN9rocsparseL44csr2gebsr_wavefront_per_row_multipass_kernelILi256ELi16ELi2ELi32E21rocsparse_complex_numIfEEEv20rocsparse_direction_iiiiii21rocsparse_index_base_PKT3_PKiS9_S4_PS5_PiSB_
    .private_segment_fixed_size: 0
    .sgpr_count:     25
    .sgpr_spill_count: 0
    .symbol:         _ZN9rocsparseL44csr2gebsr_wavefront_per_row_multipass_kernelILi256ELi16ELi2ELi32E21rocsparse_complex_numIfEEEv20rocsparse_direction_iiiiii21rocsparse_index_base_PKT3_PKiS9_S4_PS5_PiSB_.kd
    .uniform_work_group_size: 1
    .uses_dynamic_stack: false
    .vgpr_count:     36
    .vgpr_spill_count: 0
    .wavefront_size: 32
  - .args:
      - .offset:         0
        .size:           4
        .value_kind:     by_value
      - .offset:         4
        .size:           4
        .value_kind:     by_value
      - .offset:         8
        .size:           4
        .value_kind:     by_value
      - .offset:         12
        .size:           4
        .value_kind:     by_value
      - .offset:         16
        .size:           4
        .value_kind:     by_value
      - .offset:         20
        .size:           4
        .value_kind:     by_value
      - .offset:         24
        .size:           4
        .value_kind:     by_value
      - .offset:         28
        .size:           4
        .value_kind:     by_value
      - .actual_access:  read_only
        .address_space:  global
        .offset:         32
        .size:           8
        .value_kind:     global_buffer
      - .actual_access:  read_only
        .address_space:  global
        .offset:         40
        .size:           8
        .value_kind:     global_buffer
      - .actual_access:  read_only
        .address_space:  global
        .offset:         48
        .size:           8
        .value_kind:     global_buffer
      - .offset:         56
        .size:           4
        .value_kind:     by_value
      - .actual_access:  write_only
        .address_space:  global
        .offset:         64
        .size:           8
        .value_kind:     global_buffer
      - .actual_access:  read_only
        .address_space:  global
        .offset:         72
        .size:           8
        .value_kind:     global_buffer
      - .actual_access:  write_only
        .address_space:  global
        .offset:         80
        .size:           8
        .value_kind:     global_buffer
    .group_segment_fixed_size: 2052
    .kernarg_segment_align: 8
    .kernarg_segment_size: 88
    .language:       OpenCL C
    .language_version:
      - 2
      - 0
    .max_flat_workgroup_size: 256
    .name:           _ZN9rocsparseL44csr2gebsr_wavefront_per_row_multipass_kernelILi256ELi16ELi4ELi64E21rocsparse_complex_numIfEEEv20rocsparse_direction_iiiiii21rocsparse_index_base_PKT3_PKiS9_S4_PS5_PiSB_
    .private_segment_fixed_size: 0
    .sgpr_count:     25
    .sgpr_spill_count: 0
    .symbol:         _ZN9rocsparseL44csr2gebsr_wavefront_per_row_multipass_kernelILi256ELi16ELi4ELi64E21rocsparse_complex_numIfEEEv20rocsparse_direction_iiiiii21rocsparse_index_base_PKT3_PKiS9_S4_PS5_PiSB_.kd
    .uniform_work_group_size: 1
    .uses_dynamic_stack: false
    .vgpr_count:     37
    .vgpr_spill_count: 0
    .wavefront_size: 32
  - .args:
      - .offset:         0
        .size:           4
        .value_kind:     by_value
      - .offset:         4
        .size:           4
        .value_kind:     by_value
      - .offset:         8
        .size:           4
        .value_kind:     by_value
      - .offset:         12
        .size:           4
        .value_kind:     by_value
      - .offset:         16
        .size:           4
        .value_kind:     by_value
      - .offset:         20
        .size:           4
        .value_kind:     by_value
      - .offset:         24
        .size:           4
        .value_kind:     by_value
      - .offset:         28
        .size:           4
        .value_kind:     by_value
      - .actual_access:  read_only
        .address_space:  global
        .offset:         32
        .size:           8
        .value_kind:     global_buffer
      - .actual_access:  read_only
        .address_space:  global
        .offset:         40
        .size:           8
        .value_kind:     global_buffer
      - .actual_access:  read_only
        .address_space:  global
        .offset:         48
        .size:           8
        .value_kind:     global_buffer
      - .offset:         56
        .size:           4
        .value_kind:     by_value
      - .actual_access:  write_only
        .address_space:  global
        .offset:         64
        .size:           8
        .value_kind:     global_buffer
      - .actual_access:  read_only
        .address_space:  global
        .offset:         72
        .size:           8
        .value_kind:     global_buffer
      - .actual_access:  write_only
        .address_space:  global
        .offset:         80
        .size:           8
        .value_kind:     global_buffer
    .group_segment_fixed_size: 4104
    .kernarg_segment_align: 8
    .kernarg_segment_size: 88
    .language:       OpenCL C
    .language_version:
      - 2
      - 0
    .max_flat_workgroup_size: 256
    .name:           _ZN9rocsparseL44csr2gebsr_wavefront_per_row_multipass_kernelILi256ELi16ELi4ELi32E21rocsparse_complex_numIfEEEv20rocsparse_direction_iiiiii21rocsparse_index_base_PKT3_PKiS9_S4_PS5_PiSB_
    .private_segment_fixed_size: 0
    .sgpr_count:     26
    .sgpr_spill_count: 0
    .symbol:         _ZN9rocsparseL44csr2gebsr_wavefront_per_row_multipass_kernelILi256ELi16ELi4ELi32E21rocsparse_complex_numIfEEEv20rocsparse_direction_iiiiii21rocsparse_index_base_PKT3_PKiS9_S4_PS5_PiSB_.kd
    .uniform_work_group_size: 1
    .uses_dynamic_stack: false
    .vgpr_count:     40
    .vgpr_spill_count: 0
    .wavefront_size: 32
  - .args:
      - .offset:         0
        .size:           4
        .value_kind:     by_value
      - .offset:         4
        .size:           4
        .value_kind:     by_value
      - .offset:         8
        .size:           4
        .value_kind:     by_value
      - .offset:         12
        .size:           4
        .value_kind:     by_value
      - .offset:         16
        .size:           4
        .value_kind:     by_value
      - .offset:         20
        .size:           4
        .value_kind:     by_value
      - .offset:         24
        .size:           4
        .value_kind:     by_value
      - .offset:         28
        .size:           4
        .value_kind:     by_value
      - .actual_access:  read_only
        .address_space:  global
        .offset:         32
        .size:           8
        .value_kind:     global_buffer
      - .actual_access:  read_only
        .address_space:  global
        .offset:         40
        .size:           8
        .value_kind:     global_buffer
      - .actual_access:  read_only
        .address_space:  global
        .offset:         48
        .size:           8
        .value_kind:     global_buffer
      - .offset:         56
        .size:           4
        .value_kind:     by_value
      - .actual_access:  write_only
        .address_space:  global
        .offset:         64
        .size:           8
        .value_kind:     global_buffer
      - .actual_access:  read_only
        .address_space:  global
        .offset:         72
        .size:           8
        .value_kind:     global_buffer
      - .actual_access:  write_only
        .address_space:  global
        .offset:         80
        .size:           8
        .value_kind:     global_buffer
    .group_segment_fixed_size: 4100
    .kernarg_segment_align: 8
    .kernarg_segment_size: 88
    .language:       OpenCL C
    .language_version:
      - 2
      - 0
    .max_flat_workgroup_size: 256
    .name:           _ZN9rocsparseL44csr2gebsr_wavefront_per_row_multipass_kernelILi256ELi16ELi8ELi64E21rocsparse_complex_numIfEEEv20rocsparse_direction_iiiiii21rocsparse_index_base_PKT3_PKiS9_S4_PS5_PiSB_
    .private_segment_fixed_size: 0
    .sgpr_count:     26
    .sgpr_spill_count: 0
    .symbol:         _ZN9rocsparseL44csr2gebsr_wavefront_per_row_multipass_kernelILi256ELi16ELi8ELi64E21rocsparse_complex_numIfEEEv20rocsparse_direction_iiiiii21rocsparse_index_base_PKT3_PKiS9_S4_PS5_PiSB_.kd
    .uniform_work_group_size: 1
    .uses_dynamic_stack: false
    .vgpr_count:     41
    .vgpr_spill_count: 0
    .wavefront_size: 32
  - .args:
      - .offset:         0
        .size:           4
        .value_kind:     by_value
      - .offset:         4
        .size:           4
        .value_kind:     by_value
      - .offset:         8
        .size:           4
        .value_kind:     by_value
      - .offset:         12
        .size:           4
        .value_kind:     by_value
      - .offset:         16
        .size:           4
        .value_kind:     by_value
      - .offset:         20
        .size:           4
        .value_kind:     by_value
      - .offset:         24
        .size:           4
        .value_kind:     by_value
      - .offset:         28
        .size:           4
        .value_kind:     by_value
      - .actual_access:  read_only
        .address_space:  global
        .offset:         32
        .size:           8
        .value_kind:     global_buffer
      - .actual_access:  read_only
        .address_space:  global
        .offset:         40
        .size:           8
        .value_kind:     global_buffer
      - .actual_access:  read_only
        .address_space:  global
        .offset:         48
        .size:           8
        .value_kind:     global_buffer
      - .offset:         56
        .size:           4
        .value_kind:     by_value
      - .actual_access:  write_only
        .address_space:  global
        .offset:         64
        .size:           8
        .value_kind:     global_buffer
      - .actual_access:  read_only
        .address_space:  global
        .offset:         72
        .size:           8
        .value_kind:     global_buffer
      - .actual_access:  write_only
        .address_space:  global
        .offset:         80
        .size:           8
        .value_kind:     global_buffer
    .group_segment_fixed_size: 8200
    .kernarg_segment_align: 8
    .kernarg_segment_size: 88
    .language:       OpenCL C
    .language_version:
      - 2
      - 0
    .max_flat_workgroup_size: 256
    .name:           _ZN9rocsparseL44csr2gebsr_wavefront_per_row_multipass_kernelILi256ELi16ELi8ELi32E21rocsparse_complex_numIfEEEv20rocsparse_direction_iiiiii21rocsparse_index_base_PKT3_PKiS9_S4_PS5_PiSB_
    .private_segment_fixed_size: 0
    .sgpr_count:     28
    .sgpr_spill_count: 0
    .symbol:         _ZN9rocsparseL44csr2gebsr_wavefront_per_row_multipass_kernelILi256ELi16ELi8ELi32E21rocsparse_complex_numIfEEEv20rocsparse_direction_iiiiii21rocsparse_index_base_PKT3_PKiS9_S4_PS5_PiSB_.kd
    .uniform_work_group_size: 1
    .uses_dynamic_stack: false
    .vgpr_count:     44
    .vgpr_spill_count: 0
    .wavefront_size: 32
  - .args:
      - .offset:         0
        .size:           4
        .value_kind:     by_value
      - .offset:         4
        .size:           4
        .value_kind:     by_value
      - .offset:         8
        .size:           4
        .value_kind:     by_value
      - .offset:         12
        .size:           4
        .value_kind:     by_value
      - .offset:         16
        .size:           4
        .value_kind:     by_value
      - .offset:         20
        .size:           4
        .value_kind:     by_value
      - .offset:         24
        .size:           4
        .value_kind:     by_value
      - .offset:         28
        .size:           4
        .value_kind:     by_value
      - .actual_access:  read_only
        .address_space:  global
        .offset:         32
        .size:           8
        .value_kind:     global_buffer
      - .actual_access:  read_only
        .address_space:  global
        .offset:         40
        .size:           8
        .value_kind:     global_buffer
      - .actual_access:  read_only
        .address_space:  global
        .offset:         48
        .size:           8
        .value_kind:     global_buffer
      - .offset:         56
        .size:           4
        .value_kind:     by_value
      - .actual_access:  write_only
        .address_space:  global
        .offset:         64
        .size:           8
        .value_kind:     global_buffer
      - .actual_access:  read_only
        .address_space:  global
        .offset:         72
        .size:           8
        .value_kind:     global_buffer
      - .actual_access:  write_only
        .address_space:  global
        .offset:         80
        .size:           8
        .value_kind:     global_buffer
    .group_segment_fixed_size: 8196
    .kernarg_segment_align: 8
    .kernarg_segment_size: 88
    .language:       OpenCL C
    .language_version:
      - 2
      - 0
    .max_flat_workgroup_size: 256
    .name:           _ZN9rocsparseL44csr2gebsr_wavefront_per_row_multipass_kernelILi256ELi16ELi16ELi64E21rocsparse_complex_numIfEEEv20rocsparse_direction_iiiiii21rocsparse_index_base_PKT3_PKiS9_S4_PS5_PiSB_
    .private_segment_fixed_size: 0
    .sgpr_count:     28
    .sgpr_spill_count: 0
    .symbol:         _ZN9rocsparseL44csr2gebsr_wavefront_per_row_multipass_kernelILi256ELi16ELi16ELi64E21rocsparse_complex_numIfEEEv20rocsparse_direction_iiiiii21rocsparse_index_base_PKT3_PKiS9_S4_PS5_PiSB_.kd
    .uniform_work_group_size: 1
    .uses_dynamic_stack: false
    .vgpr_count:     45
    .vgpr_spill_count: 0
    .wavefront_size: 32
  - .args:
      - .offset:         0
        .size:           4
        .value_kind:     by_value
      - .offset:         4
        .size:           4
        .value_kind:     by_value
      - .offset:         8
        .size:           4
        .value_kind:     by_value
      - .offset:         12
        .size:           4
        .value_kind:     by_value
      - .offset:         16
        .size:           4
        .value_kind:     by_value
      - .offset:         20
        .size:           4
        .value_kind:     by_value
      - .offset:         24
        .size:           4
        .value_kind:     by_value
      - .offset:         28
        .size:           4
        .value_kind:     by_value
      - .actual_access:  read_only
        .address_space:  global
        .offset:         32
        .size:           8
        .value_kind:     global_buffer
      - .actual_access:  read_only
        .address_space:  global
        .offset:         40
        .size:           8
        .value_kind:     global_buffer
      - .actual_access:  read_only
        .address_space:  global
        .offset:         48
        .size:           8
        .value_kind:     global_buffer
      - .offset:         56
        .size:           4
        .value_kind:     by_value
      - .actual_access:  write_only
        .address_space:  global
        .offset:         64
        .size:           8
        .value_kind:     global_buffer
      - .actual_access:  read_only
        .address_space:  global
        .offset:         72
        .size:           8
        .value_kind:     global_buffer
      - .actual_access:  write_only
        .address_space:  global
        .offset:         80
        .size:           8
        .value_kind:     global_buffer
    .group_segment_fixed_size: 16392
    .kernarg_segment_align: 8
    .kernarg_segment_size: 88
    .language:       OpenCL C
    .language_version:
      - 2
      - 0
    .max_flat_workgroup_size: 256
    .name:           _ZN9rocsparseL44csr2gebsr_wavefront_per_row_multipass_kernelILi256ELi16ELi16ELi32E21rocsparse_complex_numIfEEEv20rocsparse_direction_iiiiii21rocsparse_index_base_PKT3_PKiS9_S4_PS5_PiSB_
    .private_segment_fixed_size: 0
    .sgpr_count:     32
    .sgpr_spill_count: 0
    .symbol:         _ZN9rocsparseL44csr2gebsr_wavefront_per_row_multipass_kernelILi256ELi16ELi16ELi32E21rocsparse_complex_numIfEEEv20rocsparse_direction_iiiiii21rocsparse_index_base_PKT3_PKiS9_S4_PS5_PiSB_.kd
    .uniform_work_group_size: 1
    .uses_dynamic_stack: false
    .vgpr_count:     52
    .vgpr_spill_count: 0
    .wavefront_size: 32
  - .args:
      - .offset:         0
        .size:           4
        .value_kind:     by_value
      - .offset:         4
        .size:           4
        .value_kind:     by_value
      - .offset:         8
        .size:           4
        .value_kind:     by_value
      - .offset:         12
        .size:           4
        .value_kind:     by_value
      - .offset:         16
        .size:           4
        .value_kind:     by_value
      - .offset:         20
        .size:           4
        .value_kind:     by_value
      - .offset:         24
        .size:           4
        .value_kind:     by_value
      - .offset:         28
        .size:           4
        .value_kind:     by_value
      - .actual_access:  read_only
        .address_space:  global
        .offset:         32
        .size:           8
        .value_kind:     global_buffer
      - .actual_access:  read_only
        .address_space:  global
        .offset:         40
        .size:           8
        .value_kind:     global_buffer
      - .actual_access:  read_only
        .address_space:  global
        .offset:         48
        .size:           8
        .value_kind:     global_buffer
      - .offset:         56
        .size:           4
        .value_kind:     by_value
      - .actual_access:  write_only
        .address_space:  global
        .offset:         64
        .size:           8
        .value_kind:     global_buffer
      - .actual_access:  read_only
        .address_space:  global
        .offset:         72
        .size:           8
        .value_kind:     global_buffer
      - .actual_access:  write_only
        .address_space:  global
        .offset:         80
        .size:           8
        .value_kind:     global_buffer
    .group_segment_fixed_size: 4100
    .kernarg_segment_align: 8
    .kernarg_segment_size: 88
    .language:       OpenCL C
    .language_version:
      - 2
      - 0
    .max_flat_workgroup_size: 128
    .name:           _ZN9rocsparseL40csr2gebsr_block_per_row_multipass_kernelILj128ELj16ELj32E21rocsparse_complex_numIfEEEv20rocsparse_direction_iiiiii21rocsparse_index_base_PKT2_PKiS9_S4_PS5_PiSB_
    .private_segment_fixed_size: 0
    .sgpr_count:     38
    .sgpr_spill_count: 0
    .symbol:         _ZN9rocsparseL40csr2gebsr_block_per_row_multipass_kernelILj128ELj16ELj32E21rocsparse_complex_numIfEEEv20rocsparse_direction_iiiiii21rocsparse_index_base_PKT2_PKiS9_S4_PS5_PiSB_.kd
    .uniform_work_group_size: 1
    .uses_dynamic_stack: false
    .vgpr_count:     36
    .vgpr_spill_count: 0
    .wavefront_size: 32
  - .args:
      - .offset:         0
        .size:           4
        .value_kind:     by_value
      - .offset:         4
        .size:           4
        .value_kind:     by_value
      - .offset:         8
        .size:           4
        .value_kind:     by_value
      - .offset:         12
        .size:           4
        .value_kind:     by_value
      - .offset:         16
        .size:           4
        .value_kind:     by_value
      - .offset:         20
        .size:           4
        .value_kind:     by_value
      - .offset:         24
        .size:           4
        .value_kind:     by_value
      - .offset:         28
        .size:           4
        .value_kind:     by_value
      - .actual_access:  read_only
        .address_space:  global
        .offset:         32
        .size:           8
        .value_kind:     global_buffer
      - .actual_access:  read_only
        .address_space:  global
        .offset:         40
        .size:           8
        .value_kind:     global_buffer
      - .actual_access:  read_only
        .address_space:  global
        .offset:         48
        .size:           8
        .value_kind:     global_buffer
      - .offset:         56
        .size:           4
        .value_kind:     by_value
      - .actual_access:  write_only
        .address_space:  global
        .offset:         64
        .size:           8
        .value_kind:     global_buffer
      - .actual_access:  read_only
        .address_space:  global
        .offset:         72
        .size:           8
        .value_kind:     global_buffer
      - .actual_access:  write_only
        .address_space:  global
        .offset:         80
        .size:           8
        .value_kind:     global_buffer
    .group_segment_fixed_size: 8196
    .kernarg_segment_align: 8
    .kernarg_segment_size: 88
    .language:       OpenCL C
    .language_version:
      - 2
      - 0
    .max_flat_workgroup_size: 128
    .name:           _ZN9rocsparseL40csr2gebsr_block_per_row_multipass_kernelILj128ELj16ELj64E21rocsparse_complex_numIfEEEv20rocsparse_direction_iiiiii21rocsparse_index_base_PKT2_PKiS9_S4_PS5_PiSB_
    .private_segment_fixed_size: 0
    .sgpr_count:     40
    .sgpr_spill_count: 0
    .symbol:         _ZN9rocsparseL40csr2gebsr_block_per_row_multipass_kernelILj128ELj16ELj64E21rocsparse_complex_numIfEEEv20rocsparse_direction_iiiiii21rocsparse_index_base_PKT2_PKiS9_S4_PS5_PiSB_.kd
    .uniform_work_group_size: 1
    .uses_dynamic_stack: false
    .vgpr_count:     44
    .vgpr_spill_count: 0
    .wavefront_size: 32
  - .args:
      - .offset:         0
        .size:           4
        .value_kind:     by_value
      - .offset:         4
        .size:           4
        .value_kind:     by_value
      - .offset:         8
        .size:           4
        .value_kind:     by_value
      - .offset:         12
        .size:           4
        .value_kind:     by_value
      - .offset:         16
        .size:           4
        .value_kind:     by_value
      - .offset:         20
        .size:           4
        .value_kind:     by_value
      - .offset:         24
        .size:           4
        .value_kind:     by_value
      - .offset:         28
        .size:           4
        .value_kind:     by_value
      - .actual_access:  read_only
        .address_space:  global
        .offset:         32
        .size:           8
        .value_kind:     global_buffer
      - .actual_access:  read_only
        .address_space:  global
        .offset:         40
        .size:           8
        .value_kind:     global_buffer
      - .actual_access:  read_only
        .address_space:  global
        .offset:         48
        .size:           8
        .value_kind:     global_buffer
      - .offset:         56
        .size:           4
        .value_kind:     by_value
      - .actual_access:  write_only
        .address_space:  global
        .offset:         64
        .size:           8
        .value_kind:     global_buffer
      - .actual_access:  read_only
        .address_space:  global
        .offset:         72
        .size:           8
        .value_kind:     global_buffer
      - .actual_access:  write_only
        .address_space:  global
        .offset:         80
        .size:           8
        .value_kind:     global_buffer
    .group_segment_fixed_size: 2052
    .kernarg_segment_align: 8
    .kernarg_segment_size: 88
    .language:       OpenCL C
    .language_version:
      - 2
      - 0
    .max_flat_workgroup_size: 256
    .name:           _ZN9rocsparseL44csr2gebsr_wavefront_per_row_multipass_kernelILi256ELi32ELi2ELi64E21rocsparse_complex_numIfEEEv20rocsparse_direction_iiiiii21rocsparse_index_base_PKT3_PKiS9_S4_PS5_PiSB_
    .private_segment_fixed_size: 0
    .sgpr_count:     25
    .sgpr_spill_count: 0
    .symbol:         _ZN9rocsparseL44csr2gebsr_wavefront_per_row_multipass_kernelILi256ELi32ELi2ELi64E21rocsparse_complex_numIfEEEv20rocsparse_direction_iiiiii21rocsparse_index_base_PKT3_PKiS9_S4_PS5_PiSB_.kd
    .uniform_work_group_size: 1
    .uses_dynamic_stack: false
    .vgpr_count:     37
    .vgpr_spill_count: 0
    .wavefront_size: 32
  - .args:
      - .offset:         0
        .size:           4
        .value_kind:     by_value
      - .offset:         4
        .size:           4
        .value_kind:     by_value
      - .offset:         8
        .size:           4
        .value_kind:     by_value
      - .offset:         12
        .size:           4
        .value_kind:     by_value
      - .offset:         16
        .size:           4
        .value_kind:     by_value
      - .offset:         20
        .size:           4
        .value_kind:     by_value
      - .offset:         24
        .size:           4
        .value_kind:     by_value
      - .offset:         28
        .size:           4
        .value_kind:     by_value
      - .actual_access:  read_only
        .address_space:  global
        .offset:         32
        .size:           8
        .value_kind:     global_buffer
      - .actual_access:  read_only
        .address_space:  global
        .offset:         40
        .size:           8
        .value_kind:     global_buffer
      - .actual_access:  read_only
        .address_space:  global
        .offset:         48
        .size:           8
        .value_kind:     global_buffer
      - .offset:         56
        .size:           4
        .value_kind:     by_value
      - .actual_access:  write_only
        .address_space:  global
        .offset:         64
        .size:           8
        .value_kind:     global_buffer
      - .actual_access:  read_only
        .address_space:  global
        .offset:         72
        .size:           8
        .value_kind:     global_buffer
      - .actual_access:  write_only
        .address_space:  global
        .offset:         80
        .size:           8
        .value_kind:     global_buffer
    .group_segment_fixed_size: 4104
    .kernarg_segment_align: 8
    .kernarg_segment_size: 88
    .language:       OpenCL C
    .language_version:
      - 2
      - 0
    .max_flat_workgroup_size: 256
    .name:           _ZN9rocsparseL44csr2gebsr_wavefront_per_row_multipass_kernelILi256ELi32ELi2ELi32E21rocsparse_complex_numIfEEEv20rocsparse_direction_iiiiii21rocsparse_index_base_PKT3_PKiS9_S4_PS5_PiSB_
    .private_segment_fixed_size: 0
    .sgpr_count:     28
    .sgpr_spill_count: 0
    .symbol:         _ZN9rocsparseL44csr2gebsr_wavefront_per_row_multipass_kernelILi256ELi32ELi2ELi32E21rocsparse_complex_numIfEEEv20rocsparse_direction_iiiiii21rocsparse_index_base_PKT3_PKiS9_S4_PS5_PiSB_.kd
    .uniform_work_group_size: 1
    .uses_dynamic_stack: false
    .vgpr_count:     35
    .vgpr_spill_count: 0
    .wavefront_size: 32
  - .args:
      - .offset:         0
        .size:           4
        .value_kind:     by_value
      - .offset:         4
        .size:           4
        .value_kind:     by_value
      - .offset:         8
        .size:           4
        .value_kind:     by_value
      - .offset:         12
        .size:           4
        .value_kind:     by_value
      - .offset:         16
        .size:           4
        .value_kind:     by_value
      - .offset:         20
        .size:           4
        .value_kind:     by_value
      - .offset:         24
        .size:           4
        .value_kind:     by_value
      - .offset:         28
        .size:           4
        .value_kind:     by_value
      - .actual_access:  read_only
        .address_space:  global
        .offset:         32
        .size:           8
        .value_kind:     global_buffer
      - .actual_access:  read_only
        .address_space:  global
        .offset:         40
        .size:           8
        .value_kind:     global_buffer
      - .actual_access:  read_only
        .address_space:  global
        .offset:         48
        .size:           8
        .value_kind:     global_buffer
      - .offset:         56
        .size:           4
        .value_kind:     by_value
      - .actual_access:  write_only
        .address_space:  global
        .offset:         64
        .size:           8
        .value_kind:     global_buffer
      - .actual_access:  read_only
        .address_space:  global
        .offset:         72
        .size:           8
        .value_kind:     global_buffer
      - .actual_access:  write_only
        .address_space:  global
        .offset:         80
        .size:           8
        .value_kind:     global_buffer
    .group_segment_fixed_size: 4100
    .kernarg_segment_align: 8
    .kernarg_segment_size: 88
    .language:       OpenCL C
    .language_version:
      - 2
      - 0
    .max_flat_workgroup_size: 256
    .name:           _ZN9rocsparseL44csr2gebsr_wavefront_per_row_multipass_kernelILi256ELi32ELi4ELi64E21rocsparse_complex_numIfEEEv20rocsparse_direction_iiiiii21rocsparse_index_base_PKT3_PKiS9_S4_PS5_PiSB_
    .private_segment_fixed_size: 0
    .sgpr_count:     26
    .sgpr_spill_count: 0
    .symbol:         _ZN9rocsparseL44csr2gebsr_wavefront_per_row_multipass_kernelILi256ELi32ELi4ELi64E21rocsparse_complex_numIfEEEv20rocsparse_direction_iiiiii21rocsparse_index_base_PKT3_PKiS9_S4_PS5_PiSB_.kd
    .uniform_work_group_size: 1
    .uses_dynamic_stack: false
    .vgpr_count:     41
    .vgpr_spill_count: 0
    .wavefront_size: 32
  - .args:
      - .offset:         0
        .size:           4
        .value_kind:     by_value
      - .offset:         4
        .size:           4
        .value_kind:     by_value
      - .offset:         8
        .size:           4
        .value_kind:     by_value
      - .offset:         12
        .size:           4
        .value_kind:     by_value
      - .offset:         16
        .size:           4
        .value_kind:     by_value
      - .offset:         20
        .size:           4
        .value_kind:     by_value
      - .offset:         24
        .size:           4
        .value_kind:     by_value
      - .offset:         28
        .size:           4
        .value_kind:     by_value
      - .actual_access:  read_only
        .address_space:  global
        .offset:         32
        .size:           8
        .value_kind:     global_buffer
      - .actual_access:  read_only
        .address_space:  global
        .offset:         40
        .size:           8
        .value_kind:     global_buffer
      - .actual_access:  read_only
        .address_space:  global
        .offset:         48
        .size:           8
        .value_kind:     global_buffer
      - .offset:         56
        .size:           4
        .value_kind:     by_value
      - .actual_access:  write_only
        .address_space:  global
        .offset:         64
        .size:           8
        .value_kind:     global_buffer
      - .actual_access:  read_only
        .address_space:  global
        .offset:         72
        .size:           8
        .value_kind:     global_buffer
      - .actual_access:  write_only
        .address_space:  global
        .offset:         80
        .size:           8
        .value_kind:     global_buffer
    .group_segment_fixed_size: 8200
    .kernarg_segment_align: 8
    .kernarg_segment_size: 88
    .language:       OpenCL C
    .language_version:
      - 2
      - 0
    .max_flat_workgroup_size: 256
    .name:           _ZN9rocsparseL44csr2gebsr_wavefront_per_row_multipass_kernelILi256ELi32ELi4ELi32E21rocsparse_complex_numIfEEEv20rocsparse_direction_iiiiii21rocsparse_index_base_PKT3_PKiS9_S4_PS5_PiSB_
    .private_segment_fixed_size: 0
    .sgpr_count:     42
    .sgpr_spill_count: 0
    .symbol:         _ZN9rocsparseL44csr2gebsr_wavefront_per_row_multipass_kernelILi256ELi32ELi4ELi32E21rocsparse_complex_numIfEEEv20rocsparse_direction_iiiiii21rocsparse_index_base_PKT3_PKiS9_S4_PS5_PiSB_.kd
    .uniform_work_group_size: 1
    .uses_dynamic_stack: false
    .vgpr_count:     35
    .vgpr_spill_count: 0
    .wavefront_size: 32
  - .args:
      - .offset:         0
        .size:           4
        .value_kind:     by_value
      - .offset:         4
        .size:           4
        .value_kind:     by_value
      - .offset:         8
        .size:           4
        .value_kind:     by_value
      - .offset:         12
        .size:           4
        .value_kind:     by_value
      - .offset:         16
        .size:           4
        .value_kind:     by_value
      - .offset:         20
        .size:           4
        .value_kind:     by_value
      - .offset:         24
        .size:           4
        .value_kind:     by_value
      - .offset:         28
        .size:           4
        .value_kind:     by_value
      - .actual_access:  read_only
        .address_space:  global
        .offset:         32
        .size:           8
        .value_kind:     global_buffer
      - .actual_access:  read_only
        .address_space:  global
        .offset:         40
        .size:           8
        .value_kind:     global_buffer
      - .actual_access:  read_only
        .address_space:  global
        .offset:         48
        .size:           8
        .value_kind:     global_buffer
      - .offset:         56
        .size:           4
        .value_kind:     by_value
      - .actual_access:  write_only
        .address_space:  global
        .offset:         64
        .size:           8
        .value_kind:     global_buffer
      - .actual_access:  read_only
        .address_space:  global
        .offset:         72
        .size:           8
        .value_kind:     global_buffer
      - .actual_access:  write_only
        .address_space:  global
        .offset:         80
        .size:           8
        .value_kind:     global_buffer
    .group_segment_fixed_size: 8196
    .kernarg_segment_align: 8
    .kernarg_segment_size: 88
    .language:       OpenCL C
    .language_version:
      - 2
      - 0
    .max_flat_workgroup_size: 256
    .name:           _ZN9rocsparseL44csr2gebsr_wavefront_per_row_multipass_kernelILi256ELi32ELi8ELi64E21rocsparse_complex_numIfEEEv20rocsparse_direction_iiiiii21rocsparse_index_base_PKT3_PKiS9_S4_PS5_PiSB_
    .private_segment_fixed_size: 0
    .sgpr_count:     28
    .sgpr_spill_count: 0
    .symbol:         _ZN9rocsparseL44csr2gebsr_wavefront_per_row_multipass_kernelILi256ELi32ELi8ELi64E21rocsparse_complex_numIfEEEv20rocsparse_direction_iiiiii21rocsparse_index_base_PKT3_PKiS9_S4_PS5_PiSB_.kd
    .uniform_work_group_size: 1
    .uses_dynamic_stack: false
    .vgpr_count:     45
    .vgpr_spill_count: 0
    .wavefront_size: 32
  - .args:
      - .offset:         0
        .size:           4
        .value_kind:     by_value
      - .offset:         4
        .size:           4
        .value_kind:     by_value
      - .offset:         8
        .size:           4
        .value_kind:     by_value
      - .offset:         12
        .size:           4
        .value_kind:     by_value
      - .offset:         16
        .size:           4
        .value_kind:     by_value
      - .offset:         20
        .size:           4
        .value_kind:     by_value
      - .offset:         24
        .size:           4
        .value_kind:     by_value
      - .offset:         28
        .size:           4
        .value_kind:     by_value
      - .actual_access:  read_only
        .address_space:  global
        .offset:         32
        .size:           8
        .value_kind:     global_buffer
      - .actual_access:  read_only
        .address_space:  global
        .offset:         40
        .size:           8
        .value_kind:     global_buffer
      - .actual_access:  read_only
        .address_space:  global
        .offset:         48
        .size:           8
        .value_kind:     global_buffer
      - .offset:         56
        .size:           4
        .value_kind:     by_value
      - .actual_access:  write_only
        .address_space:  global
        .offset:         64
        .size:           8
        .value_kind:     global_buffer
      - .actual_access:  read_only
        .address_space:  global
        .offset:         72
        .size:           8
        .value_kind:     global_buffer
      - .actual_access:  write_only
        .address_space:  global
        .offset:         80
        .size:           8
        .value_kind:     global_buffer
    .group_segment_fixed_size: 16392
    .kernarg_segment_align: 8
    .kernarg_segment_size: 88
    .language:       OpenCL C
    .language_version:
      - 2
      - 0
    .max_flat_workgroup_size: 256
    .name:           _ZN9rocsparseL44csr2gebsr_wavefront_per_row_multipass_kernelILi256ELi32ELi8ELi32E21rocsparse_complex_numIfEEEv20rocsparse_direction_iiiiii21rocsparse_index_base_PKT3_PKiS9_S4_PS5_PiSB_
    .private_segment_fixed_size: 0
    .sgpr_count:     50
    .sgpr_spill_count: 0
    .symbol:         _ZN9rocsparseL44csr2gebsr_wavefront_per_row_multipass_kernelILi256ELi32ELi8ELi32E21rocsparse_complex_numIfEEEv20rocsparse_direction_iiiiii21rocsparse_index_base_PKT3_PKiS9_S4_PS5_PiSB_.kd
    .uniform_work_group_size: 1
    .uses_dynamic_stack: false
    .vgpr_count:     35
    .vgpr_spill_count: 0
    .wavefront_size: 32
  - .args:
      - .offset:         0
        .size:           4
        .value_kind:     by_value
      - .offset:         4
        .size:           4
        .value_kind:     by_value
      - .offset:         8
        .size:           4
        .value_kind:     by_value
      - .offset:         12
        .size:           4
        .value_kind:     by_value
      - .offset:         16
        .size:           4
        .value_kind:     by_value
      - .offset:         20
        .size:           4
        .value_kind:     by_value
      - .offset:         24
        .size:           4
        .value_kind:     by_value
      - .offset:         28
        .size:           4
        .value_kind:     by_value
      - .actual_access:  read_only
        .address_space:  global
        .offset:         32
        .size:           8
        .value_kind:     global_buffer
      - .actual_access:  read_only
        .address_space:  global
        .offset:         40
        .size:           8
        .value_kind:     global_buffer
      - .actual_access:  read_only
        .address_space:  global
        .offset:         48
        .size:           8
        .value_kind:     global_buffer
      - .offset:         56
        .size:           4
        .value_kind:     by_value
      - .actual_access:  write_only
        .address_space:  global
        .offset:         64
        .size:           8
        .value_kind:     global_buffer
      - .actual_access:  read_only
        .address_space:  global
        .offset:         72
        .size:           8
        .value_kind:     global_buffer
      - .actual_access:  write_only
        .address_space:  global
        .offset:         80
        .size:           8
        .value_kind:     global_buffer
    .group_segment_fixed_size: 4100
    .kernarg_segment_align: 8
    .kernarg_segment_size: 88
    .language:       OpenCL C
    .language_version:
      - 2
      - 0
    .max_flat_workgroup_size: 256
    .name:           _ZN9rocsparseL40csr2gebsr_block_per_row_multipass_kernelILj256ELj32ELj16E21rocsparse_complex_numIfEEEv20rocsparse_direction_iiiiii21rocsparse_index_base_PKT2_PKiS9_S4_PS5_PiSB_
    .private_segment_fixed_size: 0
    .sgpr_count:     38
    .sgpr_spill_count: 0
    .symbol:         _ZN9rocsparseL40csr2gebsr_block_per_row_multipass_kernelILj256ELj32ELj16E21rocsparse_complex_numIfEEEv20rocsparse_direction_iiiiii21rocsparse_index_base_PKT2_PKiS9_S4_PS5_PiSB_.kd
    .uniform_work_group_size: 1
    .uses_dynamic_stack: false
    .vgpr_count:     32
    .vgpr_spill_count: 0
    .wavefront_size: 32
  - .args:
      - .offset:         0
        .size:           4
        .value_kind:     by_value
      - .offset:         4
        .size:           4
        .value_kind:     by_value
      - .offset:         8
        .size:           4
        .value_kind:     by_value
      - .offset:         12
        .size:           4
        .value_kind:     by_value
      - .offset:         16
        .size:           4
        .value_kind:     by_value
      - .offset:         20
        .size:           4
        .value_kind:     by_value
      - .offset:         24
        .size:           4
        .value_kind:     by_value
      - .offset:         28
        .size:           4
        .value_kind:     by_value
      - .actual_access:  read_only
        .address_space:  global
        .offset:         32
        .size:           8
        .value_kind:     global_buffer
      - .actual_access:  read_only
        .address_space:  global
        .offset:         40
        .size:           8
        .value_kind:     global_buffer
      - .actual_access:  read_only
        .address_space:  global
        .offset:         48
        .size:           8
        .value_kind:     global_buffer
      - .offset:         56
        .size:           4
        .value_kind:     by_value
      - .actual_access:  write_only
        .address_space:  global
        .offset:         64
        .size:           8
        .value_kind:     global_buffer
      - .actual_access:  read_only
        .address_space:  global
        .offset:         72
        .size:           8
        .value_kind:     global_buffer
      - .actual_access:  write_only
        .address_space:  global
        .offset:         80
        .size:           8
        .value_kind:     global_buffer
    .group_segment_fixed_size: 8196
    .kernarg_segment_align: 8
    .kernarg_segment_size: 88
    .language:       OpenCL C
    .language_version:
      - 2
      - 0
    .max_flat_workgroup_size: 256
    .name:           _ZN9rocsparseL40csr2gebsr_block_per_row_multipass_kernelILj256ELj32ELj32E21rocsparse_complex_numIfEEEv20rocsparse_direction_iiiiii21rocsparse_index_base_PKT2_PKiS9_S4_PS5_PiSB_
    .private_segment_fixed_size: 0
    .sgpr_count:     38
    .sgpr_spill_count: 0
    .symbol:         _ZN9rocsparseL40csr2gebsr_block_per_row_multipass_kernelILj256ELj32ELj32E21rocsparse_complex_numIfEEEv20rocsparse_direction_iiiiii21rocsparse_index_base_PKT2_PKiS9_S4_PS5_PiSB_.kd
    .uniform_work_group_size: 1
    .uses_dynamic_stack: false
    .vgpr_count:     36
    .vgpr_spill_count: 0
    .wavefront_size: 32
  - .args:
      - .offset:         0
        .size:           4
        .value_kind:     by_value
      - .offset:         4
        .size:           4
        .value_kind:     by_value
      - .offset:         8
        .size:           4
        .value_kind:     by_value
      - .offset:         12
        .size:           4
        .value_kind:     by_value
      - .offset:         16
        .size:           4
        .value_kind:     by_value
      - .offset:         20
        .size:           4
        .value_kind:     by_value
      - .offset:         24
        .size:           4
        .value_kind:     by_value
      - .offset:         28
        .size:           4
        .value_kind:     by_value
      - .actual_access:  read_only
        .address_space:  global
        .offset:         32
        .size:           8
        .value_kind:     global_buffer
      - .actual_access:  read_only
        .address_space:  global
        .offset:         40
        .size:           8
        .value_kind:     global_buffer
      - .actual_access:  read_only
        .address_space:  global
        .offset:         48
        .size:           8
        .value_kind:     global_buffer
      - .offset:         56
        .size:           4
        .value_kind:     by_value
      - .actual_access:  write_only
        .address_space:  global
        .offset:         64
        .size:           8
        .value_kind:     global_buffer
      - .actual_access:  read_only
        .address_space:  global
        .offset:         72
        .size:           8
        .value_kind:     global_buffer
      - .actual_access:  write_only
        .address_space:  global
        .offset:         80
        .size:           8
        .value_kind:     global_buffer
    .group_segment_fixed_size: 16388
    .kernarg_segment_align: 8
    .kernarg_segment_size: 88
    .language:       OpenCL C
    .language_version:
      - 2
      - 0
    .max_flat_workgroup_size: 256
    .name:           _ZN9rocsparseL40csr2gebsr_block_per_row_multipass_kernelILj256ELj32ELj64E21rocsparse_complex_numIfEEEv20rocsparse_direction_iiiiii21rocsparse_index_base_PKT2_PKiS9_S4_PS5_PiSB_
    .private_segment_fixed_size: 0
    .sgpr_count:     42
    .sgpr_spill_count: 0
    .symbol:         _ZN9rocsparseL40csr2gebsr_block_per_row_multipass_kernelILj256ELj32ELj64E21rocsparse_complex_numIfEEEv20rocsparse_direction_iiiiii21rocsparse_index_base_PKT2_PKiS9_S4_PS5_PiSB_.kd
    .uniform_work_group_size: 1
    .uses_dynamic_stack: false
    .vgpr_count:     44
    .vgpr_spill_count: 0
    .wavefront_size: 32
  - .args:
      - .offset:         0
        .size:           4
        .value_kind:     by_value
      - .offset:         4
        .size:           4
        .value_kind:     by_value
      - .offset:         8
        .size:           4
        .value_kind:     by_value
      - .offset:         12
        .size:           4
        .value_kind:     by_value
      - .offset:         16
        .size:           4
        .value_kind:     by_value
      - .offset:         20
        .size:           4
        .value_kind:     by_value
      - .offset:         24
        .size:           4
        .value_kind:     by_value
      - .offset:         28
        .size:           4
        .value_kind:     by_value
      - .actual_access:  read_only
        .address_space:  global
        .offset:         32
        .size:           8
        .value_kind:     global_buffer
      - .actual_access:  read_only
        .address_space:  global
        .offset:         40
        .size:           8
        .value_kind:     global_buffer
      - .actual_access:  read_only
        .address_space:  global
        .offset:         48
        .size:           8
        .value_kind:     global_buffer
      - .offset:         56
        .size:           4
        .value_kind:     by_value
      - .actual_access:  write_only
        .address_space:  global
        .offset:         64
        .size:           8
        .value_kind:     global_buffer
      - .actual_access:  read_only
        .address_space:  global
        .offset:         72
        .size:           8
        .value_kind:     global_buffer
      - .actual_access:  write_only
        .address_space:  global
        .offset:         80
        .size:           8
        .value_kind:     global_buffer
    .group_segment_fixed_size: 1028
    .kernarg_segment_align: 8
    .kernarg_segment_size: 88
    .language:       OpenCL C
    .language_version:
      - 2
      - 0
    .max_flat_workgroup_size: 128
    .name:           _ZN9rocsparseL40csr2gebsr_block_per_row_multipass_kernelILj128ELj64ELj2E21rocsparse_complex_numIfEEEv20rocsparse_direction_iiiiii21rocsparse_index_base_PKT2_PKiS9_S4_PS5_PiSB_
    .private_segment_fixed_size: 0
    .sgpr_count:     33
    .sgpr_spill_count: 0
    .symbol:         _ZN9rocsparseL40csr2gebsr_block_per_row_multipass_kernelILj128ELj64ELj2E21rocsparse_complex_numIfEEEv20rocsparse_direction_iiiiii21rocsparse_index_base_PKT2_PKiS9_S4_PS5_PiSB_.kd
    .uniform_work_group_size: 1
    .uses_dynamic_stack: false
    .vgpr_count:     25
    .vgpr_spill_count: 0
    .wavefront_size: 32
  - .args:
      - .offset:         0
        .size:           4
        .value_kind:     by_value
      - .offset:         4
        .size:           4
        .value_kind:     by_value
      - .offset:         8
        .size:           4
        .value_kind:     by_value
      - .offset:         12
        .size:           4
        .value_kind:     by_value
      - .offset:         16
        .size:           4
        .value_kind:     by_value
      - .offset:         20
        .size:           4
        .value_kind:     by_value
      - .offset:         24
        .size:           4
        .value_kind:     by_value
      - .offset:         28
        .size:           4
        .value_kind:     by_value
      - .actual_access:  read_only
        .address_space:  global
        .offset:         32
        .size:           8
        .value_kind:     global_buffer
      - .actual_access:  read_only
        .address_space:  global
        .offset:         40
        .size:           8
        .value_kind:     global_buffer
      - .actual_access:  read_only
        .address_space:  global
        .offset:         48
        .size:           8
        .value_kind:     global_buffer
      - .offset:         56
        .size:           4
        .value_kind:     by_value
      - .actual_access:  write_only
        .address_space:  global
        .offset:         64
        .size:           8
        .value_kind:     global_buffer
      - .actual_access:  read_only
        .address_space:  global
        .offset:         72
        .size:           8
        .value_kind:     global_buffer
      - .actual_access:  write_only
        .address_space:  global
        .offset:         80
        .size:           8
        .value_kind:     global_buffer
    .group_segment_fixed_size: 2052
    .kernarg_segment_align: 8
    .kernarg_segment_size: 88
    .language:       OpenCL C
    .language_version:
      - 2
      - 0
    .max_flat_workgroup_size: 256
    .name:           _ZN9rocsparseL40csr2gebsr_block_per_row_multipass_kernelILj256ELj64ELj4E21rocsparse_complex_numIfEEEv20rocsparse_direction_iiiiii21rocsparse_index_base_PKT2_PKiS9_S4_PS5_PiSB_
    .private_segment_fixed_size: 0
    .sgpr_count:     34
    .sgpr_spill_count: 0
    .symbol:         _ZN9rocsparseL40csr2gebsr_block_per_row_multipass_kernelILj256ELj64ELj4E21rocsparse_complex_numIfEEEv20rocsparse_direction_iiiiii21rocsparse_index_base_PKT2_PKiS9_S4_PS5_PiSB_.kd
    .uniform_work_group_size: 1
    .uses_dynamic_stack: false
    .vgpr_count:     26
    .vgpr_spill_count: 0
    .wavefront_size: 32
  - .args:
      - .offset:         0
        .size:           4
        .value_kind:     by_value
      - .offset:         4
        .size:           4
        .value_kind:     by_value
      - .offset:         8
        .size:           4
        .value_kind:     by_value
      - .offset:         12
        .size:           4
        .value_kind:     by_value
      - .offset:         16
        .size:           4
        .value_kind:     by_value
      - .offset:         20
        .size:           4
        .value_kind:     by_value
      - .offset:         24
        .size:           4
        .value_kind:     by_value
      - .offset:         28
        .size:           4
        .value_kind:     by_value
      - .actual_access:  read_only
        .address_space:  global
        .offset:         32
        .size:           8
        .value_kind:     global_buffer
      - .actual_access:  read_only
        .address_space:  global
        .offset:         40
        .size:           8
        .value_kind:     global_buffer
      - .actual_access:  read_only
        .address_space:  global
        .offset:         48
        .size:           8
        .value_kind:     global_buffer
      - .offset:         56
        .size:           4
        .value_kind:     by_value
      - .actual_access:  write_only
        .address_space:  global
        .offset:         64
        .size:           8
        .value_kind:     global_buffer
      - .actual_access:  read_only
        .address_space:  global
        .offset:         72
        .size:           8
        .value_kind:     global_buffer
      - .actual_access:  write_only
        .address_space:  global
        .offset:         80
        .size:           8
        .value_kind:     global_buffer
    .group_segment_fixed_size: 4100
    .kernarg_segment_align: 8
    .kernarg_segment_size: 88
    .language:       OpenCL C
    .language_version:
      - 2
      - 0
    .max_flat_workgroup_size: 256
    .name:           _ZN9rocsparseL40csr2gebsr_block_per_row_multipass_kernelILj256ELj64ELj8E21rocsparse_complex_numIfEEEv20rocsparse_direction_iiiiii21rocsparse_index_base_PKT2_PKiS9_S4_PS5_PiSB_
    .private_segment_fixed_size: 0
    .sgpr_count:     38
    .sgpr_spill_count: 0
    .symbol:         _ZN9rocsparseL40csr2gebsr_block_per_row_multipass_kernelILj256ELj64ELj8E21rocsparse_complex_numIfEEEv20rocsparse_direction_iiiiii21rocsparse_index_base_PKT2_PKiS9_S4_PS5_PiSB_.kd
    .uniform_work_group_size: 1
    .uses_dynamic_stack: false
    .vgpr_count:     32
    .vgpr_spill_count: 0
    .wavefront_size: 32
  - .args:
      - .offset:         0
        .size:           4
        .value_kind:     by_value
      - .offset:         4
        .size:           4
        .value_kind:     by_value
      - .offset:         8
        .size:           4
        .value_kind:     by_value
      - .offset:         12
        .size:           4
        .value_kind:     by_value
      - .offset:         16
        .size:           4
        .value_kind:     by_value
      - .offset:         20
        .size:           4
        .value_kind:     by_value
      - .offset:         24
        .size:           4
        .value_kind:     by_value
      - .offset:         28
        .size:           4
        .value_kind:     by_value
      - .actual_access:  read_only
        .address_space:  global
        .offset:         32
        .size:           8
        .value_kind:     global_buffer
      - .actual_access:  read_only
        .address_space:  global
        .offset:         40
        .size:           8
        .value_kind:     global_buffer
      - .actual_access:  read_only
        .address_space:  global
        .offset:         48
        .size:           8
        .value_kind:     global_buffer
      - .offset:         56
        .size:           4
        .value_kind:     by_value
      - .actual_access:  write_only
        .address_space:  global
        .offset:         64
        .size:           8
        .value_kind:     global_buffer
      - .actual_access:  read_only
        .address_space:  global
        .offset:         72
        .size:           8
        .value_kind:     global_buffer
      - .actual_access:  write_only
        .address_space:  global
        .offset:         80
        .size:           8
        .value_kind:     global_buffer
    .group_segment_fixed_size: 8196
    .kernarg_segment_align: 8
    .kernarg_segment_size: 88
    .language:       OpenCL C
    .language_version:
      - 2
      - 0
    .max_flat_workgroup_size: 256
    .name:           _ZN9rocsparseL40csr2gebsr_block_per_row_multipass_kernelILj256ELj64ELj16E21rocsparse_complex_numIfEEEv20rocsparse_direction_iiiiii21rocsparse_index_base_PKT2_PKiS9_S4_PS5_PiSB_
    .private_segment_fixed_size: 0
    .sgpr_count:     38
    .sgpr_spill_count: 0
    .symbol:         _ZN9rocsparseL40csr2gebsr_block_per_row_multipass_kernelILj256ELj64ELj16E21rocsparse_complex_numIfEEEv20rocsparse_direction_iiiiii21rocsparse_index_base_PKT2_PKiS9_S4_PS5_PiSB_.kd
    .uniform_work_group_size: 1
    .uses_dynamic_stack: false
    .vgpr_count:     36
    .vgpr_spill_count: 0
    .wavefront_size: 32
  - .args:
      - .offset:         0
        .size:           4
        .value_kind:     by_value
      - .offset:         4
        .size:           4
        .value_kind:     by_value
      - .offset:         8
        .size:           4
        .value_kind:     by_value
      - .offset:         12
        .size:           4
        .value_kind:     by_value
      - .offset:         16
        .size:           4
        .value_kind:     by_value
      - .offset:         20
        .size:           4
        .value_kind:     by_value
      - .offset:         24
        .size:           4
        .value_kind:     by_value
      - .offset:         28
        .size:           4
        .value_kind:     by_value
      - .actual_access:  read_only
        .address_space:  global
        .offset:         32
        .size:           8
        .value_kind:     global_buffer
      - .actual_access:  read_only
        .address_space:  global
        .offset:         40
        .size:           8
        .value_kind:     global_buffer
      - .actual_access:  read_only
        .address_space:  global
        .offset:         48
        .size:           8
        .value_kind:     global_buffer
      - .offset:         56
        .size:           4
        .value_kind:     by_value
      - .actual_access:  write_only
        .address_space:  global
        .offset:         64
        .size:           8
        .value_kind:     global_buffer
      - .actual_access:  read_only
        .address_space:  global
        .offset:         72
        .size:           8
        .value_kind:     global_buffer
      - .actual_access:  write_only
        .address_space:  global
        .offset:         80
        .size:           8
        .value_kind:     global_buffer
    .group_segment_fixed_size: 16388
    .kernarg_segment_align: 8
    .kernarg_segment_size: 88
    .language:       OpenCL C
    .language_version:
      - 2
      - 0
    .max_flat_workgroup_size: 256
    .name:           _ZN9rocsparseL40csr2gebsr_block_per_row_multipass_kernelILj256ELj64ELj32E21rocsparse_complex_numIfEEEv20rocsparse_direction_iiiiii21rocsparse_index_base_PKT2_PKiS9_S4_PS5_PiSB_
    .private_segment_fixed_size: 0
    .sgpr_count:     42
    .sgpr_spill_count: 0
    .symbol:         _ZN9rocsparseL40csr2gebsr_block_per_row_multipass_kernelILj256ELj64ELj32E21rocsparse_complex_numIfEEEv20rocsparse_direction_iiiiii21rocsparse_index_base_PKT2_PKiS9_S4_PS5_PiSB_.kd
    .uniform_work_group_size: 1
    .uses_dynamic_stack: false
    .vgpr_count:     44
    .vgpr_spill_count: 0
    .wavefront_size: 32
  - .args:
      - .offset:         0
        .size:           4
        .value_kind:     by_value
      - .offset:         4
        .size:           4
        .value_kind:     by_value
      - .offset:         8
        .size:           4
        .value_kind:     by_value
      - .offset:         12
        .size:           4
        .value_kind:     by_value
      - .offset:         16
        .size:           4
        .value_kind:     by_value
      - .offset:         20
        .size:           4
        .value_kind:     by_value
      - .offset:         24
        .size:           4
        .value_kind:     by_value
      - .offset:         28
        .size:           4
        .value_kind:     by_value
      - .actual_access:  read_only
        .address_space:  global
        .offset:         32
        .size:           8
        .value_kind:     global_buffer
      - .actual_access:  read_only
        .address_space:  global
        .offset:         40
        .size:           8
        .value_kind:     global_buffer
      - .actual_access:  read_only
        .address_space:  global
        .offset:         48
        .size:           8
        .value_kind:     global_buffer
      - .offset:         56
        .size:           4
        .value_kind:     by_value
      - .actual_access:  write_only
        .address_space:  global
        .offset:         64
        .size:           8
        .value_kind:     global_buffer
      - .actual_access:  read_only
        .address_space:  global
        .offset:         72
        .size:           8
        .value_kind:     global_buffer
      - .actual_access:  write_only
        .address_space:  global
        .offset:         80
        .size:           8
        .value_kind:     global_buffer
    .group_segment_fixed_size: 32772
    .kernarg_segment_align: 8
    .kernarg_segment_size: 88
    .language:       OpenCL C
    .language_version:
      - 2
      - 0
    .max_flat_workgroup_size: 256
    .name:           _ZN9rocsparseL40csr2gebsr_block_per_row_multipass_kernelILj256ELj64ELj64E21rocsparse_complex_numIfEEEv20rocsparse_direction_iiiiii21rocsparse_index_base_PKT2_PKiS9_S4_PS5_PiSB_
    .private_segment_fixed_size: 0
    .sgpr_count:     50
    .sgpr_spill_count: 0
    .symbol:         _ZN9rocsparseL40csr2gebsr_block_per_row_multipass_kernelILj256ELj64ELj64E21rocsparse_complex_numIfEEEv20rocsparse_direction_iiiiii21rocsparse_index_base_PKT2_PKiS9_S4_PS5_PiSB_.kd
    .uniform_work_group_size: 1
    .uses_dynamic_stack: false
    .vgpr_count:     60
    .vgpr_spill_count: 0
    .wavefront_size: 32
  - .args:
      - .offset:         0
        .size:           4
        .value_kind:     by_value
      - .offset:         4
        .size:           4
        .value_kind:     by_value
      - .offset:         8
        .size:           4
        .value_kind:     by_value
      - .offset:         12
        .size:           4
        .value_kind:     by_value
      - .offset:         16
        .size:           4
        .value_kind:     by_value
      - .offset:         20
        .size:           4
        .value_kind:     by_value
      - .offset:         24
        .size:           4
        .value_kind:     by_value
      - .offset:         28
        .size:           4
        .value_kind:     by_value
      - .offset:         32
        .size:           4
        .value_kind:     by_value
      - .actual_access:  read_only
        .address_space:  global
        .offset:         40
        .size:           8
        .value_kind:     global_buffer
      - .actual_access:  read_only
        .address_space:  global
        .offset:         48
        .size:           8
        .value_kind:     global_buffer
      - .actual_access:  read_only
        .address_space:  global
        .offset:         56
        .size:           8
        .value_kind:     global_buffer
      - .offset:         64
        .size:           4
        .value_kind:     by_value
      - .actual_access:  write_only
        .address_space:  global
        .offset:         72
        .size:           8
        .value_kind:     global_buffer
      - .actual_access:  read_only
        .address_space:  global
        .offset:         80
        .size:           8
        .value_kind:     global_buffer
      - .actual_access:  write_only
        .address_space:  global
        .offset:         88
        .size:           8
        .value_kind:     global_buffer
      - .address_space:  global
        .offset:         96
        .size:           8
        .value_kind:     global_buffer
      - .address_space:  global
        .offset:         104
        .size:           8
        .value_kind:     global_buffer
    .group_segment_fixed_size: 0
    .kernarg_segment_align: 8
    .kernarg_segment_size: 112
    .language:       OpenCL C
    .language_version:
      - 2
      - 0
    .max_flat_workgroup_size: 32
    .name:           _ZN9rocsparseL23csr2gebsr_65_inf_kernelILi32E21rocsparse_complex_numIfEEEv20rocsparse_direction_iiiiiii21rocsparse_index_base_PKT0_PKiS9_S4_PS5_PiSB_SB_SA_
    .private_segment_fixed_size: 0
    .sgpr_count:     39
    .sgpr_spill_count: 0
    .symbol:         _ZN9rocsparseL23csr2gebsr_65_inf_kernelILi32E21rocsparse_complex_numIfEEEv20rocsparse_direction_iiiiiii21rocsparse_index_base_PKT0_PKiS9_S4_PS5_PiSB_SB_SA_.kd
    .uniform_work_group_size: 1
    .uses_dynamic_stack: false
    .vgpr_count:     39
    .vgpr_spill_count: 0
    .wavefront_size: 32
  - .args:
      - .offset:         0
        .size:           4
        .value_kind:     by_value
      - .offset:         4
        .size:           4
        .value_kind:     by_value
      - .offset:         8
        .size:           4
        .value_kind:     by_value
      - .offset:         12
        .size:           4
        .value_kind:     by_value
      - .offset:         16
        .size:           4
        .value_kind:     by_value
      - .address_space:  global
        .offset:         24
        .size:           8
        .value_kind:     global_buffer
      - .address_space:  global
        .offset:         32
        .size:           8
        .value_kind:     global_buffer
      - .address_space:  global
        .offset:         40
        .size:           8
        .value_kind:     global_buffer
      - .offset:         48
        .size:           4
        .value_kind:     by_value
      - .offset:         52
        .size:           4
        .value_kind:     by_value
      - .address_space:  global
        .offset:         56
        .size:           8
        .value_kind:     global_buffer
      - .address_space:  global
        .offset:         64
        .size:           8
        .value_kind:     global_buffer
      - .address_space:  global
        .offset:         72
        .size:           8
        .value_kind:     global_buffer
      - .offset:         80
        .size:           4
        .value_kind:     by_value
      - .offset:         84
        .size:           4
        .value_kind:     by_value
    .group_segment_fixed_size: 0
    .kernarg_segment_align: 8
    .kernarg_segment_size: 88
    .language:       OpenCL C
    .language_version:
      - 2
      - 0
    .max_flat_workgroup_size: 256
    .name:           _ZN9rocsparseL20csr2gebsr_kernel_bm1ILi256E21rocsparse_complex_numIdEEEviiii21rocsparse_index_base_PKT0_PKiS8_20rocsparse_direction_S3_PS4_S8_Piii
    .private_segment_fixed_size: 0
    .sgpr_count:     22
    .sgpr_spill_count: 0
    .symbol:         _ZN9rocsparseL20csr2gebsr_kernel_bm1ILi256E21rocsparse_complex_numIdEEEviiii21rocsparse_index_base_PKT0_PKiS8_20rocsparse_direction_S3_PS4_S8_Piii.kd
    .uniform_work_group_size: 1
    .uses_dynamic_stack: false
    .vgpr_count:     22
    .vgpr_spill_count: 0
    .wavefront_size: 32
  - .args:
      - .offset:         0
        .size:           4
        .value_kind:     by_value
      - .offset:         4
        .size:           4
        .value_kind:     by_value
      - .offset:         8
        .size:           4
        .value_kind:     by_value
      - .offset:         12
        .size:           4
        .value_kind:     by_value
      - .offset:         16
        .size:           4
        .value_kind:     by_value
      - .offset:         20
        .size:           4
        .value_kind:     by_value
      - .offset:         24
        .size:           4
        .value_kind:     by_value
      - .offset:         28
        .size:           4
        .value_kind:     by_value
      - .actual_access:  read_only
        .address_space:  global
        .offset:         32
        .size:           8
        .value_kind:     global_buffer
      - .actual_access:  read_only
        .address_space:  global
        .offset:         40
        .size:           8
        .value_kind:     global_buffer
      - .actual_access:  read_only
        .address_space:  global
        .offset:         48
        .size:           8
        .value_kind:     global_buffer
      - .offset:         56
        .size:           4
        .value_kind:     by_value
      - .actual_access:  write_only
        .address_space:  global
        .offset:         64
        .size:           8
        .value_kind:     global_buffer
      - .actual_access:  read_only
        .address_space:  global
        .offset:         72
        .size:           8
        .value_kind:     global_buffer
      - .actual_access:  write_only
        .address_space:  global
        .offset:         80
        .size:           8
        .value_kind:     global_buffer
    .group_segment_fixed_size: 4160
    .kernarg_segment_align: 8
    .kernarg_segment_size: 88
    .language:       OpenCL C
    .language_version:
      - 2
      - 0
    .max_flat_workgroup_size: 256
    .name:           _ZN9rocsparseL44csr2gebsr_wavefront_per_row_multipass_kernelILi256ELi2ELi2ELi4E21rocsparse_complex_numIdEEEv20rocsparse_direction_iiiiii21rocsparse_index_base_PKT3_PKiS9_S4_PS5_PiSB_
    .private_segment_fixed_size: 0
    .sgpr_count:     24
    .sgpr_spill_count: 0
    .symbol:         _ZN9rocsparseL44csr2gebsr_wavefront_per_row_multipass_kernelILi256ELi2ELi2ELi4E21rocsparse_complex_numIdEEEv20rocsparse_direction_iiiiii21rocsparse_index_base_PKT3_PKiS9_S4_PS5_PiSB_.kd
    .uniform_work_group_size: 1
    .uses_dynamic_stack: false
    .vgpr_count:     34
    .vgpr_spill_count: 0
    .wavefront_size: 32
  - .args:
      - .offset:         0
        .size:           4
        .value_kind:     by_value
      - .offset:         4
        .size:           4
        .value_kind:     by_value
      - .offset:         8
        .size:           4
        .value_kind:     by_value
      - .offset:         12
        .size:           4
        .value_kind:     by_value
      - .offset:         16
        .size:           4
        .value_kind:     by_value
      - .offset:         20
        .size:           4
        .value_kind:     by_value
      - .offset:         24
        .size:           4
        .value_kind:     by_value
      - .offset:         28
        .size:           4
        .value_kind:     by_value
      - .actual_access:  read_only
        .address_space:  global
        .offset:         32
        .size:           8
        .value_kind:     global_buffer
      - .actual_access:  read_only
        .address_space:  global
        .offset:         40
        .size:           8
        .value_kind:     global_buffer
      - .actual_access:  read_only
        .address_space:  global
        .offset:         48
        .size:           8
        .value_kind:     global_buffer
      - .offset:         56
        .size:           4
        .value_kind:     by_value
      - .actual_access:  write_only
        .address_space:  global
        .offset:         64
        .size:           8
        .value_kind:     global_buffer
      - .actual_access:  read_only
        .address_space:  global
        .offset:         72
        .size:           8
        .value_kind:     global_buffer
      - .actual_access:  write_only
        .address_space:  global
        .offset:         80
        .size:           8
        .value_kind:     global_buffer
    .group_segment_fixed_size: 4128
    .kernarg_segment_align: 8
    .kernarg_segment_size: 88
    .language:       OpenCL C
    .language_version:
      - 2
      - 0
    .max_flat_workgroup_size: 256
    .name:           _ZN9rocsparseL44csr2gebsr_wavefront_per_row_multipass_kernelILi256ELi2ELi4ELi8E21rocsparse_complex_numIdEEEv20rocsparse_direction_iiiiii21rocsparse_index_base_PKT3_PKiS9_S4_PS5_PiSB_
    .private_segment_fixed_size: 0
    .sgpr_count:     24
    .sgpr_spill_count: 0
    .symbol:         _ZN9rocsparseL44csr2gebsr_wavefront_per_row_multipass_kernelILi256ELi2ELi4ELi8E21rocsparse_complex_numIdEEEv20rocsparse_direction_iiiiii21rocsparse_index_base_PKT3_PKiS9_S4_PS5_PiSB_.kd
    .uniform_work_group_size: 1
    .uses_dynamic_stack: false
    .vgpr_count:     36
    .vgpr_spill_count: 0
    .wavefront_size: 32
  - .args:
      - .offset:         0
        .size:           4
        .value_kind:     by_value
      - .offset:         4
        .size:           4
        .value_kind:     by_value
      - .offset:         8
        .size:           4
        .value_kind:     by_value
      - .offset:         12
        .size:           4
        .value_kind:     by_value
      - .offset:         16
        .size:           4
        .value_kind:     by_value
      - .offset:         20
        .size:           4
        .value_kind:     by_value
      - .offset:         24
        .size:           4
        .value_kind:     by_value
      - .offset:         28
        .size:           4
        .value_kind:     by_value
      - .actual_access:  read_only
        .address_space:  global
        .offset:         32
        .size:           8
        .value_kind:     global_buffer
      - .actual_access:  read_only
        .address_space:  global
        .offset:         40
        .size:           8
        .value_kind:     global_buffer
      - .actual_access:  read_only
        .address_space:  global
        .offset:         48
        .size:           8
        .value_kind:     global_buffer
      - .offset:         56
        .size:           4
        .value_kind:     by_value
      - .actual_access:  write_only
        .address_space:  global
        .offset:         64
        .size:           8
        .value_kind:     global_buffer
      - .actual_access:  read_only
        .address_space:  global
        .offset:         72
        .size:           8
        .value_kind:     global_buffer
      - .actual_access:  write_only
        .address_space:  global
        .offset:         80
        .size:           8
        .value_kind:     global_buffer
    .group_segment_fixed_size: 4112
    .kernarg_segment_align: 8
    .kernarg_segment_size: 88
    .language:       OpenCL C
    .language_version:
      - 2
      - 0
    .max_flat_workgroup_size: 256
    .name:           _ZN9rocsparseL44csr2gebsr_wavefront_per_row_multipass_kernelILi256ELi2ELi8ELi16E21rocsparse_complex_numIdEEEv20rocsparse_direction_iiiiii21rocsparse_index_base_PKT3_PKiS9_S4_PS5_PiSB_
    .private_segment_fixed_size: 0
    .sgpr_count:     24
    .sgpr_spill_count: 0
    .symbol:         _ZN9rocsparseL44csr2gebsr_wavefront_per_row_multipass_kernelILi256ELi2ELi8ELi16E21rocsparse_complex_numIdEEEv20rocsparse_direction_iiiiii21rocsparse_index_base_PKT3_PKiS9_S4_PS5_PiSB_.kd
    .uniform_work_group_size: 1
    .uses_dynamic_stack: false
    .vgpr_count:     36
    .vgpr_spill_count: 0
    .wavefront_size: 32
  - .args:
      - .offset:         0
        .size:           4
        .value_kind:     by_value
      - .offset:         4
        .size:           4
        .value_kind:     by_value
      - .offset:         8
        .size:           4
        .value_kind:     by_value
      - .offset:         12
        .size:           4
        .value_kind:     by_value
      - .offset:         16
        .size:           4
        .value_kind:     by_value
      - .offset:         20
        .size:           4
        .value_kind:     by_value
      - .offset:         24
        .size:           4
        .value_kind:     by_value
      - .offset:         28
        .size:           4
        .value_kind:     by_value
      - .actual_access:  read_only
        .address_space:  global
        .offset:         32
        .size:           8
        .value_kind:     global_buffer
      - .actual_access:  read_only
        .address_space:  global
        .offset:         40
        .size:           8
        .value_kind:     global_buffer
      - .actual_access:  read_only
        .address_space:  global
        .offset:         48
        .size:           8
        .value_kind:     global_buffer
      - .offset:         56
        .size:           4
        .value_kind:     by_value
      - .actual_access:  write_only
        .address_space:  global
        .offset:         64
        .size:           8
        .value_kind:     global_buffer
      - .actual_access:  read_only
        .address_space:  global
        .offset:         72
        .size:           8
        .value_kind:     global_buffer
      - .actual_access:  write_only
        .address_space:  global
        .offset:         80
        .size:           8
        .value_kind:     global_buffer
    .group_segment_fixed_size: 4104
    .kernarg_segment_align: 8
    .kernarg_segment_size: 88
    .language:       OpenCL C
    .language_version:
      - 2
      - 0
    .max_flat_workgroup_size: 256
    .name:           _ZN9rocsparseL44csr2gebsr_wavefront_per_row_multipass_kernelILi256ELi2ELi16ELi32E21rocsparse_complex_numIdEEEv20rocsparse_direction_iiiiii21rocsparse_index_base_PKT3_PKiS9_S4_PS5_PiSB_
    .private_segment_fixed_size: 0
    .sgpr_count:     24
    .sgpr_spill_count: 0
    .symbol:         _ZN9rocsparseL44csr2gebsr_wavefront_per_row_multipass_kernelILi256ELi2ELi16ELi32E21rocsparse_complex_numIdEEEv20rocsparse_direction_iiiiii21rocsparse_index_base_PKT3_PKiS9_S4_PS5_PiSB_.kd
    .uniform_work_group_size: 1
    .uses_dynamic_stack: false
    .vgpr_count:     38
    .vgpr_spill_count: 0
    .wavefront_size: 32
  - .args:
      - .offset:         0
        .size:           4
        .value_kind:     by_value
      - .offset:         4
        .size:           4
        .value_kind:     by_value
      - .offset:         8
        .size:           4
        .value_kind:     by_value
      - .offset:         12
        .size:           4
        .value_kind:     by_value
      - .offset:         16
        .size:           4
        .value_kind:     by_value
      - .offset:         20
        .size:           4
        .value_kind:     by_value
      - .offset:         24
        .size:           4
        .value_kind:     by_value
      - .offset:         28
        .size:           4
        .value_kind:     by_value
      - .actual_access:  read_only
        .address_space:  global
        .offset:         32
        .size:           8
        .value_kind:     global_buffer
      - .actual_access:  read_only
        .address_space:  global
        .offset:         40
        .size:           8
        .value_kind:     global_buffer
      - .actual_access:  read_only
        .address_space:  global
        .offset:         48
        .size:           8
        .value_kind:     global_buffer
      - .offset:         56
        .size:           4
        .value_kind:     by_value
      - .actual_access:  write_only
        .address_space:  global
        .offset:         64
        .size:           8
        .value_kind:     global_buffer
      - .actual_access:  read_only
        .address_space:  global
        .offset:         72
        .size:           8
        .value_kind:     global_buffer
      - .actual_access:  write_only
        .address_space:  global
        .offset:         80
        .size:           8
        .value_kind:     global_buffer
    .group_segment_fixed_size: 4104
    .kernarg_segment_align: 8
    .kernarg_segment_size: 88
    .language:       OpenCL C
    .language_version:
      - 2
      - 0
    .max_flat_workgroup_size: 256
    .name:           _ZN9rocsparseL44csr2gebsr_wavefront_per_row_multipass_kernelILi256ELi2ELi32ELi64E21rocsparse_complex_numIdEEEv20rocsparse_direction_iiiiii21rocsparse_index_base_PKT3_PKiS9_S4_PS5_PiSB_
    .private_segment_fixed_size: 0
    .sgpr_count:     24
    .sgpr_spill_count: 0
    .symbol:         _ZN9rocsparseL44csr2gebsr_wavefront_per_row_multipass_kernelILi256ELi2ELi32ELi64E21rocsparse_complex_numIdEEEv20rocsparse_direction_iiiiii21rocsparse_index_base_PKT3_PKiS9_S4_PS5_PiSB_.kd
    .uniform_work_group_size: 1
    .uses_dynamic_stack: false
    .vgpr_count:     38
    .vgpr_spill_count: 0
    .wavefront_size: 32
  - .args:
      - .offset:         0
        .size:           4
        .value_kind:     by_value
      - .offset:         4
        .size:           4
        .value_kind:     by_value
      - .offset:         8
        .size:           4
        .value_kind:     by_value
      - .offset:         12
        .size:           4
        .value_kind:     by_value
      - .offset:         16
        .size:           4
        .value_kind:     by_value
      - .offset:         20
        .size:           4
        .value_kind:     by_value
      - .offset:         24
        .size:           4
        .value_kind:     by_value
      - .offset:         28
        .size:           4
        .value_kind:     by_value
      - .actual_access:  read_only
        .address_space:  global
        .offset:         32
        .size:           8
        .value_kind:     global_buffer
      - .actual_access:  read_only
        .address_space:  global
        .offset:         40
        .size:           8
        .value_kind:     global_buffer
      - .actual_access:  read_only
        .address_space:  global
        .offset:         48
        .size:           8
        .value_kind:     global_buffer
      - .offset:         56
        .size:           4
        .value_kind:     by_value
      - .actual_access:  write_only
        .address_space:  global
        .offset:         64
        .size:           8
        .value_kind:     global_buffer
      - .actual_access:  read_only
        .address_space:  global
        .offset:         72
        .size:           8
        .value_kind:     global_buffer
      - .actual_access:  write_only
        .address_space:  global
        .offset:         80
        .size:           8
        .value_kind:     global_buffer
    .group_segment_fixed_size: 8200
    .kernarg_segment_align: 8
    .kernarg_segment_size: 88
    .language:       OpenCL C
    .language_version:
      - 2
      - 0
    .max_flat_workgroup_size: 256
    .name:           _ZN9rocsparseL44csr2gebsr_wavefront_per_row_multipass_kernelILi256ELi2ELi32ELi32E21rocsparse_complex_numIdEEEv20rocsparse_direction_iiiiii21rocsparse_index_base_PKT3_PKiS9_S4_PS5_PiSB_
    .private_segment_fixed_size: 0
    .sgpr_count:     27
    .sgpr_spill_count: 0
    .symbol:         _ZN9rocsparseL44csr2gebsr_wavefront_per_row_multipass_kernelILi256ELi2ELi32ELi32E21rocsparse_complex_numIdEEEv20rocsparse_direction_iiiiii21rocsparse_index_base_PKT3_PKiS9_S4_PS5_PiSB_.kd
    .uniform_work_group_size: 1
    .uses_dynamic_stack: false
    .vgpr_count:     44
    .vgpr_spill_count: 0
    .wavefront_size: 32
  - .args:
      - .offset:         0
        .size:           4
        .value_kind:     by_value
      - .offset:         4
        .size:           4
        .value_kind:     by_value
      - .offset:         8
        .size:           4
        .value_kind:     by_value
      - .offset:         12
        .size:           4
        .value_kind:     by_value
      - .offset:         16
        .size:           4
        .value_kind:     by_value
      - .offset:         20
        .size:           4
        .value_kind:     by_value
      - .offset:         24
        .size:           4
        .value_kind:     by_value
      - .offset:         28
        .size:           4
        .value_kind:     by_value
      - .actual_access:  read_only
        .address_space:  global
        .offset:         32
        .size:           8
        .value_kind:     global_buffer
      - .actual_access:  read_only
        .address_space:  global
        .offset:         40
        .size:           8
        .value_kind:     global_buffer
      - .actual_access:  read_only
        .address_space:  global
        .offset:         48
        .size:           8
        .value_kind:     global_buffer
      - .offset:         56
        .size:           4
        .value_kind:     by_value
      - .actual_access:  write_only
        .address_space:  global
        .offset:         64
        .size:           8
        .value_kind:     global_buffer
      - .actual_access:  read_only
        .address_space:  global
        .offset:         72
        .size:           8
        .value_kind:     global_buffer
      - .actual_access:  write_only
        .address_space:  global
        .offset:         80
        .size:           8
        .value_kind:     global_buffer
    .group_segment_fixed_size: 8200
    .kernarg_segment_align: 8
    .kernarg_segment_size: 88
    .language:       OpenCL C
    .language_version:
      - 2
      - 0
    .max_flat_workgroup_size: 256
    .name:           _ZN9rocsparseL44csr2gebsr_wavefront_per_row_multipass_kernelILi256ELi2ELi64ELi64E21rocsparse_complex_numIdEEEv20rocsparse_direction_iiiiii21rocsparse_index_base_PKT3_PKiS9_S4_PS5_PiSB_
    .private_segment_fixed_size: 0
    .sgpr_count:     27
    .sgpr_spill_count: 0
    .symbol:         _ZN9rocsparseL44csr2gebsr_wavefront_per_row_multipass_kernelILi256ELi2ELi64ELi64E21rocsparse_complex_numIdEEEv20rocsparse_direction_iiiiii21rocsparse_index_base_PKT3_PKiS9_S4_PS5_PiSB_.kd
    .uniform_work_group_size: 1
    .uses_dynamic_stack: false
    .vgpr_count:     46
    .vgpr_spill_count: 0
    .wavefront_size: 32
  - .args:
      - .offset:         0
        .size:           4
        .value_kind:     by_value
      - .offset:         4
        .size:           4
        .value_kind:     by_value
      - .offset:         8
        .size:           4
        .value_kind:     by_value
      - .offset:         12
        .size:           4
        .value_kind:     by_value
      - .offset:         16
        .size:           4
        .value_kind:     by_value
      - .offset:         20
        .size:           4
        .value_kind:     by_value
      - .offset:         24
        .size:           4
        .value_kind:     by_value
      - .offset:         28
        .size:           4
        .value_kind:     by_value
      - .actual_access:  read_only
        .address_space:  global
        .offset:         32
        .size:           8
        .value_kind:     global_buffer
      - .actual_access:  read_only
        .address_space:  global
        .offset:         40
        .size:           8
        .value_kind:     global_buffer
      - .actual_access:  read_only
        .address_space:  global
        .offset:         48
        .size:           8
        .value_kind:     global_buffer
      - .offset:         56
        .size:           4
        .value_kind:     by_value
      - .actual_access:  write_only
        .address_space:  global
        .offset:         64
        .size:           8
        .value_kind:     global_buffer
      - .actual_access:  read_only
        .address_space:  global
        .offset:         72
        .size:           8
        .value_kind:     global_buffer
      - .actual_access:  write_only
        .address_space:  global
        .offset:         80
        .size:           8
        .value_kind:     global_buffer
    .group_segment_fixed_size: 16392
    .kernarg_segment_align: 8
    .kernarg_segment_size: 88
    .language:       OpenCL C
    .language_version:
      - 2
      - 0
    .max_flat_workgroup_size: 256
    .name:           _ZN9rocsparseL44csr2gebsr_wavefront_per_row_multipass_kernelILi256ELi2ELi64ELi32E21rocsparse_complex_numIdEEEv20rocsparse_direction_iiiiii21rocsparse_index_base_PKT3_PKiS9_S4_PS5_PiSB_
    .private_segment_fixed_size: 0
    .sgpr_count:     29
    .sgpr_spill_count: 0
    .symbol:         _ZN9rocsparseL44csr2gebsr_wavefront_per_row_multipass_kernelILi256ELi2ELi64ELi32E21rocsparse_complex_numIdEEEv20rocsparse_direction_iiiiii21rocsparse_index_base_PKT3_PKiS9_S4_PS5_PiSB_.kd
    .uniform_work_group_size: 1
    .uses_dynamic_stack: false
    .vgpr_count:     50
    .vgpr_spill_count: 0
    .wavefront_size: 32
  - .args:
      - .offset:         0
        .size:           4
        .value_kind:     by_value
      - .offset:         4
        .size:           4
        .value_kind:     by_value
      - .offset:         8
        .size:           4
        .value_kind:     by_value
      - .offset:         12
        .size:           4
        .value_kind:     by_value
      - .offset:         16
        .size:           4
        .value_kind:     by_value
      - .offset:         20
        .size:           4
        .value_kind:     by_value
      - .offset:         24
        .size:           4
        .value_kind:     by_value
      - .offset:         28
        .size:           4
        .value_kind:     by_value
      - .actual_access:  read_only
        .address_space:  global
        .offset:         32
        .size:           8
        .value_kind:     global_buffer
      - .actual_access:  read_only
        .address_space:  global
        .offset:         40
        .size:           8
        .value_kind:     global_buffer
      - .actual_access:  read_only
        .address_space:  global
        .offset:         48
        .size:           8
        .value_kind:     global_buffer
      - .offset:         56
        .size:           4
        .value_kind:     by_value
      - .actual_access:  write_only
        .address_space:  global
        .offset:         64
        .size:           8
        .value_kind:     global_buffer
      - .actual_access:  read_only
        .address_space:  global
        .offset:         72
        .size:           8
        .value_kind:     global_buffer
      - .actual_access:  write_only
        .address_space:  global
        .offset:         80
        .size:           8
        .value_kind:     global_buffer
    .group_segment_fixed_size: 4128
    .kernarg_segment_align: 8
    .kernarg_segment_size: 88
    .language:       OpenCL C
    .language_version:
      - 2
      - 0
    .max_flat_workgroup_size: 256
    .name:           _ZN9rocsparseL44csr2gebsr_wavefront_per_row_multipass_kernelILi256ELi4ELi2ELi8E21rocsparse_complex_numIdEEEv20rocsparse_direction_iiiiii21rocsparse_index_base_PKT3_PKiS9_S4_PS5_PiSB_
    .private_segment_fixed_size: 0
    .sgpr_count:     24
    .sgpr_spill_count: 0
    .symbol:         _ZN9rocsparseL44csr2gebsr_wavefront_per_row_multipass_kernelILi256ELi4ELi2ELi8E21rocsparse_complex_numIdEEEv20rocsparse_direction_iiiiii21rocsparse_index_base_PKT3_PKiS9_S4_PS5_PiSB_.kd
    .uniform_work_group_size: 1
    .uses_dynamic_stack: false
    .vgpr_count:     36
    .vgpr_spill_count: 0
    .wavefront_size: 32
  - .args:
      - .offset:         0
        .size:           4
        .value_kind:     by_value
      - .offset:         4
        .size:           4
        .value_kind:     by_value
      - .offset:         8
        .size:           4
        .value_kind:     by_value
      - .offset:         12
        .size:           4
        .value_kind:     by_value
      - .offset:         16
        .size:           4
        .value_kind:     by_value
      - .offset:         20
        .size:           4
        .value_kind:     by_value
      - .offset:         24
        .size:           4
        .value_kind:     by_value
      - .offset:         28
        .size:           4
        .value_kind:     by_value
      - .actual_access:  read_only
        .address_space:  global
        .offset:         32
        .size:           8
        .value_kind:     global_buffer
      - .actual_access:  read_only
        .address_space:  global
        .offset:         40
        .size:           8
        .value_kind:     global_buffer
      - .actual_access:  read_only
        .address_space:  global
        .offset:         48
        .size:           8
        .value_kind:     global_buffer
      - .offset:         56
        .size:           4
        .value_kind:     by_value
      - .actual_access:  write_only
        .address_space:  global
        .offset:         64
        .size:           8
        .value_kind:     global_buffer
      - .actual_access:  read_only
        .address_space:  global
        .offset:         72
        .size:           8
        .value_kind:     global_buffer
      - .actual_access:  write_only
        .address_space:  global
        .offset:         80
        .size:           8
        .value_kind:     global_buffer
    .group_segment_fixed_size: 4112
    .kernarg_segment_align: 8
    .kernarg_segment_size: 88
    .language:       OpenCL C
    .language_version:
      - 2
      - 0
    .max_flat_workgroup_size: 256
    .name:           _ZN9rocsparseL44csr2gebsr_wavefront_per_row_multipass_kernelILi256ELi4ELi4ELi16E21rocsparse_complex_numIdEEEv20rocsparse_direction_iiiiii21rocsparse_index_base_PKT3_PKiS9_S4_PS5_PiSB_
    .private_segment_fixed_size: 0
    .sgpr_count:     24
    .sgpr_spill_count: 0
    .symbol:         _ZN9rocsparseL44csr2gebsr_wavefront_per_row_multipass_kernelILi256ELi4ELi4ELi16E21rocsparse_complex_numIdEEEv20rocsparse_direction_iiiiii21rocsparse_index_base_PKT3_PKiS9_S4_PS5_PiSB_.kd
    .uniform_work_group_size: 1
    .uses_dynamic_stack: false
    .vgpr_count:     36
    .vgpr_spill_count: 0
    .wavefront_size: 32
  - .args:
      - .offset:         0
        .size:           4
        .value_kind:     by_value
      - .offset:         4
        .size:           4
        .value_kind:     by_value
      - .offset:         8
        .size:           4
        .value_kind:     by_value
      - .offset:         12
        .size:           4
        .value_kind:     by_value
      - .offset:         16
        .size:           4
        .value_kind:     by_value
      - .offset:         20
        .size:           4
        .value_kind:     by_value
      - .offset:         24
        .size:           4
        .value_kind:     by_value
      - .offset:         28
        .size:           4
        .value_kind:     by_value
      - .actual_access:  read_only
        .address_space:  global
        .offset:         32
        .size:           8
        .value_kind:     global_buffer
      - .actual_access:  read_only
        .address_space:  global
        .offset:         40
        .size:           8
        .value_kind:     global_buffer
      - .actual_access:  read_only
        .address_space:  global
        .offset:         48
        .size:           8
        .value_kind:     global_buffer
      - .offset:         56
        .size:           4
        .value_kind:     by_value
      - .actual_access:  write_only
        .address_space:  global
        .offset:         64
        .size:           8
        .value_kind:     global_buffer
      - .actual_access:  read_only
        .address_space:  global
        .offset:         72
        .size:           8
        .value_kind:     global_buffer
      - .actual_access:  write_only
        .address_space:  global
        .offset:         80
        .size:           8
        .value_kind:     global_buffer
    .group_segment_fixed_size: 4104
    .kernarg_segment_align: 8
    .kernarg_segment_size: 88
    .language:       OpenCL C
    .language_version:
      - 2
      - 0
    .max_flat_workgroup_size: 256
    .name:           _ZN9rocsparseL44csr2gebsr_wavefront_per_row_multipass_kernelILi256ELi4ELi8ELi32E21rocsparse_complex_numIdEEEv20rocsparse_direction_iiiiii21rocsparse_index_base_PKT3_PKiS9_S4_PS5_PiSB_
    .private_segment_fixed_size: 0
    .sgpr_count:     24
    .sgpr_spill_count: 0
    .symbol:         _ZN9rocsparseL44csr2gebsr_wavefront_per_row_multipass_kernelILi256ELi4ELi8ELi32E21rocsparse_complex_numIdEEEv20rocsparse_direction_iiiiii21rocsparse_index_base_PKT3_PKiS9_S4_PS5_PiSB_.kd
    .uniform_work_group_size: 1
    .uses_dynamic_stack: false
    .vgpr_count:     38
    .vgpr_spill_count: 0
    .wavefront_size: 32
  - .args:
      - .offset:         0
        .size:           4
        .value_kind:     by_value
      - .offset:         4
        .size:           4
        .value_kind:     by_value
      - .offset:         8
        .size:           4
        .value_kind:     by_value
      - .offset:         12
        .size:           4
        .value_kind:     by_value
      - .offset:         16
        .size:           4
        .value_kind:     by_value
      - .offset:         20
        .size:           4
        .value_kind:     by_value
      - .offset:         24
        .size:           4
        .value_kind:     by_value
      - .offset:         28
        .size:           4
        .value_kind:     by_value
      - .actual_access:  read_only
        .address_space:  global
        .offset:         32
        .size:           8
        .value_kind:     global_buffer
      - .actual_access:  read_only
        .address_space:  global
        .offset:         40
        .size:           8
        .value_kind:     global_buffer
      - .actual_access:  read_only
        .address_space:  global
        .offset:         48
        .size:           8
        .value_kind:     global_buffer
      - .offset:         56
        .size:           4
        .value_kind:     by_value
      - .actual_access:  write_only
        .address_space:  global
        .offset:         64
        .size:           8
        .value_kind:     global_buffer
      - .actual_access:  read_only
        .address_space:  global
        .offset:         72
        .size:           8
        .value_kind:     global_buffer
      - .actual_access:  write_only
        .address_space:  global
        .offset:         80
        .size:           8
        .value_kind:     global_buffer
    .group_segment_fixed_size: 4104
    .kernarg_segment_align: 8
    .kernarg_segment_size: 88
    .language:       OpenCL C
    .language_version:
      - 2
      - 0
    .max_flat_workgroup_size: 256
    .name:           _ZN9rocsparseL44csr2gebsr_wavefront_per_row_multipass_kernelILi256ELi4ELi16ELi64E21rocsparse_complex_numIdEEEv20rocsparse_direction_iiiiii21rocsparse_index_base_PKT3_PKiS9_S4_PS5_PiSB_
    .private_segment_fixed_size: 0
    .sgpr_count:     24
    .sgpr_spill_count: 0
    .symbol:         _ZN9rocsparseL44csr2gebsr_wavefront_per_row_multipass_kernelILi256ELi4ELi16ELi64E21rocsparse_complex_numIdEEEv20rocsparse_direction_iiiiii21rocsparse_index_base_PKT3_PKiS9_S4_PS5_PiSB_.kd
    .uniform_work_group_size: 1
    .uses_dynamic_stack: false
    .vgpr_count:     38
    .vgpr_spill_count: 0
    .wavefront_size: 32
  - .args:
      - .offset:         0
        .size:           4
        .value_kind:     by_value
      - .offset:         4
        .size:           4
        .value_kind:     by_value
      - .offset:         8
        .size:           4
        .value_kind:     by_value
      - .offset:         12
        .size:           4
        .value_kind:     by_value
      - .offset:         16
        .size:           4
        .value_kind:     by_value
      - .offset:         20
        .size:           4
        .value_kind:     by_value
      - .offset:         24
        .size:           4
        .value_kind:     by_value
      - .offset:         28
        .size:           4
        .value_kind:     by_value
      - .actual_access:  read_only
        .address_space:  global
        .offset:         32
        .size:           8
        .value_kind:     global_buffer
      - .actual_access:  read_only
        .address_space:  global
        .offset:         40
        .size:           8
        .value_kind:     global_buffer
      - .actual_access:  read_only
        .address_space:  global
        .offset:         48
        .size:           8
        .value_kind:     global_buffer
      - .offset:         56
        .size:           4
        .value_kind:     by_value
      - .actual_access:  write_only
        .address_space:  global
        .offset:         64
        .size:           8
        .value_kind:     global_buffer
      - .actual_access:  read_only
        .address_space:  global
        .offset:         72
        .size:           8
        .value_kind:     global_buffer
      - .actual_access:  write_only
        .address_space:  global
        .offset:         80
        .size:           8
        .value_kind:     global_buffer
    .group_segment_fixed_size: 8200
    .kernarg_segment_align: 8
    .kernarg_segment_size: 88
    .language:       OpenCL C
    .language_version:
      - 2
      - 0
    .max_flat_workgroup_size: 256
    .name:           _ZN9rocsparseL44csr2gebsr_wavefront_per_row_multipass_kernelILi256ELi4ELi16ELi32E21rocsparse_complex_numIdEEEv20rocsparse_direction_iiiiii21rocsparse_index_base_PKT3_PKiS9_S4_PS5_PiSB_
    .private_segment_fixed_size: 0
    .sgpr_count:     27
    .sgpr_spill_count: 0
    .symbol:         _ZN9rocsparseL44csr2gebsr_wavefront_per_row_multipass_kernelILi256ELi4ELi16ELi32E21rocsparse_complex_numIdEEEv20rocsparse_direction_iiiiii21rocsparse_index_base_PKT3_PKiS9_S4_PS5_PiSB_.kd
    .uniform_work_group_size: 1
    .uses_dynamic_stack: false
    .vgpr_count:     44
    .vgpr_spill_count: 0
    .wavefront_size: 32
  - .args:
      - .offset:         0
        .size:           4
        .value_kind:     by_value
      - .offset:         4
        .size:           4
        .value_kind:     by_value
      - .offset:         8
        .size:           4
        .value_kind:     by_value
      - .offset:         12
        .size:           4
        .value_kind:     by_value
      - .offset:         16
        .size:           4
        .value_kind:     by_value
      - .offset:         20
        .size:           4
        .value_kind:     by_value
      - .offset:         24
        .size:           4
        .value_kind:     by_value
      - .offset:         28
        .size:           4
        .value_kind:     by_value
      - .actual_access:  read_only
        .address_space:  global
        .offset:         32
        .size:           8
        .value_kind:     global_buffer
      - .actual_access:  read_only
        .address_space:  global
        .offset:         40
        .size:           8
        .value_kind:     global_buffer
      - .actual_access:  read_only
        .address_space:  global
        .offset:         48
        .size:           8
        .value_kind:     global_buffer
      - .offset:         56
        .size:           4
        .value_kind:     by_value
      - .actual_access:  write_only
        .address_space:  global
        .offset:         64
        .size:           8
        .value_kind:     global_buffer
      - .actual_access:  read_only
        .address_space:  global
        .offset:         72
        .size:           8
        .value_kind:     global_buffer
      - .actual_access:  write_only
        .address_space:  global
        .offset:         80
        .size:           8
        .value_kind:     global_buffer
    .group_segment_fixed_size: 8200
    .kernarg_segment_align: 8
    .kernarg_segment_size: 88
    .language:       OpenCL C
    .language_version:
      - 2
      - 0
    .max_flat_workgroup_size: 256
    .name:           _ZN9rocsparseL44csr2gebsr_wavefront_per_row_multipass_kernelILi256ELi4ELi32ELi64E21rocsparse_complex_numIdEEEv20rocsparse_direction_iiiiii21rocsparse_index_base_PKT3_PKiS9_S4_PS5_PiSB_
    .private_segment_fixed_size: 0
    .sgpr_count:     27
    .sgpr_spill_count: 0
    .symbol:         _ZN9rocsparseL44csr2gebsr_wavefront_per_row_multipass_kernelILi256ELi4ELi32ELi64E21rocsparse_complex_numIdEEEv20rocsparse_direction_iiiiii21rocsparse_index_base_PKT3_PKiS9_S4_PS5_PiSB_.kd
    .uniform_work_group_size: 1
    .uses_dynamic_stack: false
    .vgpr_count:     46
    .vgpr_spill_count: 0
    .wavefront_size: 32
  - .args:
      - .offset:         0
        .size:           4
        .value_kind:     by_value
      - .offset:         4
        .size:           4
        .value_kind:     by_value
      - .offset:         8
        .size:           4
        .value_kind:     by_value
      - .offset:         12
        .size:           4
        .value_kind:     by_value
      - .offset:         16
        .size:           4
        .value_kind:     by_value
      - .offset:         20
        .size:           4
        .value_kind:     by_value
      - .offset:         24
        .size:           4
        .value_kind:     by_value
      - .offset:         28
        .size:           4
        .value_kind:     by_value
      - .actual_access:  read_only
        .address_space:  global
        .offset:         32
        .size:           8
        .value_kind:     global_buffer
      - .actual_access:  read_only
        .address_space:  global
        .offset:         40
        .size:           8
        .value_kind:     global_buffer
      - .actual_access:  read_only
        .address_space:  global
        .offset:         48
        .size:           8
        .value_kind:     global_buffer
      - .offset:         56
        .size:           4
        .value_kind:     by_value
      - .actual_access:  write_only
        .address_space:  global
        .offset:         64
        .size:           8
        .value_kind:     global_buffer
      - .actual_access:  read_only
        .address_space:  global
        .offset:         72
        .size:           8
        .value_kind:     global_buffer
      - .actual_access:  write_only
        .address_space:  global
        .offset:         80
        .size:           8
        .value_kind:     global_buffer
    .group_segment_fixed_size: 16392
    .kernarg_segment_align: 8
    .kernarg_segment_size: 88
    .language:       OpenCL C
    .language_version:
      - 2
      - 0
    .max_flat_workgroup_size: 256
    .name:           _ZN9rocsparseL44csr2gebsr_wavefront_per_row_multipass_kernelILi256ELi4ELi32ELi32E21rocsparse_complex_numIdEEEv20rocsparse_direction_iiiiii21rocsparse_index_base_PKT3_PKiS9_S4_PS5_PiSB_
    .private_segment_fixed_size: 0
    .sgpr_count:     29
    .sgpr_spill_count: 0
    .symbol:         _ZN9rocsparseL44csr2gebsr_wavefront_per_row_multipass_kernelILi256ELi4ELi32ELi32E21rocsparse_complex_numIdEEEv20rocsparse_direction_iiiiii21rocsparse_index_base_PKT3_PKiS9_S4_PS5_PiSB_.kd
    .uniform_work_group_size: 1
    .uses_dynamic_stack: false
    .vgpr_count:     50
    .vgpr_spill_count: 0
    .wavefront_size: 32
  - .args:
      - .offset:         0
        .size:           4
        .value_kind:     by_value
      - .offset:         4
        .size:           4
        .value_kind:     by_value
      - .offset:         8
        .size:           4
        .value_kind:     by_value
      - .offset:         12
        .size:           4
        .value_kind:     by_value
      - .offset:         16
        .size:           4
        .value_kind:     by_value
      - .offset:         20
        .size:           4
        .value_kind:     by_value
      - .offset:         24
        .size:           4
        .value_kind:     by_value
      - .offset:         28
        .size:           4
        .value_kind:     by_value
      - .actual_access:  read_only
        .address_space:  global
        .offset:         32
        .size:           8
        .value_kind:     global_buffer
      - .actual_access:  read_only
        .address_space:  global
        .offset:         40
        .size:           8
        .value_kind:     global_buffer
      - .actual_access:  read_only
        .address_space:  global
        .offset:         48
        .size:           8
        .value_kind:     global_buffer
      - .offset:         56
        .size:           4
        .value_kind:     by_value
      - .actual_access:  write_only
        .address_space:  global
        .offset:         64
        .size:           8
        .value_kind:     global_buffer
      - .actual_access:  read_only
        .address_space:  global
        .offset:         72
        .size:           8
        .value_kind:     global_buffer
      - .actual_access:  write_only
        .address_space:  global
        .offset:         80
        .size:           8
        .value_kind:     global_buffer
    .group_segment_fixed_size: 16392
    .kernarg_segment_align: 8
    .kernarg_segment_size: 88
    .language:       OpenCL C
    .language_version:
      - 2
      - 0
    .max_flat_workgroup_size: 256
    .name:           _ZN9rocsparseL44csr2gebsr_wavefront_per_row_multipass_kernelILi256ELi4ELi64ELi64E21rocsparse_complex_numIdEEEv20rocsparse_direction_iiiiii21rocsparse_index_base_PKT3_PKiS9_S4_PS5_PiSB_
    .private_segment_fixed_size: 0
    .sgpr_count:     29
    .sgpr_spill_count: 0
    .symbol:         _ZN9rocsparseL44csr2gebsr_wavefront_per_row_multipass_kernelILi256ELi4ELi64ELi64E21rocsparse_complex_numIdEEEv20rocsparse_direction_iiiiii21rocsparse_index_base_PKT3_PKiS9_S4_PS5_PiSB_.kd
    .uniform_work_group_size: 1
    .uses_dynamic_stack: false
    .vgpr_count:     52
    .vgpr_spill_count: 0
    .wavefront_size: 32
  - .args:
      - .offset:         0
        .size:           4
        .value_kind:     by_value
      - .offset:         4
        .size:           4
        .value_kind:     by_value
      - .offset:         8
        .size:           4
        .value_kind:     by_value
      - .offset:         12
        .size:           4
        .value_kind:     by_value
      - .offset:         16
        .size:           4
        .value_kind:     by_value
      - .offset:         20
        .size:           4
        .value_kind:     by_value
      - .offset:         24
        .size:           4
        .value_kind:     by_value
      - .offset:         28
        .size:           4
        .value_kind:     by_value
      - .actual_access:  read_only
        .address_space:  global
        .offset:         32
        .size:           8
        .value_kind:     global_buffer
      - .actual_access:  read_only
        .address_space:  global
        .offset:         40
        .size:           8
        .value_kind:     global_buffer
      - .actual_access:  read_only
        .address_space:  global
        .offset:         48
        .size:           8
        .value_kind:     global_buffer
      - .offset:         56
        .size:           4
        .value_kind:     by_value
      - .actual_access:  write_only
        .address_space:  global
        .offset:         64
        .size:           8
        .value_kind:     global_buffer
      - .actual_access:  read_only
        .address_space:  global
        .offset:         72
        .size:           8
        .value_kind:     global_buffer
      - .actual_access:  write_only
        .address_space:  global
        .offset:         80
        .size:           8
        .value_kind:     global_buffer
    .group_segment_fixed_size: 32776
    .kernarg_segment_align: 8
    .kernarg_segment_size: 88
    .language:       OpenCL C
    .language_version:
      - 2
      - 0
    .max_flat_workgroup_size: 256
    .name:           _ZN9rocsparseL44csr2gebsr_wavefront_per_row_multipass_kernelILi256ELi4ELi64ELi32E21rocsparse_complex_numIdEEEv20rocsparse_direction_iiiiii21rocsparse_index_base_PKT3_PKiS9_S4_PS5_PiSB_
    .private_segment_fixed_size: 0
    .sgpr_count:     33
    .sgpr_spill_count: 0
    .symbol:         _ZN9rocsparseL44csr2gebsr_wavefront_per_row_multipass_kernelILi256ELi4ELi64ELi32E21rocsparse_complex_numIdEEEv20rocsparse_direction_iiiiii21rocsparse_index_base_PKT3_PKiS9_S4_PS5_PiSB_.kd
    .uniform_work_group_size: 1
    .uses_dynamic_stack: false
    .vgpr_count:     62
    .vgpr_spill_count: 0
    .wavefront_size: 32
  - .args:
      - .offset:         0
        .size:           4
        .value_kind:     by_value
      - .offset:         4
        .size:           4
        .value_kind:     by_value
      - .offset:         8
        .size:           4
        .value_kind:     by_value
      - .offset:         12
        .size:           4
        .value_kind:     by_value
      - .offset:         16
        .size:           4
        .value_kind:     by_value
      - .offset:         20
        .size:           4
        .value_kind:     by_value
      - .offset:         24
        .size:           4
        .value_kind:     by_value
      - .offset:         28
        .size:           4
        .value_kind:     by_value
      - .actual_access:  read_only
        .address_space:  global
        .offset:         32
        .size:           8
        .value_kind:     global_buffer
      - .actual_access:  read_only
        .address_space:  global
        .offset:         40
        .size:           8
        .value_kind:     global_buffer
      - .actual_access:  read_only
        .address_space:  global
        .offset:         48
        .size:           8
        .value_kind:     global_buffer
      - .offset:         56
        .size:           4
        .value_kind:     by_value
      - .actual_access:  write_only
        .address_space:  global
        .offset:         64
        .size:           8
        .value_kind:     global_buffer
      - .actual_access:  read_only
        .address_space:  global
        .offset:         72
        .size:           8
        .value_kind:     global_buffer
      - .actual_access:  write_only
        .address_space:  global
        .offset:         80
        .size:           8
        .value_kind:     global_buffer
    .group_segment_fixed_size: 4112
    .kernarg_segment_align: 8
    .kernarg_segment_size: 88
    .language:       OpenCL C
    .language_version:
      - 2
      - 0
    .max_flat_workgroup_size: 256
    .name:           _ZN9rocsparseL44csr2gebsr_wavefront_per_row_multipass_kernelILi256ELi8ELi2ELi16E21rocsparse_complex_numIdEEEv20rocsparse_direction_iiiiii21rocsparse_index_base_PKT3_PKiS9_S4_PS5_PiSB_
    .private_segment_fixed_size: 0
    .sgpr_count:     24
    .sgpr_spill_count: 0
    .symbol:         _ZN9rocsparseL44csr2gebsr_wavefront_per_row_multipass_kernelILi256ELi8ELi2ELi16E21rocsparse_complex_numIdEEEv20rocsparse_direction_iiiiii21rocsparse_index_base_PKT3_PKiS9_S4_PS5_PiSB_.kd
    .uniform_work_group_size: 1
    .uses_dynamic_stack: false
    .vgpr_count:     36
    .vgpr_spill_count: 0
    .wavefront_size: 32
  - .args:
      - .offset:         0
        .size:           4
        .value_kind:     by_value
      - .offset:         4
        .size:           4
        .value_kind:     by_value
      - .offset:         8
        .size:           4
        .value_kind:     by_value
      - .offset:         12
        .size:           4
        .value_kind:     by_value
      - .offset:         16
        .size:           4
        .value_kind:     by_value
      - .offset:         20
        .size:           4
        .value_kind:     by_value
      - .offset:         24
        .size:           4
        .value_kind:     by_value
      - .offset:         28
        .size:           4
        .value_kind:     by_value
      - .actual_access:  read_only
        .address_space:  global
        .offset:         32
        .size:           8
        .value_kind:     global_buffer
      - .actual_access:  read_only
        .address_space:  global
        .offset:         40
        .size:           8
        .value_kind:     global_buffer
      - .actual_access:  read_only
        .address_space:  global
        .offset:         48
        .size:           8
        .value_kind:     global_buffer
      - .offset:         56
        .size:           4
        .value_kind:     by_value
      - .actual_access:  write_only
        .address_space:  global
        .offset:         64
        .size:           8
        .value_kind:     global_buffer
      - .actual_access:  read_only
        .address_space:  global
        .offset:         72
        .size:           8
        .value_kind:     global_buffer
      - .actual_access:  write_only
        .address_space:  global
        .offset:         80
        .size:           8
        .value_kind:     global_buffer
    .group_segment_fixed_size: 4104
    .kernarg_segment_align: 8
    .kernarg_segment_size: 88
    .language:       OpenCL C
    .language_version:
      - 2
      - 0
    .max_flat_workgroup_size: 256
    .name:           _ZN9rocsparseL44csr2gebsr_wavefront_per_row_multipass_kernelILi256ELi8ELi4ELi32E21rocsparse_complex_numIdEEEv20rocsparse_direction_iiiiii21rocsparse_index_base_PKT3_PKiS9_S4_PS5_PiSB_
    .private_segment_fixed_size: 0
    .sgpr_count:     24
    .sgpr_spill_count: 0
    .symbol:         _ZN9rocsparseL44csr2gebsr_wavefront_per_row_multipass_kernelILi256ELi8ELi4ELi32E21rocsparse_complex_numIdEEEv20rocsparse_direction_iiiiii21rocsparse_index_base_PKT3_PKiS9_S4_PS5_PiSB_.kd
    .uniform_work_group_size: 1
    .uses_dynamic_stack: false
    .vgpr_count:     38
    .vgpr_spill_count: 0
    .wavefront_size: 32
  - .args:
      - .offset:         0
        .size:           4
        .value_kind:     by_value
      - .offset:         4
        .size:           4
        .value_kind:     by_value
      - .offset:         8
        .size:           4
        .value_kind:     by_value
      - .offset:         12
        .size:           4
        .value_kind:     by_value
      - .offset:         16
        .size:           4
        .value_kind:     by_value
      - .offset:         20
        .size:           4
        .value_kind:     by_value
      - .offset:         24
        .size:           4
        .value_kind:     by_value
      - .offset:         28
        .size:           4
        .value_kind:     by_value
      - .actual_access:  read_only
        .address_space:  global
        .offset:         32
        .size:           8
        .value_kind:     global_buffer
      - .actual_access:  read_only
        .address_space:  global
        .offset:         40
        .size:           8
        .value_kind:     global_buffer
      - .actual_access:  read_only
        .address_space:  global
        .offset:         48
        .size:           8
        .value_kind:     global_buffer
      - .offset:         56
        .size:           4
        .value_kind:     by_value
      - .actual_access:  write_only
        .address_space:  global
        .offset:         64
        .size:           8
        .value_kind:     global_buffer
      - .actual_access:  read_only
        .address_space:  global
        .offset:         72
        .size:           8
        .value_kind:     global_buffer
      - .actual_access:  write_only
        .address_space:  global
        .offset:         80
        .size:           8
        .value_kind:     global_buffer
    .group_segment_fixed_size: 4104
    .kernarg_segment_align: 8
    .kernarg_segment_size: 88
    .language:       OpenCL C
    .language_version:
      - 2
      - 0
    .max_flat_workgroup_size: 256
    .name:           _ZN9rocsparseL44csr2gebsr_wavefront_per_row_multipass_kernelILi256ELi8ELi8ELi64E21rocsparse_complex_numIdEEEv20rocsparse_direction_iiiiii21rocsparse_index_base_PKT3_PKiS9_S4_PS5_PiSB_
    .private_segment_fixed_size: 0
    .sgpr_count:     24
    .sgpr_spill_count: 0
    .symbol:         _ZN9rocsparseL44csr2gebsr_wavefront_per_row_multipass_kernelILi256ELi8ELi8ELi64E21rocsparse_complex_numIdEEEv20rocsparse_direction_iiiiii21rocsparse_index_base_PKT3_PKiS9_S4_PS5_PiSB_.kd
    .uniform_work_group_size: 1
    .uses_dynamic_stack: false
    .vgpr_count:     38
    .vgpr_spill_count: 0
    .wavefront_size: 32
  - .args:
      - .offset:         0
        .size:           4
        .value_kind:     by_value
      - .offset:         4
        .size:           4
        .value_kind:     by_value
      - .offset:         8
        .size:           4
        .value_kind:     by_value
      - .offset:         12
        .size:           4
        .value_kind:     by_value
      - .offset:         16
        .size:           4
        .value_kind:     by_value
      - .offset:         20
        .size:           4
        .value_kind:     by_value
      - .offset:         24
        .size:           4
        .value_kind:     by_value
      - .offset:         28
        .size:           4
        .value_kind:     by_value
      - .actual_access:  read_only
        .address_space:  global
        .offset:         32
        .size:           8
        .value_kind:     global_buffer
      - .actual_access:  read_only
        .address_space:  global
        .offset:         40
        .size:           8
        .value_kind:     global_buffer
      - .actual_access:  read_only
        .address_space:  global
        .offset:         48
        .size:           8
        .value_kind:     global_buffer
      - .offset:         56
        .size:           4
        .value_kind:     by_value
      - .actual_access:  write_only
        .address_space:  global
        .offset:         64
        .size:           8
        .value_kind:     global_buffer
      - .actual_access:  read_only
        .address_space:  global
        .offset:         72
        .size:           8
        .value_kind:     global_buffer
      - .actual_access:  write_only
        .address_space:  global
        .offset:         80
        .size:           8
        .value_kind:     global_buffer
    .group_segment_fixed_size: 8200
    .kernarg_segment_align: 8
    .kernarg_segment_size: 88
    .language:       OpenCL C
    .language_version:
      - 2
      - 0
    .max_flat_workgroup_size: 256
    .name:           _ZN9rocsparseL44csr2gebsr_wavefront_per_row_multipass_kernelILi256ELi8ELi8ELi32E21rocsparse_complex_numIdEEEv20rocsparse_direction_iiiiii21rocsparse_index_base_PKT3_PKiS9_S4_PS5_PiSB_
    .private_segment_fixed_size: 0
    .sgpr_count:     27
    .sgpr_spill_count: 0
    .symbol:         _ZN9rocsparseL44csr2gebsr_wavefront_per_row_multipass_kernelILi256ELi8ELi8ELi32E21rocsparse_complex_numIdEEEv20rocsparse_direction_iiiiii21rocsparse_index_base_PKT3_PKiS9_S4_PS5_PiSB_.kd
    .uniform_work_group_size: 1
    .uses_dynamic_stack: false
    .vgpr_count:     44
    .vgpr_spill_count: 0
    .wavefront_size: 32
  - .args:
      - .offset:         0
        .size:           4
        .value_kind:     by_value
      - .offset:         4
        .size:           4
        .value_kind:     by_value
      - .offset:         8
        .size:           4
        .value_kind:     by_value
      - .offset:         12
        .size:           4
        .value_kind:     by_value
      - .offset:         16
        .size:           4
        .value_kind:     by_value
      - .offset:         20
        .size:           4
        .value_kind:     by_value
      - .offset:         24
        .size:           4
        .value_kind:     by_value
      - .offset:         28
        .size:           4
        .value_kind:     by_value
      - .actual_access:  read_only
        .address_space:  global
        .offset:         32
        .size:           8
        .value_kind:     global_buffer
      - .actual_access:  read_only
        .address_space:  global
        .offset:         40
        .size:           8
        .value_kind:     global_buffer
      - .actual_access:  read_only
        .address_space:  global
        .offset:         48
        .size:           8
        .value_kind:     global_buffer
      - .offset:         56
        .size:           4
        .value_kind:     by_value
      - .actual_access:  write_only
        .address_space:  global
        .offset:         64
        .size:           8
        .value_kind:     global_buffer
      - .actual_access:  read_only
        .address_space:  global
        .offset:         72
        .size:           8
        .value_kind:     global_buffer
      - .actual_access:  write_only
        .address_space:  global
        .offset:         80
        .size:           8
        .value_kind:     global_buffer
    .group_segment_fixed_size: 8200
    .kernarg_segment_align: 8
    .kernarg_segment_size: 88
    .language:       OpenCL C
    .language_version:
      - 2
      - 0
    .max_flat_workgroup_size: 256
    .name:           _ZN9rocsparseL44csr2gebsr_wavefront_per_row_multipass_kernelILi256ELi8ELi16ELi64E21rocsparse_complex_numIdEEEv20rocsparse_direction_iiiiii21rocsparse_index_base_PKT3_PKiS9_S4_PS5_PiSB_
    .private_segment_fixed_size: 0
    .sgpr_count:     27
    .sgpr_spill_count: 0
    .symbol:         _ZN9rocsparseL44csr2gebsr_wavefront_per_row_multipass_kernelILi256ELi8ELi16ELi64E21rocsparse_complex_numIdEEEv20rocsparse_direction_iiiiii21rocsparse_index_base_PKT3_PKiS9_S4_PS5_PiSB_.kd
    .uniform_work_group_size: 1
    .uses_dynamic_stack: false
    .vgpr_count:     46
    .vgpr_spill_count: 0
    .wavefront_size: 32
  - .args:
      - .offset:         0
        .size:           4
        .value_kind:     by_value
      - .offset:         4
        .size:           4
        .value_kind:     by_value
      - .offset:         8
        .size:           4
        .value_kind:     by_value
      - .offset:         12
        .size:           4
        .value_kind:     by_value
      - .offset:         16
        .size:           4
        .value_kind:     by_value
      - .offset:         20
        .size:           4
        .value_kind:     by_value
      - .offset:         24
        .size:           4
        .value_kind:     by_value
      - .offset:         28
        .size:           4
        .value_kind:     by_value
      - .actual_access:  read_only
        .address_space:  global
        .offset:         32
        .size:           8
        .value_kind:     global_buffer
      - .actual_access:  read_only
        .address_space:  global
        .offset:         40
        .size:           8
        .value_kind:     global_buffer
      - .actual_access:  read_only
        .address_space:  global
        .offset:         48
        .size:           8
        .value_kind:     global_buffer
      - .offset:         56
        .size:           4
        .value_kind:     by_value
      - .actual_access:  write_only
        .address_space:  global
        .offset:         64
        .size:           8
        .value_kind:     global_buffer
      - .actual_access:  read_only
        .address_space:  global
        .offset:         72
        .size:           8
        .value_kind:     global_buffer
      - .actual_access:  write_only
        .address_space:  global
        .offset:         80
        .size:           8
        .value_kind:     global_buffer
    .group_segment_fixed_size: 16392
    .kernarg_segment_align: 8
    .kernarg_segment_size: 88
    .language:       OpenCL C
    .language_version:
      - 2
      - 0
    .max_flat_workgroup_size: 256
    .name:           _ZN9rocsparseL44csr2gebsr_wavefront_per_row_multipass_kernelILi256ELi8ELi16ELi32E21rocsparse_complex_numIdEEEv20rocsparse_direction_iiiiii21rocsparse_index_base_PKT3_PKiS9_S4_PS5_PiSB_
    .private_segment_fixed_size: 0
    .sgpr_count:     29
    .sgpr_spill_count: 0
    .symbol:         _ZN9rocsparseL44csr2gebsr_wavefront_per_row_multipass_kernelILi256ELi8ELi16ELi32E21rocsparse_complex_numIdEEEv20rocsparse_direction_iiiiii21rocsparse_index_base_PKT3_PKiS9_S4_PS5_PiSB_.kd
    .uniform_work_group_size: 1
    .uses_dynamic_stack: false
    .vgpr_count:     50
    .vgpr_spill_count: 0
    .wavefront_size: 32
  - .args:
      - .offset:         0
        .size:           4
        .value_kind:     by_value
      - .offset:         4
        .size:           4
        .value_kind:     by_value
      - .offset:         8
        .size:           4
        .value_kind:     by_value
      - .offset:         12
        .size:           4
        .value_kind:     by_value
      - .offset:         16
        .size:           4
        .value_kind:     by_value
      - .offset:         20
        .size:           4
        .value_kind:     by_value
      - .offset:         24
        .size:           4
        .value_kind:     by_value
      - .offset:         28
        .size:           4
        .value_kind:     by_value
      - .actual_access:  read_only
        .address_space:  global
        .offset:         32
        .size:           8
        .value_kind:     global_buffer
      - .actual_access:  read_only
        .address_space:  global
        .offset:         40
        .size:           8
        .value_kind:     global_buffer
      - .actual_access:  read_only
        .address_space:  global
        .offset:         48
        .size:           8
        .value_kind:     global_buffer
      - .offset:         56
        .size:           4
        .value_kind:     by_value
      - .actual_access:  write_only
        .address_space:  global
        .offset:         64
        .size:           8
        .value_kind:     global_buffer
      - .actual_access:  read_only
        .address_space:  global
        .offset:         72
        .size:           8
        .value_kind:     global_buffer
      - .actual_access:  write_only
        .address_space:  global
        .offset:         80
        .size:           8
        .value_kind:     global_buffer
    .group_segment_fixed_size: 16392
    .kernarg_segment_align: 8
    .kernarg_segment_size: 88
    .language:       OpenCL C
    .language_version:
      - 2
      - 0
    .max_flat_workgroup_size: 256
    .name:           _ZN9rocsparseL44csr2gebsr_wavefront_per_row_multipass_kernelILi256ELi8ELi32ELi64E21rocsparse_complex_numIdEEEv20rocsparse_direction_iiiiii21rocsparse_index_base_PKT3_PKiS9_S4_PS5_PiSB_
    .private_segment_fixed_size: 0
    .sgpr_count:     29
    .sgpr_spill_count: 0
    .symbol:         _ZN9rocsparseL44csr2gebsr_wavefront_per_row_multipass_kernelILi256ELi8ELi32ELi64E21rocsparse_complex_numIdEEEv20rocsparse_direction_iiiiii21rocsparse_index_base_PKT3_PKiS9_S4_PS5_PiSB_.kd
    .uniform_work_group_size: 1
    .uses_dynamic_stack: false
    .vgpr_count:     52
    .vgpr_spill_count: 0
    .wavefront_size: 32
  - .args:
      - .offset:         0
        .size:           4
        .value_kind:     by_value
      - .offset:         4
        .size:           4
        .value_kind:     by_value
      - .offset:         8
        .size:           4
        .value_kind:     by_value
      - .offset:         12
        .size:           4
        .value_kind:     by_value
      - .offset:         16
        .size:           4
        .value_kind:     by_value
      - .offset:         20
        .size:           4
        .value_kind:     by_value
      - .offset:         24
        .size:           4
        .value_kind:     by_value
      - .offset:         28
        .size:           4
        .value_kind:     by_value
      - .actual_access:  read_only
        .address_space:  global
        .offset:         32
        .size:           8
        .value_kind:     global_buffer
      - .actual_access:  read_only
        .address_space:  global
        .offset:         40
        .size:           8
        .value_kind:     global_buffer
      - .actual_access:  read_only
        .address_space:  global
        .offset:         48
        .size:           8
        .value_kind:     global_buffer
      - .offset:         56
        .size:           4
        .value_kind:     by_value
      - .actual_access:  write_only
        .address_space:  global
        .offset:         64
        .size:           8
        .value_kind:     global_buffer
      - .actual_access:  read_only
        .address_space:  global
        .offset:         72
        .size:           8
        .value_kind:     global_buffer
      - .actual_access:  write_only
        .address_space:  global
        .offset:         80
        .size:           8
        .value_kind:     global_buffer
    .group_segment_fixed_size: 32776
    .kernarg_segment_align: 8
    .kernarg_segment_size: 88
    .language:       OpenCL C
    .language_version:
      - 2
      - 0
    .max_flat_workgroup_size: 256
    .name:           _ZN9rocsparseL44csr2gebsr_wavefront_per_row_multipass_kernelILi256ELi8ELi32ELi32E21rocsparse_complex_numIdEEEv20rocsparse_direction_iiiiii21rocsparse_index_base_PKT3_PKiS9_S4_PS5_PiSB_
    .private_segment_fixed_size: 0
    .sgpr_count:     33
    .sgpr_spill_count: 0
    .symbol:         _ZN9rocsparseL44csr2gebsr_wavefront_per_row_multipass_kernelILi256ELi8ELi32ELi32E21rocsparse_complex_numIdEEEv20rocsparse_direction_iiiiii21rocsparse_index_base_PKT3_PKiS9_S4_PS5_PiSB_.kd
    .uniform_work_group_size: 1
    .uses_dynamic_stack: false
    .vgpr_count:     62
    .vgpr_spill_count: 0
    .wavefront_size: 32
  - .args:
      - .offset:         0
        .size:           4
        .value_kind:     by_value
      - .offset:         4
        .size:           4
        .value_kind:     by_value
      - .offset:         8
        .size:           4
        .value_kind:     by_value
      - .offset:         12
        .size:           4
        .value_kind:     by_value
      - .offset:         16
        .size:           4
        .value_kind:     by_value
      - .offset:         20
        .size:           4
        .value_kind:     by_value
      - .offset:         24
        .size:           4
        .value_kind:     by_value
      - .offset:         28
        .size:           4
        .value_kind:     by_value
      - .actual_access:  read_only
        .address_space:  global
        .offset:         32
        .size:           8
        .value_kind:     global_buffer
      - .actual_access:  read_only
        .address_space:  global
        .offset:         40
        .size:           8
        .value_kind:     global_buffer
      - .actual_access:  read_only
        .address_space:  global
        .offset:         48
        .size:           8
        .value_kind:     global_buffer
      - .offset:         56
        .size:           4
        .value_kind:     by_value
      - .actual_access:  write_only
        .address_space:  global
        .offset:         64
        .size:           8
        .value_kind:     global_buffer
      - .actual_access:  read_only
        .address_space:  global
        .offset:         72
        .size:           8
        .value_kind:     global_buffer
      - .actual_access:  write_only
        .address_space:  global
        .offset:         80
        .size:           8
        .value_kind:     global_buffer
    .group_segment_fixed_size: 32776
    .kernarg_segment_align: 8
    .kernarg_segment_size: 88
    .language:       OpenCL C
    .language_version:
      - 2
      - 0
    .max_flat_workgroup_size: 256
    .name:           _ZN9rocsparseL44csr2gebsr_wavefront_per_row_multipass_kernelILi256ELi8ELi64ELi64E21rocsparse_complex_numIdEEEv20rocsparse_direction_iiiiii21rocsparse_index_base_PKT3_PKiS9_S4_PS5_PiSB_
    .private_segment_fixed_size: 0
    .sgpr_count:     33
    .sgpr_spill_count: 0
    .symbol:         _ZN9rocsparseL44csr2gebsr_wavefront_per_row_multipass_kernelILi256ELi8ELi64ELi64E21rocsparse_complex_numIdEEEv20rocsparse_direction_iiiiii21rocsparse_index_base_PKT3_PKiS9_S4_PS5_PiSB_.kd
    .uniform_work_group_size: 1
    .uses_dynamic_stack: false
    .vgpr_count:     64
    .vgpr_spill_count: 0
    .wavefront_size: 32
  - .args:
      - .offset:         0
        .size:           4
        .value_kind:     by_value
      - .offset:         4
        .size:           4
        .value_kind:     by_value
      - .offset:         8
        .size:           4
        .value_kind:     by_value
      - .offset:         12
        .size:           4
        .value_kind:     by_value
      - .offset:         16
        .size:           4
        .value_kind:     by_value
      - .offset:         20
        .size:           4
        .value_kind:     by_value
      - .offset:         24
        .size:           4
        .value_kind:     by_value
      - .offset:         28
        .size:           4
        .value_kind:     by_value
      - .actual_access:  read_only
        .address_space:  global
        .offset:         32
        .size:           8
        .value_kind:     global_buffer
      - .actual_access:  read_only
        .address_space:  global
        .offset:         40
        .size:           8
        .value_kind:     global_buffer
      - .actual_access:  read_only
        .address_space:  global
        .offset:         48
        .size:           8
        .value_kind:     global_buffer
      - .offset:         56
        .size:           4
        .value_kind:     by_value
      - .actual_access:  write_only
        .address_space:  global
        .offset:         64
        .size:           8
        .value_kind:     global_buffer
      - .actual_access:  read_only
        .address_space:  global
        .offset:         72
        .size:           8
        .value_kind:     global_buffer
      - .actual_access:  write_only
        .address_space:  global
        .offset:         80
        .size:           8
        .value_kind:     global_buffer
    .group_segment_fixed_size: 32776
    .kernarg_segment_align: 8
    .kernarg_segment_size: 88
    .language:       OpenCL C
    .language_version:
      - 2
      - 0
    .max_flat_workgroup_size: 128
    .name:           _ZN9rocsparseL44csr2gebsr_wavefront_per_row_multipass_kernelILi128ELi8ELi64ELi32E21rocsparse_complex_numIdEEEv20rocsparse_direction_iiiiii21rocsparse_index_base_PKT3_PKiS9_S4_PS5_PiSB_
    .private_segment_fixed_size: 0
    .sgpr_count:     42
    .sgpr_spill_count: 0
    .symbol:         _ZN9rocsparseL44csr2gebsr_wavefront_per_row_multipass_kernelILi128ELi8ELi64ELi32E21rocsparse_complex_numIdEEEv20rocsparse_direction_iiiiii21rocsparse_index_base_PKT3_PKiS9_S4_PS5_PiSB_.kd
    .uniform_work_group_size: 1
    .uses_dynamic_stack: false
    .vgpr_count:     86
    .vgpr_spill_count: 0
    .wavefront_size: 32
  - .args:
      - .offset:         0
        .size:           4
        .value_kind:     by_value
      - .offset:         4
        .size:           4
        .value_kind:     by_value
      - .offset:         8
        .size:           4
        .value_kind:     by_value
      - .offset:         12
        .size:           4
        .value_kind:     by_value
      - .offset:         16
        .size:           4
        .value_kind:     by_value
      - .offset:         20
        .size:           4
        .value_kind:     by_value
      - .offset:         24
        .size:           4
        .value_kind:     by_value
      - .offset:         28
        .size:           4
        .value_kind:     by_value
      - .actual_access:  read_only
        .address_space:  global
        .offset:         32
        .size:           8
        .value_kind:     global_buffer
      - .actual_access:  read_only
        .address_space:  global
        .offset:         40
        .size:           8
        .value_kind:     global_buffer
      - .actual_access:  read_only
        .address_space:  global
        .offset:         48
        .size:           8
        .value_kind:     global_buffer
      - .offset:         56
        .size:           4
        .value_kind:     by_value
      - .actual_access:  write_only
        .address_space:  global
        .offset:         64
        .size:           8
        .value_kind:     global_buffer
      - .actual_access:  read_only
        .address_space:  global
        .offset:         72
        .size:           8
        .value_kind:     global_buffer
      - .actual_access:  write_only
        .address_space:  global
        .offset:         80
        .size:           8
        .value_kind:     global_buffer
    .group_segment_fixed_size: 4104
    .kernarg_segment_align: 8
    .kernarg_segment_size: 88
    .language:       OpenCL C
    .language_version:
      - 2
      - 0
    .max_flat_workgroup_size: 256
    .name:           _ZN9rocsparseL44csr2gebsr_wavefront_per_row_multipass_kernelILi256ELi16ELi2ELi32E21rocsparse_complex_numIdEEEv20rocsparse_direction_iiiiii21rocsparse_index_base_PKT3_PKiS9_S4_PS5_PiSB_
    .private_segment_fixed_size: 0
    .sgpr_count:     24
    .sgpr_spill_count: 0
    .symbol:         _ZN9rocsparseL44csr2gebsr_wavefront_per_row_multipass_kernelILi256ELi16ELi2ELi32E21rocsparse_complex_numIdEEEv20rocsparse_direction_iiiiii21rocsparse_index_base_PKT3_PKiS9_S4_PS5_PiSB_.kd
    .uniform_work_group_size: 1
    .uses_dynamic_stack: false
    .vgpr_count:     38
    .vgpr_spill_count: 0
    .wavefront_size: 32
  - .args:
      - .offset:         0
        .size:           4
        .value_kind:     by_value
      - .offset:         4
        .size:           4
        .value_kind:     by_value
      - .offset:         8
        .size:           4
        .value_kind:     by_value
      - .offset:         12
        .size:           4
        .value_kind:     by_value
      - .offset:         16
        .size:           4
        .value_kind:     by_value
      - .offset:         20
        .size:           4
        .value_kind:     by_value
      - .offset:         24
        .size:           4
        .value_kind:     by_value
      - .offset:         28
        .size:           4
        .value_kind:     by_value
      - .actual_access:  read_only
        .address_space:  global
        .offset:         32
        .size:           8
        .value_kind:     global_buffer
      - .actual_access:  read_only
        .address_space:  global
        .offset:         40
        .size:           8
        .value_kind:     global_buffer
      - .actual_access:  read_only
        .address_space:  global
        .offset:         48
        .size:           8
        .value_kind:     global_buffer
      - .offset:         56
        .size:           4
        .value_kind:     by_value
      - .actual_access:  write_only
        .address_space:  global
        .offset:         64
        .size:           8
        .value_kind:     global_buffer
      - .actual_access:  read_only
        .address_space:  global
        .offset:         72
        .size:           8
        .value_kind:     global_buffer
      - .actual_access:  write_only
        .address_space:  global
        .offset:         80
        .size:           8
        .value_kind:     global_buffer
    .group_segment_fixed_size: 4104
    .kernarg_segment_align: 8
    .kernarg_segment_size: 88
    .language:       OpenCL C
    .language_version:
      - 2
      - 0
    .max_flat_workgroup_size: 256
    .name:           _ZN9rocsparseL44csr2gebsr_wavefront_per_row_multipass_kernelILi256ELi16ELi4ELi64E21rocsparse_complex_numIdEEEv20rocsparse_direction_iiiiii21rocsparse_index_base_PKT3_PKiS9_S4_PS5_PiSB_
    .private_segment_fixed_size: 0
    .sgpr_count:     24
    .sgpr_spill_count: 0
    .symbol:         _ZN9rocsparseL44csr2gebsr_wavefront_per_row_multipass_kernelILi256ELi16ELi4ELi64E21rocsparse_complex_numIdEEEv20rocsparse_direction_iiiiii21rocsparse_index_base_PKT3_PKiS9_S4_PS5_PiSB_.kd
    .uniform_work_group_size: 1
    .uses_dynamic_stack: false
    .vgpr_count:     38
    .vgpr_spill_count: 0
    .wavefront_size: 32
  - .args:
      - .offset:         0
        .size:           4
        .value_kind:     by_value
      - .offset:         4
        .size:           4
        .value_kind:     by_value
      - .offset:         8
        .size:           4
        .value_kind:     by_value
      - .offset:         12
        .size:           4
        .value_kind:     by_value
      - .offset:         16
        .size:           4
        .value_kind:     by_value
      - .offset:         20
        .size:           4
        .value_kind:     by_value
      - .offset:         24
        .size:           4
        .value_kind:     by_value
      - .offset:         28
        .size:           4
        .value_kind:     by_value
      - .actual_access:  read_only
        .address_space:  global
        .offset:         32
        .size:           8
        .value_kind:     global_buffer
      - .actual_access:  read_only
        .address_space:  global
        .offset:         40
        .size:           8
        .value_kind:     global_buffer
      - .actual_access:  read_only
        .address_space:  global
        .offset:         48
        .size:           8
        .value_kind:     global_buffer
      - .offset:         56
        .size:           4
        .value_kind:     by_value
      - .actual_access:  write_only
        .address_space:  global
        .offset:         64
        .size:           8
        .value_kind:     global_buffer
      - .actual_access:  read_only
        .address_space:  global
        .offset:         72
        .size:           8
        .value_kind:     global_buffer
      - .actual_access:  write_only
        .address_space:  global
        .offset:         80
        .size:           8
        .value_kind:     global_buffer
    .group_segment_fixed_size: 8200
    .kernarg_segment_align: 8
    .kernarg_segment_size: 88
    .language:       OpenCL C
    .language_version:
      - 2
      - 0
    .max_flat_workgroup_size: 256
    .name:           _ZN9rocsparseL44csr2gebsr_wavefront_per_row_multipass_kernelILi256ELi16ELi4ELi32E21rocsparse_complex_numIdEEEv20rocsparse_direction_iiiiii21rocsparse_index_base_PKT3_PKiS9_S4_PS5_PiSB_
    .private_segment_fixed_size: 0
    .sgpr_count:     27
    .sgpr_spill_count: 0
    .symbol:         _ZN9rocsparseL44csr2gebsr_wavefront_per_row_multipass_kernelILi256ELi16ELi4ELi32E21rocsparse_complex_numIdEEEv20rocsparse_direction_iiiiii21rocsparse_index_base_PKT3_PKiS9_S4_PS5_PiSB_.kd
    .uniform_work_group_size: 1
    .uses_dynamic_stack: false
    .vgpr_count:     44
    .vgpr_spill_count: 0
    .wavefront_size: 32
  - .args:
      - .offset:         0
        .size:           4
        .value_kind:     by_value
      - .offset:         4
        .size:           4
        .value_kind:     by_value
      - .offset:         8
        .size:           4
        .value_kind:     by_value
      - .offset:         12
        .size:           4
        .value_kind:     by_value
      - .offset:         16
        .size:           4
        .value_kind:     by_value
      - .offset:         20
        .size:           4
        .value_kind:     by_value
      - .offset:         24
        .size:           4
        .value_kind:     by_value
      - .offset:         28
        .size:           4
        .value_kind:     by_value
      - .actual_access:  read_only
        .address_space:  global
        .offset:         32
        .size:           8
        .value_kind:     global_buffer
      - .actual_access:  read_only
        .address_space:  global
        .offset:         40
        .size:           8
        .value_kind:     global_buffer
      - .actual_access:  read_only
        .address_space:  global
        .offset:         48
        .size:           8
        .value_kind:     global_buffer
      - .offset:         56
        .size:           4
        .value_kind:     by_value
      - .actual_access:  write_only
        .address_space:  global
        .offset:         64
        .size:           8
        .value_kind:     global_buffer
      - .actual_access:  read_only
        .address_space:  global
        .offset:         72
        .size:           8
        .value_kind:     global_buffer
      - .actual_access:  write_only
        .address_space:  global
        .offset:         80
        .size:           8
        .value_kind:     global_buffer
    .group_segment_fixed_size: 8200
    .kernarg_segment_align: 8
    .kernarg_segment_size: 88
    .language:       OpenCL C
    .language_version:
      - 2
      - 0
    .max_flat_workgroup_size: 256
    .name:           _ZN9rocsparseL44csr2gebsr_wavefront_per_row_multipass_kernelILi256ELi16ELi8ELi64E21rocsparse_complex_numIdEEEv20rocsparse_direction_iiiiii21rocsparse_index_base_PKT3_PKiS9_S4_PS5_PiSB_
    .private_segment_fixed_size: 0
    .sgpr_count:     27
    .sgpr_spill_count: 0
    .symbol:         _ZN9rocsparseL44csr2gebsr_wavefront_per_row_multipass_kernelILi256ELi16ELi8ELi64E21rocsparse_complex_numIdEEEv20rocsparse_direction_iiiiii21rocsparse_index_base_PKT3_PKiS9_S4_PS5_PiSB_.kd
    .uniform_work_group_size: 1
    .uses_dynamic_stack: false
    .vgpr_count:     46
    .vgpr_spill_count: 0
    .wavefront_size: 32
  - .args:
      - .offset:         0
        .size:           4
        .value_kind:     by_value
      - .offset:         4
        .size:           4
        .value_kind:     by_value
      - .offset:         8
        .size:           4
        .value_kind:     by_value
      - .offset:         12
        .size:           4
        .value_kind:     by_value
      - .offset:         16
        .size:           4
        .value_kind:     by_value
      - .offset:         20
        .size:           4
        .value_kind:     by_value
      - .offset:         24
        .size:           4
        .value_kind:     by_value
      - .offset:         28
        .size:           4
        .value_kind:     by_value
      - .actual_access:  read_only
        .address_space:  global
        .offset:         32
        .size:           8
        .value_kind:     global_buffer
      - .actual_access:  read_only
        .address_space:  global
        .offset:         40
        .size:           8
        .value_kind:     global_buffer
      - .actual_access:  read_only
        .address_space:  global
        .offset:         48
        .size:           8
        .value_kind:     global_buffer
      - .offset:         56
        .size:           4
        .value_kind:     by_value
      - .actual_access:  write_only
        .address_space:  global
        .offset:         64
        .size:           8
        .value_kind:     global_buffer
      - .actual_access:  read_only
        .address_space:  global
        .offset:         72
        .size:           8
        .value_kind:     global_buffer
      - .actual_access:  write_only
        .address_space:  global
        .offset:         80
        .size:           8
        .value_kind:     global_buffer
    .group_segment_fixed_size: 16392
    .kernarg_segment_align: 8
    .kernarg_segment_size: 88
    .language:       OpenCL C
    .language_version:
      - 2
      - 0
    .max_flat_workgroup_size: 256
    .name:           _ZN9rocsparseL44csr2gebsr_wavefront_per_row_multipass_kernelILi256ELi16ELi8ELi32E21rocsparse_complex_numIdEEEv20rocsparse_direction_iiiiii21rocsparse_index_base_PKT3_PKiS9_S4_PS5_PiSB_
    .private_segment_fixed_size: 0
    .sgpr_count:     29
    .sgpr_spill_count: 0
    .symbol:         _ZN9rocsparseL44csr2gebsr_wavefront_per_row_multipass_kernelILi256ELi16ELi8ELi32E21rocsparse_complex_numIdEEEv20rocsparse_direction_iiiiii21rocsparse_index_base_PKT3_PKiS9_S4_PS5_PiSB_.kd
    .uniform_work_group_size: 1
    .uses_dynamic_stack: false
    .vgpr_count:     50
    .vgpr_spill_count: 0
    .wavefront_size: 32
  - .args:
      - .offset:         0
        .size:           4
        .value_kind:     by_value
      - .offset:         4
        .size:           4
        .value_kind:     by_value
      - .offset:         8
        .size:           4
        .value_kind:     by_value
      - .offset:         12
        .size:           4
        .value_kind:     by_value
      - .offset:         16
        .size:           4
        .value_kind:     by_value
      - .offset:         20
        .size:           4
        .value_kind:     by_value
      - .offset:         24
        .size:           4
        .value_kind:     by_value
      - .offset:         28
        .size:           4
        .value_kind:     by_value
      - .actual_access:  read_only
        .address_space:  global
        .offset:         32
        .size:           8
        .value_kind:     global_buffer
      - .actual_access:  read_only
        .address_space:  global
        .offset:         40
        .size:           8
        .value_kind:     global_buffer
      - .actual_access:  read_only
        .address_space:  global
        .offset:         48
        .size:           8
        .value_kind:     global_buffer
      - .offset:         56
        .size:           4
        .value_kind:     by_value
      - .actual_access:  write_only
        .address_space:  global
        .offset:         64
        .size:           8
        .value_kind:     global_buffer
      - .actual_access:  read_only
        .address_space:  global
        .offset:         72
        .size:           8
        .value_kind:     global_buffer
      - .actual_access:  write_only
        .address_space:  global
        .offset:         80
        .size:           8
        .value_kind:     global_buffer
    .group_segment_fixed_size: 16392
    .kernarg_segment_align: 8
    .kernarg_segment_size: 88
    .language:       OpenCL C
    .language_version:
      - 2
      - 0
    .max_flat_workgroup_size: 256
    .name:           _ZN9rocsparseL44csr2gebsr_wavefront_per_row_multipass_kernelILi256ELi16ELi16ELi64E21rocsparse_complex_numIdEEEv20rocsparse_direction_iiiiii21rocsparse_index_base_PKT3_PKiS9_S4_PS5_PiSB_
    .private_segment_fixed_size: 0
    .sgpr_count:     29
    .sgpr_spill_count: 0
    .symbol:         _ZN9rocsparseL44csr2gebsr_wavefront_per_row_multipass_kernelILi256ELi16ELi16ELi64E21rocsparse_complex_numIdEEEv20rocsparse_direction_iiiiii21rocsparse_index_base_PKT3_PKiS9_S4_PS5_PiSB_.kd
    .uniform_work_group_size: 1
    .uses_dynamic_stack: false
    .vgpr_count:     52
    .vgpr_spill_count: 0
    .wavefront_size: 32
  - .args:
      - .offset:         0
        .size:           4
        .value_kind:     by_value
      - .offset:         4
        .size:           4
        .value_kind:     by_value
      - .offset:         8
        .size:           4
        .value_kind:     by_value
      - .offset:         12
        .size:           4
        .value_kind:     by_value
      - .offset:         16
        .size:           4
        .value_kind:     by_value
      - .offset:         20
        .size:           4
        .value_kind:     by_value
      - .offset:         24
        .size:           4
        .value_kind:     by_value
      - .offset:         28
        .size:           4
        .value_kind:     by_value
      - .actual_access:  read_only
        .address_space:  global
        .offset:         32
        .size:           8
        .value_kind:     global_buffer
      - .actual_access:  read_only
        .address_space:  global
        .offset:         40
        .size:           8
        .value_kind:     global_buffer
      - .actual_access:  read_only
        .address_space:  global
        .offset:         48
        .size:           8
        .value_kind:     global_buffer
      - .offset:         56
        .size:           4
        .value_kind:     by_value
      - .actual_access:  write_only
        .address_space:  global
        .offset:         64
        .size:           8
        .value_kind:     global_buffer
      - .actual_access:  read_only
        .address_space:  global
        .offset:         72
        .size:           8
        .value_kind:     global_buffer
      - .actual_access:  write_only
        .address_space:  global
        .offset:         80
        .size:           8
        .value_kind:     global_buffer
    .group_segment_fixed_size: 32776
    .kernarg_segment_align: 8
    .kernarg_segment_size: 88
    .language:       OpenCL C
    .language_version:
      - 2
      - 0
    .max_flat_workgroup_size: 256
    .name:           _ZN9rocsparseL44csr2gebsr_wavefront_per_row_multipass_kernelILi256ELi16ELi16ELi32E21rocsparse_complex_numIdEEEv20rocsparse_direction_iiiiii21rocsparse_index_base_PKT3_PKiS9_S4_PS5_PiSB_
    .private_segment_fixed_size: 0
    .sgpr_count:     33
    .sgpr_spill_count: 0
    .symbol:         _ZN9rocsparseL44csr2gebsr_wavefront_per_row_multipass_kernelILi256ELi16ELi16ELi32E21rocsparse_complex_numIdEEEv20rocsparse_direction_iiiiii21rocsparse_index_base_PKT3_PKiS9_S4_PS5_PiSB_.kd
    .uniform_work_group_size: 1
    .uses_dynamic_stack: false
    .vgpr_count:     62
    .vgpr_spill_count: 0
    .wavefront_size: 32
  - .args:
      - .offset:         0
        .size:           4
        .value_kind:     by_value
      - .offset:         4
        .size:           4
        .value_kind:     by_value
      - .offset:         8
        .size:           4
        .value_kind:     by_value
      - .offset:         12
        .size:           4
        .value_kind:     by_value
      - .offset:         16
        .size:           4
        .value_kind:     by_value
      - .offset:         20
        .size:           4
        .value_kind:     by_value
      - .offset:         24
        .size:           4
        .value_kind:     by_value
      - .offset:         28
        .size:           4
        .value_kind:     by_value
      - .actual_access:  read_only
        .address_space:  global
        .offset:         32
        .size:           8
        .value_kind:     global_buffer
      - .actual_access:  read_only
        .address_space:  global
        .offset:         40
        .size:           8
        .value_kind:     global_buffer
      - .actual_access:  read_only
        .address_space:  global
        .offset:         48
        .size:           8
        .value_kind:     global_buffer
      - .offset:         56
        .size:           4
        .value_kind:     by_value
      - .actual_access:  write_only
        .address_space:  global
        .offset:         64
        .size:           8
        .value_kind:     global_buffer
      - .actual_access:  read_only
        .address_space:  global
        .offset:         72
        .size:           8
        .value_kind:     global_buffer
      - .actual_access:  write_only
        .address_space:  global
        .offset:         80
        .size:           8
        .value_kind:     global_buffer
    .group_segment_fixed_size: 8200
    .kernarg_segment_align: 8
    .kernarg_segment_size: 88
    .language:       OpenCL C
    .language_version:
      - 2
      - 0
    .max_flat_workgroup_size: 128
    .name:           _ZN9rocsparseL40csr2gebsr_block_per_row_multipass_kernelILj128ELj16ELj32E21rocsparse_complex_numIdEEEv20rocsparse_direction_iiiiii21rocsparse_index_base_PKT2_PKiS9_S4_PS5_PiSB_
    .private_segment_fixed_size: 0
    .sgpr_count:     42
    .sgpr_spill_count: 0
    .symbol:         _ZN9rocsparseL40csr2gebsr_block_per_row_multipass_kernelILj128ELj16ELj32E21rocsparse_complex_numIdEEEv20rocsparse_direction_iiiiii21rocsparse_index_base_PKT2_PKiS9_S4_PS5_PiSB_.kd
    .uniform_work_group_size: 1
    .uses_dynamic_stack: false
    .vgpr_count:     46
    .vgpr_spill_count: 0
    .wavefront_size: 32
  - .args:
      - .offset:         0
        .size:           4
        .value_kind:     by_value
      - .offset:         4
        .size:           4
        .value_kind:     by_value
      - .offset:         8
        .size:           4
        .value_kind:     by_value
      - .offset:         12
        .size:           4
        .value_kind:     by_value
      - .offset:         16
        .size:           4
        .value_kind:     by_value
      - .offset:         20
        .size:           4
        .value_kind:     by_value
      - .offset:         24
        .size:           4
        .value_kind:     by_value
      - .offset:         28
        .size:           4
        .value_kind:     by_value
      - .actual_access:  read_only
        .address_space:  global
        .offset:         32
        .size:           8
        .value_kind:     global_buffer
      - .actual_access:  read_only
        .address_space:  global
        .offset:         40
        .size:           8
        .value_kind:     global_buffer
      - .actual_access:  read_only
        .address_space:  global
        .offset:         48
        .size:           8
        .value_kind:     global_buffer
      - .offset:         56
        .size:           4
        .value_kind:     by_value
      - .actual_access:  write_only
        .address_space:  global
        .offset:         64
        .size:           8
        .value_kind:     global_buffer
      - .actual_access:  read_only
        .address_space:  global
        .offset:         72
        .size:           8
        .value_kind:     global_buffer
      - .actual_access:  write_only
        .address_space:  global
        .offset:         80
        .size:           8
        .value_kind:     global_buffer
    .group_segment_fixed_size: 16392
    .kernarg_segment_align: 8
    .kernarg_segment_size: 88
    .language:       OpenCL C
    .language_version:
      - 2
      - 0
    .max_flat_workgroup_size: 128
    .name:           _ZN9rocsparseL40csr2gebsr_block_per_row_multipass_kernelILj128ELj16ELj64E21rocsparse_complex_numIdEEEv20rocsparse_direction_iiiiii21rocsparse_index_base_PKT2_PKiS9_S4_PS5_PiSB_
    .private_segment_fixed_size: 0
    .sgpr_count:     42
    .sgpr_spill_count: 0
    .symbol:         _ZN9rocsparseL40csr2gebsr_block_per_row_multipass_kernelILj128ELj16ELj64E21rocsparse_complex_numIdEEEv20rocsparse_direction_iiiiii21rocsparse_index_base_PKT2_PKiS9_S4_PS5_PiSB_.kd
    .uniform_work_group_size: 1
    .uses_dynamic_stack: false
    .vgpr_count:     58
    .vgpr_spill_count: 0
    .wavefront_size: 32
  - .args:
      - .offset:         0
        .size:           4
        .value_kind:     by_value
      - .offset:         4
        .size:           4
        .value_kind:     by_value
      - .offset:         8
        .size:           4
        .value_kind:     by_value
      - .offset:         12
        .size:           4
        .value_kind:     by_value
      - .offset:         16
        .size:           4
        .value_kind:     by_value
      - .offset:         20
        .size:           4
        .value_kind:     by_value
      - .offset:         24
        .size:           4
        .value_kind:     by_value
      - .offset:         28
        .size:           4
        .value_kind:     by_value
      - .actual_access:  read_only
        .address_space:  global
        .offset:         32
        .size:           8
        .value_kind:     global_buffer
      - .actual_access:  read_only
        .address_space:  global
        .offset:         40
        .size:           8
        .value_kind:     global_buffer
      - .actual_access:  read_only
        .address_space:  global
        .offset:         48
        .size:           8
        .value_kind:     global_buffer
      - .offset:         56
        .size:           4
        .value_kind:     by_value
      - .actual_access:  write_only
        .address_space:  global
        .offset:         64
        .size:           8
        .value_kind:     global_buffer
      - .actual_access:  read_only
        .address_space:  global
        .offset:         72
        .size:           8
        .value_kind:     global_buffer
      - .actual_access:  write_only
        .address_space:  global
        .offset:         80
        .size:           8
        .value_kind:     global_buffer
    .group_segment_fixed_size: 4104
    .kernarg_segment_align: 8
    .kernarg_segment_size: 88
    .language:       OpenCL C
    .language_version:
      - 2
      - 0
    .max_flat_workgroup_size: 256
    .name:           _ZN9rocsparseL44csr2gebsr_wavefront_per_row_multipass_kernelILi256ELi32ELi2ELi64E21rocsparse_complex_numIdEEEv20rocsparse_direction_iiiiii21rocsparse_index_base_PKT3_PKiS9_S4_PS5_PiSB_
    .private_segment_fixed_size: 0
    .sgpr_count:     24
    .sgpr_spill_count: 0
    .symbol:         _ZN9rocsparseL44csr2gebsr_wavefront_per_row_multipass_kernelILi256ELi32ELi2ELi64E21rocsparse_complex_numIdEEEv20rocsparse_direction_iiiiii21rocsparse_index_base_PKT3_PKiS9_S4_PS5_PiSB_.kd
    .uniform_work_group_size: 1
    .uses_dynamic_stack: false
    .vgpr_count:     38
    .vgpr_spill_count: 0
    .wavefront_size: 32
  - .args:
      - .offset:         0
        .size:           4
        .value_kind:     by_value
      - .offset:         4
        .size:           4
        .value_kind:     by_value
      - .offset:         8
        .size:           4
        .value_kind:     by_value
      - .offset:         12
        .size:           4
        .value_kind:     by_value
      - .offset:         16
        .size:           4
        .value_kind:     by_value
      - .offset:         20
        .size:           4
        .value_kind:     by_value
      - .offset:         24
        .size:           4
        .value_kind:     by_value
      - .offset:         28
        .size:           4
        .value_kind:     by_value
      - .actual_access:  read_only
        .address_space:  global
        .offset:         32
        .size:           8
        .value_kind:     global_buffer
      - .actual_access:  read_only
        .address_space:  global
        .offset:         40
        .size:           8
        .value_kind:     global_buffer
      - .actual_access:  read_only
        .address_space:  global
        .offset:         48
        .size:           8
        .value_kind:     global_buffer
      - .offset:         56
        .size:           4
        .value_kind:     by_value
      - .actual_access:  write_only
        .address_space:  global
        .offset:         64
        .size:           8
        .value_kind:     global_buffer
      - .actual_access:  read_only
        .address_space:  global
        .offset:         72
        .size:           8
        .value_kind:     global_buffer
      - .actual_access:  write_only
        .address_space:  global
        .offset:         80
        .size:           8
        .value_kind:     global_buffer
    .group_segment_fixed_size: 8200
    .kernarg_segment_align: 8
    .kernarg_segment_size: 88
    .language:       OpenCL C
    .language_version:
      - 2
      - 0
    .max_flat_workgroup_size: 256
    .name:           _ZN9rocsparseL44csr2gebsr_wavefront_per_row_multipass_kernelILi256ELi32ELi2ELi32E21rocsparse_complex_numIdEEEv20rocsparse_direction_iiiiii21rocsparse_index_base_PKT3_PKiS9_S4_PS5_PiSB_
    .private_segment_fixed_size: 0
    .sgpr_count:     28
    .sgpr_spill_count: 0
    .symbol:         _ZN9rocsparseL44csr2gebsr_wavefront_per_row_multipass_kernelILi256ELi32ELi2ELi32E21rocsparse_complex_numIdEEEv20rocsparse_direction_iiiiii21rocsparse_index_base_PKT3_PKiS9_S4_PS5_PiSB_.kd
    .uniform_work_group_size: 1
    .uses_dynamic_stack: false
    .vgpr_count:     38
    .vgpr_spill_count: 0
    .wavefront_size: 32
  - .args:
      - .offset:         0
        .size:           4
        .value_kind:     by_value
      - .offset:         4
        .size:           4
        .value_kind:     by_value
      - .offset:         8
        .size:           4
        .value_kind:     by_value
      - .offset:         12
        .size:           4
        .value_kind:     by_value
      - .offset:         16
        .size:           4
        .value_kind:     by_value
      - .offset:         20
        .size:           4
        .value_kind:     by_value
      - .offset:         24
        .size:           4
        .value_kind:     by_value
      - .offset:         28
        .size:           4
        .value_kind:     by_value
      - .actual_access:  read_only
        .address_space:  global
        .offset:         32
        .size:           8
        .value_kind:     global_buffer
      - .actual_access:  read_only
        .address_space:  global
        .offset:         40
        .size:           8
        .value_kind:     global_buffer
      - .actual_access:  read_only
        .address_space:  global
        .offset:         48
        .size:           8
        .value_kind:     global_buffer
      - .offset:         56
        .size:           4
        .value_kind:     by_value
      - .actual_access:  write_only
        .address_space:  global
        .offset:         64
        .size:           8
        .value_kind:     global_buffer
      - .actual_access:  read_only
        .address_space:  global
        .offset:         72
        .size:           8
        .value_kind:     global_buffer
      - .actual_access:  write_only
        .address_space:  global
        .offset:         80
        .size:           8
        .value_kind:     global_buffer
    .group_segment_fixed_size: 8200
    .kernarg_segment_align: 8
    .kernarg_segment_size: 88
    .language:       OpenCL C
    .language_version:
      - 2
      - 0
    .max_flat_workgroup_size: 256
    .name:           _ZN9rocsparseL44csr2gebsr_wavefront_per_row_multipass_kernelILi256ELi32ELi4ELi64E21rocsparse_complex_numIdEEEv20rocsparse_direction_iiiiii21rocsparse_index_base_PKT3_PKiS9_S4_PS5_PiSB_
    .private_segment_fixed_size: 0
    .sgpr_count:     27
    .sgpr_spill_count: 0
    .symbol:         _ZN9rocsparseL44csr2gebsr_wavefront_per_row_multipass_kernelILi256ELi32ELi4ELi64E21rocsparse_complex_numIdEEEv20rocsparse_direction_iiiiii21rocsparse_index_base_PKT3_PKiS9_S4_PS5_PiSB_.kd
    .uniform_work_group_size: 1
    .uses_dynamic_stack: false
    .vgpr_count:     46
    .vgpr_spill_count: 0
    .wavefront_size: 32
  - .args:
      - .offset:         0
        .size:           4
        .value_kind:     by_value
      - .offset:         4
        .size:           4
        .value_kind:     by_value
      - .offset:         8
        .size:           4
        .value_kind:     by_value
      - .offset:         12
        .size:           4
        .value_kind:     by_value
      - .offset:         16
        .size:           4
        .value_kind:     by_value
      - .offset:         20
        .size:           4
        .value_kind:     by_value
      - .offset:         24
        .size:           4
        .value_kind:     by_value
      - .offset:         28
        .size:           4
        .value_kind:     by_value
      - .actual_access:  read_only
        .address_space:  global
        .offset:         32
        .size:           8
        .value_kind:     global_buffer
      - .actual_access:  read_only
        .address_space:  global
        .offset:         40
        .size:           8
        .value_kind:     global_buffer
      - .actual_access:  read_only
        .address_space:  global
        .offset:         48
        .size:           8
        .value_kind:     global_buffer
      - .offset:         56
        .size:           4
        .value_kind:     by_value
      - .actual_access:  write_only
        .address_space:  global
        .offset:         64
        .size:           8
        .value_kind:     global_buffer
      - .actual_access:  read_only
        .address_space:  global
        .offset:         72
        .size:           8
        .value_kind:     global_buffer
      - .actual_access:  write_only
        .address_space:  global
        .offset:         80
        .size:           8
        .value_kind:     global_buffer
    .group_segment_fixed_size: 16392
    .kernarg_segment_align: 8
    .kernarg_segment_size: 88
    .language:       OpenCL C
    .language_version:
      - 2
      - 0
    .max_flat_workgroup_size: 256
    .name:           _ZN9rocsparseL44csr2gebsr_wavefront_per_row_multipass_kernelILi256ELi32ELi4ELi32E21rocsparse_complex_numIdEEEv20rocsparse_direction_iiiiii21rocsparse_index_base_PKT3_PKiS9_S4_PS5_PiSB_
    .private_segment_fixed_size: 0
    .sgpr_count:     42
    .sgpr_spill_count: 0
    .symbol:         _ZN9rocsparseL44csr2gebsr_wavefront_per_row_multipass_kernelILi256ELi32ELi4ELi32E21rocsparse_complex_numIdEEEv20rocsparse_direction_iiiiii21rocsparse_index_base_PKT3_PKiS9_S4_PS5_PiSB_.kd
    .uniform_work_group_size: 1
    .uses_dynamic_stack: false
    .vgpr_count:     40
    .vgpr_spill_count: 0
    .wavefront_size: 32
  - .args:
      - .offset:         0
        .size:           4
        .value_kind:     by_value
      - .offset:         4
        .size:           4
        .value_kind:     by_value
      - .offset:         8
        .size:           4
        .value_kind:     by_value
      - .offset:         12
        .size:           4
        .value_kind:     by_value
      - .offset:         16
        .size:           4
        .value_kind:     by_value
      - .offset:         20
        .size:           4
        .value_kind:     by_value
      - .offset:         24
        .size:           4
        .value_kind:     by_value
      - .offset:         28
        .size:           4
        .value_kind:     by_value
      - .actual_access:  read_only
        .address_space:  global
        .offset:         32
        .size:           8
        .value_kind:     global_buffer
      - .actual_access:  read_only
        .address_space:  global
        .offset:         40
        .size:           8
        .value_kind:     global_buffer
      - .actual_access:  read_only
        .address_space:  global
        .offset:         48
        .size:           8
        .value_kind:     global_buffer
      - .offset:         56
        .size:           4
        .value_kind:     by_value
      - .actual_access:  write_only
        .address_space:  global
        .offset:         64
        .size:           8
        .value_kind:     global_buffer
      - .actual_access:  read_only
        .address_space:  global
        .offset:         72
        .size:           8
        .value_kind:     global_buffer
      - .actual_access:  write_only
        .address_space:  global
        .offset:         80
        .size:           8
        .value_kind:     global_buffer
    .group_segment_fixed_size: 16392
    .kernarg_segment_align: 8
    .kernarg_segment_size: 88
    .language:       OpenCL C
    .language_version:
      - 2
      - 0
    .max_flat_workgroup_size: 256
    .name:           _ZN9rocsparseL44csr2gebsr_wavefront_per_row_multipass_kernelILi256ELi32ELi8ELi64E21rocsparse_complex_numIdEEEv20rocsparse_direction_iiiiii21rocsparse_index_base_PKT3_PKiS9_S4_PS5_PiSB_
    .private_segment_fixed_size: 0
    .sgpr_count:     29
    .sgpr_spill_count: 0
    .symbol:         _ZN9rocsparseL44csr2gebsr_wavefront_per_row_multipass_kernelILi256ELi32ELi8ELi64E21rocsparse_complex_numIdEEEv20rocsparse_direction_iiiiii21rocsparse_index_base_PKT3_PKiS9_S4_PS5_PiSB_.kd
    .uniform_work_group_size: 1
    .uses_dynamic_stack: false
    .vgpr_count:     52
    .vgpr_spill_count: 0
    .wavefront_size: 32
  - .args:
      - .offset:         0
        .size:           4
        .value_kind:     by_value
      - .offset:         4
        .size:           4
        .value_kind:     by_value
      - .offset:         8
        .size:           4
        .value_kind:     by_value
      - .offset:         12
        .size:           4
        .value_kind:     by_value
      - .offset:         16
        .size:           4
        .value_kind:     by_value
      - .offset:         20
        .size:           4
        .value_kind:     by_value
      - .offset:         24
        .size:           4
        .value_kind:     by_value
      - .offset:         28
        .size:           4
        .value_kind:     by_value
      - .actual_access:  read_only
        .address_space:  global
        .offset:         32
        .size:           8
        .value_kind:     global_buffer
      - .actual_access:  read_only
        .address_space:  global
        .offset:         40
        .size:           8
        .value_kind:     global_buffer
      - .actual_access:  read_only
        .address_space:  global
        .offset:         48
        .size:           8
        .value_kind:     global_buffer
      - .offset:         56
        .size:           4
        .value_kind:     by_value
      - .actual_access:  write_only
        .address_space:  global
        .offset:         64
        .size:           8
        .value_kind:     global_buffer
      - .actual_access:  read_only
        .address_space:  global
        .offset:         72
        .size:           8
        .value_kind:     global_buffer
      - .actual_access:  write_only
        .address_space:  global
        .offset:         80
        .size:           8
        .value_kind:     global_buffer
    .group_segment_fixed_size: 32776
    .kernarg_segment_align: 8
    .kernarg_segment_size: 88
    .language:       OpenCL C
    .language_version:
      - 2
      - 0
    .max_flat_workgroup_size: 256
    .name:           _ZN9rocsparseL44csr2gebsr_wavefront_per_row_multipass_kernelILi256ELi32ELi8ELi32E21rocsparse_complex_numIdEEEv20rocsparse_direction_iiiiii21rocsparse_index_base_PKT3_PKiS9_S4_PS5_PiSB_
    .private_segment_fixed_size: 0
    .sgpr_count:     50
    .sgpr_spill_count: 0
    .symbol:         _ZN9rocsparseL44csr2gebsr_wavefront_per_row_multipass_kernelILi256ELi32ELi8ELi32E21rocsparse_complex_numIdEEEv20rocsparse_direction_iiiiii21rocsparse_index_base_PKT3_PKiS9_S4_PS5_PiSB_.kd
    .uniform_work_group_size: 1
    .uses_dynamic_stack: false
    .vgpr_count:     44
    .vgpr_spill_count: 0
    .wavefront_size: 32
  - .args:
      - .offset:         0
        .size:           4
        .value_kind:     by_value
      - .offset:         4
        .size:           4
        .value_kind:     by_value
      - .offset:         8
        .size:           4
        .value_kind:     by_value
      - .offset:         12
        .size:           4
        .value_kind:     by_value
      - .offset:         16
        .size:           4
        .value_kind:     by_value
      - .offset:         20
        .size:           4
        .value_kind:     by_value
      - .offset:         24
        .size:           4
        .value_kind:     by_value
      - .offset:         28
        .size:           4
        .value_kind:     by_value
      - .actual_access:  read_only
        .address_space:  global
        .offset:         32
        .size:           8
        .value_kind:     global_buffer
      - .actual_access:  read_only
        .address_space:  global
        .offset:         40
        .size:           8
        .value_kind:     global_buffer
      - .actual_access:  read_only
        .address_space:  global
        .offset:         48
        .size:           8
        .value_kind:     global_buffer
      - .offset:         56
        .size:           4
        .value_kind:     by_value
      - .actual_access:  write_only
        .address_space:  global
        .offset:         64
        .size:           8
        .value_kind:     global_buffer
      - .actual_access:  read_only
        .address_space:  global
        .offset:         72
        .size:           8
        .value_kind:     global_buffer
      - .actual_access:  write_only
        .address_space:  global
        .offset:         80
        .size:           8
        .value_kind:     global_buffer
    .group_segment_fixed_size: 8200
    .kernarg_segment_align: 8
    .kernarg_segment_size: 88
    .language:       OpenCL C
    .language_version:
      - 2
      - 0
    .max_flat_workgroup_size: 256
    .name:           _ZN9rocsparseL40csr2gebsr_block_per_row_multipass_kernelILj256ELj32ELj16E21rocsparse_complex_numIdEEEv20rocsparse_direction_iiiiii21rocsparse_index_base_PKT2_PKiS9_S4_PS5_PiSB_
    .private_segment_fixed_size: 0
    .sgpr_count:     42
    .sgpr_spill_count: 0
    .symbol:         _ZN9rocsparseL40csr2gebsr_block_per_row_multipass_kernelILj256ELj32ELj16E21rocsparse_complex_numIdEEEv20rocsparse_direction_iiiiii21rocsparse_index_base_PKT2_PKiS9_S4_PS5_PiSB_.kd
    .uniform_work_group_size: 1
    .uses_dynamic_stack: false
    .vgpr_count:     38
    .vgpr_spill_count: 0
    .wavefront_size: 32
  - .args:
      - .offset:         0
        .size:           4
        .value_kind:     by_value
      - .offset:         4
        .size:           4
        .value_kind:     by_value
      - .offset:         8
        .size:           4
        .value_kind:     by_value
      - .offset:         12
        .size:           4
        .value_kind:     by_value
      - .offset:         16
        .size:           4
        .value_kind:     by_value
      - .offset:         20
        .size:           4
        .value_kind:     by_value
      - .offset:         24
        .size:           4
        .value_kind:     by_value
      - .offset:         28
        .size:           4
        .value_kind:     by_value
      - .actual_access:  read_only
        .address_space:  global
        .offset:         32
        .size:           8
        .value_kind:     global_buffer
      - .actual_access:  read_only
        .address_space:  global
        .offset:         40
        .size:           8
        .value_kind:     global_buffer
      - .actual_access:  read_only
        .address_space:  global
        .offset:         48
        .size:           8
        .value_kind:     global_buffer
      - .offset:         56
        .size:           4
        .value_kind:     by_value
      - .actual_access:  write_only
        .address_space:  global
        .offset:         64
        .size:           8
        .value_kind:     global_buffer
      - .actual_access:  read_only
        .address_space:  global
        .offset:         72
        .size:           8
        .value_kind:     global_buffer
      - .actual_access:  write_only
        .address_space:  global
        .offset:         80
        .size:           8
        .value_kind:     global_buffer
    .group_segment_fixed_size: 16392
    .kernarg_segment_align: 8
    .kernarg_segment_size: 88
    .language:       OpenCL C
    .language_version:
      - 2
      - 0
    .max_flat_workgroup_size: 256
    .name:           _ZN9rocsparseL40csr2gebsr_block_per_row_multipass_kernelILj256ELj32ELj32E21rocsparse_complex_numIdEEEv20rocsparse_direction_iiiiii21rocsparse_index_base_PKT2_PKiS9_S4_PS5_PiSB_
    .private_segment_fixed_size: 0
    .sgpr_count:     42
    .sgpr_spill_count: 0
    .symbol:         _ZN9rocsparseL40csr2gebsr_block_per_row_multipass_kernelILj256ELj32ELj32E21rocsparse_complex_numIdEEEv20rocsparse_direction_iiiiii21rocsparse_index_base_PKT2_PKiS9_S4_PS5_PiSB_.kd
    .uniform_work_group_size: 1
    .uses_dynamic_stack: false
    .vgpr_count:     46
    .vgpr_spill_count: 0
    .wavefront_size: 32
  - .args:
      - .offset:         0
        .size:           4
        .value_kind:     by_value
      - .offset:         4
        .size:           4
        .value_kind:     by_value
      - .offset:         8
        .size:           4
        .value_kind:     by_value
      - .offset:         12
        .size:           4
        .value_kind:     by_value
      - .offset:         16
        .size:           4
        .value_kind:     by_value
      - .offset:         20
        .size:           4
        .value_kind:     by_value
      - .offset:         24
        .size:           4
        .value_kind:     by_value
      - .offset:         28
        .size:           4
        .value_kind:     by_value
      - .actual_access:  read_only
        .address_space:  global
        .offset:         32
        .size:           8
        .value_kind:     global_buffer
      - .actual_access:  read_only
        .address_space:  global
        .offset:         40
        .size:           8
        .value_kind:     global_buffer
      - .actual_access:  read_only
        .address_space:  global
        .offset:         48
        .size:           8
        .value_kind:     global_buffer
      - .offset:         56
        .size:           4
        .value_kind:     by_value
      - .actual_access:  write_only
        .address_space:  global
        .offset:         64
        .size:           8
        .value_kind:     global_buffer
      - .actual_access:  read_only
        .address_space:  global
        .offset:         72
        .size:           8
        .value_kind:     global_buffer
      - .actual_access:  write_only
        .address_space:  global
        .offset:         80
        .size:           8
        .value_kind:     global_buffer
    .group_segment_fixed_size: 32776
    .kernarg_segment_align: 8
    .kernarg_segment_size: 88
    .language:       OpenCL C
    .language_version:
      - 2
      - 0
    .max_flat_workgroup_size: 256
    .name:           _ZN9rocsparseL40csr2gebsr_block_per_row_multipass_kernelILj256ELj32ELj64E21rocsparse_complex_numIdEEEv20rocsparse_direction_iiiiii21rocsparse_index_base_PKT2_PKiS9_S4_PS5_PiSB_
    .private_segment_fixed_size: 0
    .sgpr_count:     42
    .sgpr_spill_count: 0
    .symbol:         _ZN9rocsparseL40csr2gebsr_block_per_row_multipass_kernelILj256ELj32ELj64E21rocsparse_complex_numIdEEEv20rocsparse_direction_iiiiii21rocsparse_index_base_PKT2_PKiS9_S4_PS5_PiSB_.kd
    .uniform_work_group_size: 1
    .uses_dynamic_stack: false
    .vgpr_count:     58
    .vgpr_spill_count: 0
    .wavefront_size: 32
  - .args:
      - .offset:         0
        .size:           4
        .value_kind:     by_value
      - .offset:         4
        .size:           4
        .value_kind:     by_value
      - .offset:         8
        .size:           4
        .value_kind:     by_value
      - .offset:         12
        .size:           4
        .value_kind:     by_value
      - .offset:         16
        .size:           4
        .value_kind:     by_value
      - .offset:         20
        .size:           4
        .value_kind:     by_value
      - .offset:         24
        .size:           4
        .value_kind:     by_value
      - .offset:         28
        .size:           4
        .value_kind:     by_value
      - .actual_access:  read_only
        .address_space:  global
        .offset:         32
        .size:           8
        .value_kind:     global_buffer
      - .actual_access:  read_only
        .address_space:  global
        .offset:         40
        .size:           8
        .value_kind:     global_buffer
      - .actual_access:  read_only
        .address_space:  global
        .offset:         48
        .size:           8
        .value_kind:     global_buffer
      - .offset:         56
        .size:           4
        .value_kind:     by_value
      - .actual_access:  write_only
        .address_space:  global
        .offset:         64
        .size:           8
        .value_kind:     global_buffer
      - .actual_access:  read_only
        .address_space:  global
        .offset:         72
        .size:           8
        .value_kind:     global_buffer
      - .actual_access:  write_only
        .address_space:  global
        .offset:         80
        .size:           8
        .value_kind:     global_buffer
    .group_segment_fixed_size: 2056
    .kernarg_segment_align: 8
    .kernarg_segment_size: 88
    .language:       OpenCL C
    .language_version:
      - 2
      - 0
    .max_flat_workgroup_size: 128
    .name:           _ZN9rocsparseL40csr2gebsr_block_per_row_multipass_kernelILj128ELj64ELj2E21rocsparse_complex_numIdEEEv20rocsparse_direction_iiiiii21rocsparse_index_base_PKT2_PKiS9_S4_PS5_PiSB_
    .private_segment_fixed_size: 0
    .sgpr_count:     32
    .sgpr_spill_count: 0
    .symbol:         _ZN9rocsparseL40csr2gebsr_block_per_row_multipass_kernelILj128ELj64ELj2E21rocsparse_complex_numIdEEEv20rocsparse_direction_iiiiii21rocsparse_index_base_PKT2_PKiS9_S4_PS5_PiSB_.kd
    .uniform_work_group_size: 1
    .uses_dynamic_stack: false
    .vgpr_count:     26
    .vgpr_spill_count: 0
    .wavefront_size: 32
  - .args:
      - .offset:         0
        .size:           4
        .value_kind:     by_value
      - .offset:         4
        .size:           4
        .value_kind:     by_value
      - .offset:         8
        .size:           4
        .value_kind:     by_value
      - .offset:         12
        .size:           4
        .value_kind:     by_value
      - .offset:         16
        .size:           4
        .value_kind:     by_value
      - .offset:         20
        .size:           4
        .value_kind:     by_value
      - .offset:         24
        .size:           4
        .value_kind:     by_value
      - .offset:         28
        .size:           4
        .value_kind:     by_value
      - .actual_access:  read_only
        .address_space:  global
        .offset:         32
        .size:           8
        .value_kind:     global_buffer
      - .actual_access:  read_only
        .address_space:  global
        .offset:         40
        .size:           8
        .value_kind:     global_buffer
      - .actual_access:  read_only
        .address_space:  global
        .offset:         48
        .size:           8
        .value_kind:     global_buffer
      - .offset:         56
        .size:           4
        .value_kind:     by_value
      - .actual_access:  write_only
        .address_space:  global
        .offset:         64
        .size:           8
        .value_kind:     global_buffer
      - .actual_access:  read_only
        .address_space:  global
        .offset:         72
        .size:           8
        .value_kind:     global_buffer
      - .actual_access:  write_only
        .address_space:  global
        .offset:         80
        .size:           8
        .value_kind:     global_buffer
    .group_segment_fixed_size: 4104
    .kernarg_segment_align: 8
    .kernarg_segment_size: 88
    .language:       OpenCL C
    .language_version:
      - 2
      - 0
    .max_flat_workgroup_size: 256
    .name:           _ZN9rocsparseL40csr2gebsr_block_per_row_multipass_kernelILj256ELj64ELj4E21rocsparse_complex_numIdEEEv20rocsparse_direction_iiiiii21rocsparse_index_base_PKT2_PKiS9_S4_PS5_PiSB_
    .private_segment_fixed_size: 0
    .sgpr_count:     34
    .sgpr_spill_count: 0
    .symbol:         _ZN9rocsparseL40csr2gebsr_block_per_row_multipass_kernelILj256ELj64ELj4E21rocsparse_complex_numIdEEEv20rocsparse_direction_iiiiii21rocsparse_index_base_PKT2_PKiS9_S4_PS5_PiSB_.kd
    .uniform_work_group_size: 1
    .uses_dynamic_stack: false
    .vgpr_count:     28
    .vgpr_spill_count: 0
    .wavefront_size: 32
  - .args:
      - .offset:         0
        .size:           4
        .value_kind:     by_value
      - .offset:         4
        .size:           4
        .value_kind:     by_value
      - .offset:         8
        .size:           4
        .value_kind:     by_value
      - .offset:         12
        .size:           4
        .value_kind:     by_value
      - .offset:         16
        .size:           4
        .value_kind:     by_value
      - .offset:         20
        .size:           4
        .value_kind:     by_value
      - .offset:         24
        .size:           4
        .value_kind:     by_value
      - .offset:         28
        .size:           4
        .value_kind:     by_value
      - .actual_access:  read_only
        .address_space:  global
        .offset:         32
        .size:           8
        .value_kind:     global_buffer
      - .actual_access:  read_only
        .address_space:  global
        .offset:         40
        .size:           8
        .value_kind:     global_buffer
      - .actual_access:  read_only
        .address_space:  global
        .offset:         48
        .size:           8
        .value_kind:     global_buffer
      - .offset:         56
        .size:           4
        .value_kind:     by_value
      - .actual_access:  write_only
        .address_space:  global
        .offset:         64
        .size:           8
        .value_kind:     global_buffer
      - .actual_access:  read_only
        .address_space:  global
        .offset:         72
        .size:           8
        .value_kind:     global_buffer
      - .actual_access:  write_only
        .address_space:  global
        .offset:         80
        .size:           8
        .value_kind:     global_buffer
    .group_segment_fixed_size: 8200
    .kernarg_segment_align: 8
    .kernarg_segment_size: 88
    .language:       OpenCL C
    .language_version:
      - 2
      - 0
    .max_flat_workgroup_size: 256
    .name:           _ZN9rocsparseL40csr2gebsr_block_per_row_multipass_kernelILj256ELj64ELj8E21rocsparse_complex_numIdEEEv20rocsparse_direction_iiiiii21rocsparse_index_base_PKT2_PKiS9_S4_PS5_PiSB_
    .private_segment_fixed_size: 0
    .sgpr_count:     42
    .sgpr_spill_count: 0
    .symbol:         _ZN9rocsparseL40csr2gebsr_block_per_row_multipass_kernelILj256ELj64ELj8E21rocsparse_complex_numIdEEEv20rocsparse_direction_iiiiii21rocsparse_index_base_PKT2_PKiS9_S4_PS5_PiSB_.kd
    .uniform_work_group_size: 1
    .uses_dynamic_stack: false
    .vgpr_count:     36
    .vgpr_spill_count: 0
    .wavefront_size: 32
  - .args:
      - .offset:         0
        .size:           4
        .value_kind:     by_value
      - .offset:         4
        .size:           4
        .value_kind:     by_value
      - .offset:         8
        .size:           4
        .value_kind:     by_value
      - .offset:         12
        .size:           4
        .value_kind:     by_value
      - .offset:         16
        .size:           4
        .value_kind:     by_value
      - .offset:         20
        .size:           4
        .value_kind:     by_value
      - .offset:         24
        .size:           4
        .value_kind:     by_value
      - .offset:         28
        .size:           4
        .value_kind:     by_value
      - .actual_access:  read_only
        .address_space:  global
        .offset:         32
        .size:           8
        .value_kind:     global_buffer
      - .actual_access:  read_only
        .address_space:  global
        .offset:         40
        .size:           8
        .value_kind:     global_buffer
      - .actual_access:  read_only
        .address_space:  global
        .offset:         48
        .size:           8
        .value_kind:     global_buffer
      - .offset:         56
        .size:           4
        .value_kind:     by_value
      - .actual_access:  write_only
        .address_space:  global
        .offset:         64
        .size:           8
        .value_kind:     global_buffer
      - .actual_access:  read_only
        .address_space:  global
        .offset:         72
        .size:           8
        .value_kind:     global_buffer
      - .actual_access:  write_only
        .address_space:  global
        .offset:         80
        .size:           8
        .value_kind:     global_buffer
    .group_segment_fixed_size: 16392
    .kernarg_segment_align: 8
    .kernarg_segment_size: 88
    .language:       OpenCL C
    .language_version:
      - 2
      - 0
    .max_flat_workgroup_size: 256
    .name:           _ZN9rocsparseL40csr2gebsr_block_per_row_multipass_kernelILj256ELj64ELj16E21rocsparse_complex_numIdEEEv20rocsparse_direction_iiiiii21rocsparse_index_base_PKT2_PKiS9_S4_PS5_PiSB_
    .private_segment_fixed_size: 0
    .sgpr_count:     42
    .sgpr_spill_count: 0
    .symbol:         _ZN9rocsparseL40csr2gebsr_block_per_row_multipass_kernelILj256ELj64ELj16E21rocsparse_complex_numIdEEEv20rocsparse_direction_iiiiii21rocsparse_index_base_PKT2_PKiS9_S4_PS5_PiSB_.kd
    .uniform_work_group_size: 1
    .uses_dynamic_stack: false
    .vgpr_count:     44
    .vgpr_spill_count: 0
    .wavefront_size: 32
  - .args:
      - .offset:         0
        .size:           4
        .value_kind:     by_value
      - .offset:         4
        .size:           4
        .value_kind:     by_value
      - .offset:         8
        .size:           4
        .value_kind:     by_value
      - .offset:         12
        .size:           4
        .value_kind:     by_value
      - .offset:         16
        .size:           4
        .value_kind:     by_value
      - .offset:         20
        .size:           4
        .value_kind:     by_value
      - .offset:         24
        .size:           4
        .value_kind:     by_value
      - .offset:         28
        .size:           4
        .value_kind:     by_value
      - .actual_access:  read_only
        .address_space:  global
        .offset:         32
        .size:           8
        .value_kind:     global_buffer
      - .actual_access:  read_only
        .address_space:  global
        .offset:         40
        .size:           8
        .value_kind:     global_buffer
      - .actual_access:  read_only
        .address_space:  global
        .offset:         48
        .size:           8
        .value_kind:     global_buffer
      - .offset:         56
        .size:           4
        .value_kind:     by_value
      - .actual_access:  write_only
        .address_space:  global
        .offset:         64
        .size:           8
        .value_kind:     global_buffer
      - .actual_access:  read_only
        .address_space:  global
        .offset:         72
        .size:           8
        .value_kind:     global_buffer
      - .actual_access:  write_only
        .address_space:  global
        .offset:         80
        .size:           8
        .value_kind:     global_buffer
    .group_segment_fixed_size: 32776
    .kernarg_segment_align: 8
    .kernarg_segment_size: 88
    .language:       OpenCL C
    .language_version:
      - 2
      - 0
    .max_flat_workgroup_size: 256
    .name:           _ZN9rocsparseL40csr2gebsr_block_per_row_multipass_kernelILj256ELj64ELj32E21rocsparse_complex_numIdEEEv20rocsparse_direction_iiiiii21rocsparse_index_base_PKT2_PKiS9_S4_PS5_PiSB_
    .private_segment_fixed_size: 0
    .sgpr_count:     42
    .sgpr_spill_count: 0
    .symbol:         _ZN9rocsparseL40csr2gebsr_block_per_row_multipass_kernelILj256ELj64ELj32E21rocsparse_complex_numIdEEEv20rocsparse_direction_iiiiii21rocsparse_index_base_PKT2_PKiS9_S4_PS5_PiSB_.kd
    .uniform_work_group_size: 1
    .uses_dynamic_stack: false
    .vgpr_count:     56
    .vgpr_spill_count: 0
    .wavefront_size: 32
  - .args:
      - .offset:         0
        .size:           4
        .value_kind:     by_value
      - .offset:         4
        .size:           4
        .value_kind:     by_value
      - .offset:         8
        .size:           4
        .value_kind:     by_value
      - .offset:         12
        .size:           4
        .value_kind:     by_value
      - .offset:         16
        .size:           4
        .value_kind:     by_value
      - .offset:         20
        .size:           4
        .value_kind:     by_value
      - .offset:         24
        .size:           4
        .value_kind:     by_value
      - .offset:         28
        .size:           4
        .value_kind:     by_value
      - .offset:         32
        .size:           4
        .value_kind:     by_value
      - .actual_access:  read_only
        .address_space:  global
        .offset:         40
        .size:           8
        .value_kind:     global_buffer
      - .actual_access:  read_only
        .address_space:  global
        .offset:         48
        .size:           8
        .value_kind:     global_buffer
      - .actual_access:  read_only
        .address_space:  global
        .offset:         56
        .size:           8
        .value_kind:     global_buffer
      - .offset:         64
        .size:           4
        .value_kind:     by_value
      - .actual_access:  write_only
        .address_space:  global
        .offset:         72
        .size:           8
        .value_kind:     global_buffer
      - .actual_access:  read_only
        .address_space:  global
        .offset:         80
        .size:           8
        .value_kind:     global_buffer
      - .actual_access:  write_only
        .address_space:  global
        .offset:         88
        .size:           8
        .value_kind:     global_buffer
      - .address_space:  global
        .offset:         96
        .size:           8
        .value_kind:     global_buffer
      - .address_space:  global
        .offset:         104
        .size:           8
        .value_kind:     global_buffer
    .group_segment_fixed_size: 0
    .kernarg_segment_align: 8
    .kernarg_segment_size: 112
    .language:       OpenCL C
    .language_version:
      - 2
      - 0
    .max_flat_workgroup_size: 32
    .name:           _ZN9rocsparseL23csr2gebsr_65_inf_kernelILi32E21rocsparse_complex_numIdEEEv20rocsparse_direction_iiiiiii21rocsparse_index_base_PKT0_PKiS9_S4_PS5_PiSB_SB_SA_
    .private_segment_fixed_size: 0
    .sgpr_count:     39
    .sgpr_spill_count: 0
    .symbol:         _ZN9rocsparseL23csr2gebsr_65_inf_kernelILi32E21rocsparse_complex_numIdEEEv20rocsparse_direction_iiiiiii21rocsparse_index_base_PKT0_PKiS9_S4_PS5_PiSB_SB_SA_.kd
    .uniform_work_group_size: 1
    .uses_dynamic_stack: false
    .vgpr_count:     40
    .vgpr_spill_count: 0
    .wavefront_size: 32
amdhsa.target:   amdgcn-amd-amdhsa--gfx1250
amdhsa.version:
  - 1
  - 2
...

	.end_amdgpu_metadata
